;; amdgpu-corpus repo=ROCm/rccl kind=compiled arch=gfx906 opt=O3
	.amdgcn_target "amdgcn-amd-amdhsa--gfx906"
	.amdhsa_code_object_version 6
	.text
	.p2align	2                               ; -- Begin function __ockl_fprintf_append_string_n
	.type	__ockl_fprintf_append_string_n,@function
__ockl_fprintf_append_string_n:         ; @__ockl_fprintf_append_string_n
; %bb.0:
	s_waitcnt vmcnt(0) expcnt(0) lgkmcnt(0)
	v_or_b32_e32 v2, 2, v0
	v_cmp_eq_u32_e32 vcc, 0, v6
	s_getpc_b64 s[4:5]
	s_add_u32 s4, s4, .str.3@rel32@lo+4
	s_addc_u32 s5, s5, .str.3@rel32@hi+12
	s_mov_b32 s20, 0
	v_cndmask_b32_e32 v36, v2, v0, vcc
	s_mov_b64 s[6:7], 0
	s_cmp_lg_u64 s[4:5], 0
	v_mbcnt_lo_u32_b32 v37, -1, 0
	s_cbranch_scc0 .LBB0_112
; %bb.1:
	s_load_dwordx2 s[10:11], s[8:9], 0x50
	s_getpc_b64 s[4:5]
	s_add_u32 s4, s4, .str.3@rel32@lo+4
	s_addc_u32 s5, s5, .str.3@rel32@hi+12
	v_and_b32_e32 v0, -3, v36
	v_mov_b32_e32 v31, s5
	v_mov_b32_e32 v11, v1
	v_and_b32_e32 v38, 2, v36
	v_mov_b32_e32 v3, 0
	v_mbcnt_hi_u32_b32 v39, -1, v37
	v_mov_b32_e32 v30, s4
	s_movk_i32 s21, 0x1e0
	v_mov_b32_e32 v8, 2
	v_mov_b32_e32 v9, 1
	;; [unrolled: 1-line block ×3, first 2 shown]
	s_branch .LBB0_3
.LBB0_2:                                ;   in Loop: Header=BB0_3 Depth=1
	s_or_b64 exec, exec, s[14:15]
	v_sub_co_u32_e32 v4, vcc, v4, v32
	v_subb_co_u32_e32 v5, vcc, v5, v33, vcc
	v_cmp_eq_u64_e32 vcc, 0, v[4:5]
	s_or_b64 s[6:7], vcc, s[6:7]
	v_add_co_u32_e32 v30, vcc, v30, v32
	v_addc_co_u32_e32 v31, vcc, v31, v33, vcc
	s_andn2_b64 exec, exec, s[6:7]
	s_cbranch_execz .LBB0_85
.LBB0_3:                                ; =>This Loop Header: Depth=1
                                        ;     Child Loop BB0_6 Depth 2
                                        ;     Child Loop BB0_14 Depth 2
	;; [unrolled: 1-line block ×11, first 2 shown]
	v_cmp_gt_u64_e32 vcc, 56, v[4:5]
	v_add_co_u32_e64 v16, s[4:5], 8, v30
	v_cndmask_b32_e32 v33, 0, v5, vcc
	v_cndmask_b32_e32 v32, 56, v4, vcc
	v_cmp_gt_u64_e32 vcc, 8, v[4:5]
	v_addc_co_u32_e64 v17, s[4:5], 0, v31, s[4:5]
	s_and_saveexec_b64 s[4:5], vcc
	s_xor_b64 s[4:5], exec, s[4:5]
	s_cbranch_execz .LBB0_9
; %bb.4:                                ;   in Loop: Header=BB0_3 Depth=1
	s_waitcnt vmcnt(0)
	v_mov_b32_e32 v12, 0
	v_cmp_ne_u64_e32 vcc, 0, v[4:5]
	v_mov_b32_e32 v13, 0
	s_and_saveexec_b64 s[12:13], vcc
	s_cbranch_execz .LBB0_8
; %bb.5:                                ;   in Loop: Header=BB0_3 Depth=1
	v_lshlrev_b64 v[6:7], 3, v[32:33]
	v_mov_b32_e32 v12, 0
	v_mov_b32_e32 v14, v30
	s_mov_b64 s[14:15], 0
	v_mov_b32_e32 v13, 0
	v_mov_b32_e32 v15, v31
	s_mov_b64 s[16:17], 0
.LBB0_6:                                ;   Parent Loop BB0_3 Depth=1
                                        ; =>  This Inner Loop Header: Depth=2
	global_load_ubyte v0, v[14:15], off
	v_mov_b32_e32 v17, s20
	v_add_co_u32_e32 v14, vcc, 1, v14
	v_addc_co_u32_e32 v15, vcc, 0, v15, vcc
	s_waitcnt vmcnt(0)
	v_and_b32_e32 v16, 0xffff, v0
	v_lshlrev_b64 v[16:17], s16, v[16:17]
	s_add_u32 s16, s16, 8
	s_addc_u32 s17, s17, 0
	v_cmp_eq_u32_e32 vcc, s16, v6
	v_or_b32_e32 v13, v17, v13
	s_or_b64 s[14:15], vcc, s[14:15]
	v_or_b32_e32 v12, v16, v12
	s_andn2_b64 exec, exec, s[14:15]
	s_cbranch_execnz .LBB0_6
; %bb.7:                                ;   in Loop: Header=BB0_3 Depth=1
	s_or_b64 exec, exec, s[14:15]
.LBB0_8:                                ;   in Loop: Header=BB0_3 Depth=1
	s_or_b64 exec, exec, s[12:13]
	v_mov_b32_e32 v16, v30
	v_mov_b32_e32 v17, v31
.LBB0_9:                                ;   in Loop: Header=BB0_3 Depth=1
	s_or_saveexec_b64 s[4:5], s[4:5]
	v_mov_b32_e32 v0, 0
	s_xor_b64 exec, exec, s[4:5]
	s_cbranch_execz .LBB0_11
; %bb.10:                               ;   in Loop: Header=BB0_3 Depth=1
	global_load_dwordx2 v[12:13], v[30:31], off
	v_add_u32_e32 v0, -8, v32
.LBB0_11:                               ;   in Loop: Header=BB0_3 Depth=1
	s_or_b64 exec, exec, s[4:5]
	v_add_co_u32_e64 v6, s[4:5], 8, v16
	v_cmp_gt_u32_e32 vcc, 8, v0
	v_addc_co_u32_e64 v7, s[4:5], 0, v17, s[4:5]
                                        ; implicit-def: $vgpr14_vgpr15
	s_and_saveexec_b64 s[4:5], vcc
	s_xor_b64 s[4:5], exec, s[4:5]
	s_cbranch_execz .LBB0_17
; %bb.12:                               ;   in Loop: Header=BB0_3 Depth=1
	v_mov_b32_e32 v14, 0
	v_mov_b32_e32 v15, 0
	v_cmp_ne_u32_e32 vcc, 0, v0
	s_and_saveexec_b64 s[12:13], vcc
	s_cbranch_execz .LBB0_16
; %bb.13:                               ;   in Loop: Header=BB0_3 Depth=1
	v_mov_b32_e32 v14, 0
	s_mov_b64 s[14:15], 0
	v_mov_b32_e32 v15, 0
	s_mov_b64 s[16:17], 0
	s_mov_b64 s[18:19], 0
.LBB0_14:                               ;   Parent Loop BB0_3 Depth=1
                                        ; =>  This Inner Loop Header: Depth=2
	v_mov_b32_e32 v2, s19
	v_add_co_u32_e32 v6, vcc, s18, v16
	v_addc_co_u32_e32 v7, vcc, v17, v2, vcc
	global_load_ubyte v2, v[6:7], off
	s_add_u32 s18, s18, 1
	v_mov_b32_e32 v7, s20
	s_addc_u32 s19, s19, 0
	v_cmp_eq_u32_e32 vcc, s18, v0
	s_waitcnt vmcnt(0)
	v_and_b32_e32 v6, 0xffff, v2
	v_lshlrev_b64 v[6:7], s16, v[6:7]
	s_add_u32 s16, s16, 8
	s_addc_u32 s17, s17, 0
	v_or_b32_e32 v15, v7, v15
	s_or_b64 s[14:15], vcc, s[14:15]
	v_or_b32_e32 v14, v6, v14
	s_andn2_b64 exec, exec, s[14:15]
	s_cbranch_execnz .LBB0_14
; %bb.15:                               ;   in Loop: Header=BB0_3 Depth=1
	s_or_b64 exec, exec, s[14:15]
.LBB0_16:                               ;   in Loop: Header=BB0_3 Depth=1
	s_or_b64 exec, exec, s[12:13]
	v_mov_b32_e32 v6, v16
	v_mov_b32_e32 v7, v17
                                        ; implicit-def: $vgpr0
.LBB0_17:                               ;   in Loop: Header=BB0_3 Depth=1
	s_or_saveexec_b64 s[4:5], s[4:5]
	v_mov_b32_e32 v2, 0
	s_xor_b64 exec, exec, s[4:5]
	s_cbranch_execz .LBB0_19
; %bb.18:                               ;   in Loop: Header=BB0_3 Depth=1
	global_load_dwordx2 v[14:15], v[16:17], off
	v_add_u32_e32 v2, -8, v0
.LBB0_19:                               ;   in Loop: Header=BB0_3 Depth=1
	s_or_b64 exec, exec, s[4:5]
	v_add_co_u32_e64 v20, s[4:5], 8, v6
	v_cmp_gt_u32_e32 vcc, 8, v2
	v_addc_co_u32_e64 v21, s[4:5], 0, v7, s[4:5]
	s_and_saveexec_b64 s[4:5], vcc
	s_xor_b64 s[4:5], exec, s[4:5]
	s_cbranch_execz .LBB0_25
; %bb.20:                               ;   in Loop: Header=BB0_3 Depth=1
	v_mov_b32_e32 v16, 0
	v_mov_b32_e32 v17, 0
	v_cmp_ne_u32_e32 vcc, 0, v2
	s_and_saveexec_b64 s[12:13], vcc
	s_cbranch_execz .LBB0_24
; %bb.21:                               ;   in Loop: Header=BB0_3 Depth=1
	v_mov_b32_e32 v16, 0
	s_mov_b64 s[14:15], 0
	v_mov_b32_e32 v17, 0
	s_mov_b64 s[16:17], 0
	s_mov_b64 s[18:19], 0
.LBB0_22:                               ;   Parent Loop BB0_3 Depth=1
                                        ; =>  This Inner Loop Header: Depth=2
	v_mov_b32_e32 v0, s19
	v_add_co_u32_e32 v18, vcc, s18, v6
	v_addc_co_u32_e32 v19, vcc, v7, v0, vcc
	global_load_ubyte v0, v[18:19], off
	s_add_u32 s18, s18, 1
	v_mov_b32_e32 v19, s20
	s_addc_u32 s19, s19, 0
	v_cmp_eq_u32_e32 vcc, s18, v2
	s_waitcnt vmcnt(0)
	v_and_b32_e32 v18, 0xffff, v0
	v_lshlrev_b64 v[18:19], s16, v[18:19]
	s_add_u32 s16, s16, 8
	s_addc_u32 s17, s17, 0
	v_or_b32_e32 v17, v19, v17
	s_or_b64 s[14:15], vcc, s[14:15]
	v_or_b32_e32 v16, v18, v16
	s_andn2_b64 exec, exec, s[14:15]
	s_cbranch_execnz .LBB0_22
; %bb.23:                               ;   in Loop: Header=BB0_3 Depth=1
	s_or_b64 exec, exec, s[14:15]
.LBB0_24:                               ;   in Loop: Header=BB0_3 Depth=1
	s_or_b64 exec, exec, s[12:13]
	v_mov_b32_e32 v21, v7
	v_mov_b32_e32 v20, v6
                                        ; implicit-def: $vgpr2
.LBB0_25:                               ;   in Loop: Header=BB0_3 Depth=1
	s_or_saveexec_b64 s[4:5], s[4:5]
	v_mov_b32_e32 v0, 0
	s_xor_b64 exec, exec, s[4:5]
	s_cbranch_execz .LBB0_27
; %bb.26:                               ;   in Loop: Header=BB0_3 Depth=1
	global_load_dwordx2 v[16:17], v[6:7], off
	v_add_u32_e32 v0, -8, v2
.LBB0_27:                               ;   in Loop: Header=BB0_3 Depth=1
	s_or_b64 exec, exec, s[4:5]
	v_add_co_u32_e64 v6, s[4:5], 8, v20
	v_cmp_gt_u32_e32 vcc, 8, v0
	v_addc_co_u32_e64 v7, s[4:5], 0, v21, s[4:5]
                                        ; implicit-def: $vgpr18_vgpr19
	s_and_saveexec_b64 s[4:5], vcc
	s_xor_b64 s[4:5], exec, s[4:5]
	s_cbranch_execz .LBB0_33
; %bb.28:                               ;   in Loop: Header=BB0_3 Depth=1
	v_mov_b32_e32 v18, 0
	v_mov_b32_e32 v19, 0
	v_cmp_ne_u32_e32 vcc, 0, v0
	s_and_saveexec_b64 s[12:13], vcc
	s_cbranch_execz .LBB0_32
; %bb.29:                               ;   in Loop: Header=BB0_3 Depth=1
	v_mov_b32_e32 v18, 0
	s_mov_b64 s[14:15], 0
	v_mov_b32_e32 v19, 0
	s_mov_b64 s[16:17], 0
	s_mov_b64 s[18:19], 0
.LBB0_30:                               ;   Parent Loop BB0_3 Depth=1
                                        ; =>  This Inner Loop Header: Depth=2
	v_mov_b32_e32 v2, s19
	v_add_co_u32_e32 v6, vcc, s18, v20
	v_addc_co_u32_e32 v7, vcc, v21, v2, vcc
	global_load_ubyte v2, v[6:7], off
	s_add_u32 s18, s18, 1
	v_mov_b32_e32 v7, s20
	s_addc_u32 s19, s19, 0
	v_cmp_eq_u32_e32 vcc, s18, v0
	s_waitcnt vmcnt(0)
	v_and_b32_e32 v6, 0xffff, v2
	v_lshlrev_b64 v[6:7], s16, v[6:7]
	s_add_u32 s16, s16, 8
	s_addc_u32 s17, s17, 0
	v_or_b32_e32 v19, v7, v19
	s_or_b64 s[14:15], vcc, s[14:15]
	v_or_b32_e32 v18, v6, v18
	s_andn2_b64 exec, exec, s[14:15]
	s_cbranch_execnz .LBB0_30
; %bb.31:                               ;   in Loop: Header=BB0_3 Depth=1
	s_or_b64 exec, exec, s[14:15]
.LBB0_32:                               ;   in Loop: Header=BB0_3 Depth=1
	s_or_b64 exec, exec, s[12:13]
	v_mov_b32_e32 v6, v20
	v_mov_b32_e32 v7, v21
                                        ; implicit-def: $vgpr0
.LBB0_33:                               ;   in Loop: Header=BB0_3 Depth=1
	s_or_saveexec_b64 s[4:5], s[4:5]
	v_mov_b32_e32 v2, 0
	s_xor_b64 exec, exec, s[4:5]
	s_cbranch_execz .LBB0_35
; %bb.34:                               ;   in Loop: Header=BB0_3 Depth=1
	global_load_dwordx2 v[18:19], v[20:21], off
	v_add_u32_e32 v2, -8, v0
.LBB0_35:                               ;   in Loop: Header=BB0_3 Depth=1
	s_or_b64 exec, exec, s[4:5]
	v_add_co_u32_e64 v24, s[4:5], 8, v6
	v_cmp_gt_u32_e32 vcc, 8, v2
	v_addc_co_u32_e64 v25, s[4:5], 0, v7, s[4:5]
	s_and_saveexec_b64 s[4:5], vcc
	s_xor_b64 s[4:5], exec, s[4:5]
	s_cbranch_execz .LBB0_41
; %bb.36:                               ;   in Loop: Header=BB0_3 Depth=1
	v_mov_b32_e32 v20, 0
	v_mov_b32_e32 v21, 0
	v_cmp_ne_u32_e32 vcc, 0, v2
	s_and_saveexec_b64 s[12:13], vcc
	s_cbranch_execz .LBB0_40
; %bb.37:                               ;   in Loop: Header=BB0_3 Depth=1
	v_mov_b32_e32 v20, 0
	s_mov_b64 s[14:15], 0
	v_mov_b32_e32 v21, 0
	s_mov_b64 s[16:17], 0
	s_mov_b64 s[18:19], 0
.LBB0_38:                               ;   Parent Loop BB0_3 Depth=1
                                        ; =>  This Inner Loop Header: Depth=2
	v_mov_b32_e32 v0, s19
	v_add_co_u32_e32 v22, vcc, s18, v6
	v_addc_co_u32_e32 v23, vcc, v7, v0, vcc
	global_load_ubyte v0, v[22:23], off
	s_add_u32 s18, s18, 1
	v_mov_b32_e32 v23, s20
	s_addc_u32 s19, s19, 0
	v_cmp_eq_u32_e32 vcc, s18, v2
	s_waitcnt vmcnt(0)
	v_and_b32_e32 v22, 0xffff, v0
	v_lshlrev_b64 v[22:23], s16, v[22:23]
	s_add_u32 s16, s16, 8
	s_addc_u32 s17, s17, 0
	v_or_b32_e32 v21, v23, v21
	s_or_b64 s[14:15], vcc, s[14:15]
	v_or_b32_e32 v20, v22, v20
	s_andn2_b64 exec, exec, s[14:15]
	s_cbranch_execnz .LBB0_38
; %bb.39:                               ;   in Loop: Header=BB0_3 Depth=1
	s_or_b64 exec, exec, s[14:15]
.LBB0_40:                               ;   in Loop: Header=BB0_3 Depth=1
	s_or_b64 exec, exec, s[12:13]
	v_mov_b32_e32 v25, v7
	v_mov_b32_e32 v24, v6
                                        ; implicit-def: $vgpr2
.LBB0_41:                               ;   in Loop: Header=BB0_3 Depth=1
	s_or_saveexec_b64 s[4:5], s[4:5]
	v_mov_b32_e32 v0, 0
	s_xor_b64 exec, exec, s[4:5]
	s_cbranch_execz .LBB0_43
; %bb.42:                               ;   in Loop: Header=BB0_3 Depth=1
	global_load_dwordx2 v[20:21], v[6:7], off
	v_add_u32_e32 v0, -8, v2
.LBB0_43:                               ;   in Loop: Header=BB0_3 Depth=1
	s_or_b64 exec, exec, s[4:5]
	v_add_co_u32_e64 v6, s[4:5], 8, v24
	v_cmp_gt_u32_e32 vcc, 8, v0
	v_addc_co_u32_e64 v7, s[4:5], 0, v25, s[4:5]
                                        ; implicit-def: $vgpr22_vgpr23
	s_and_saveexec_b64 s[4:5], vcc
	s_xor_b64 s[4:5], exec, s[4:5]
	s_cbranch_execz .LBB0_49
; %bb.44:                               ;   in Loop: Header=BB0_3 Depth=1
	v_mov_b32_e32 v22, 0
	v_mov_b32_e32 v23, 0
	v_cmp_ne_u32_e32 vcc, 0, v0
	s_and_saveexec_b64 s[12:13], vcc
	s_cbranch_execz .LBB0_48
; %bb.45:                               ;   in Loop: Header=BB0_3 Depth=1
	v_mov_b32_e32 v22, 0
	s_mov_b64 s[14:15], 0
	v_mov_b32_e32 v23, 0
	s_mov_b64 s[16:17], 0
	s_mov_b64 s[18:19], 0
.LBB0_46:                               ;   Parent Loop BB0_3 Depth=1
                                        ; =>  This Inner Loop Header: Depth=2
	v_mov_b32_e32 v2, s19
	v_add_co_u32_e32 v6, vcc, s18, v24
	v_addc_co_u32_e32 v7, vcc, v25, v2, vcc
	global_load_ubyte v2, v[6:7], off
	s_add_u32 s18, s18, 1
	v_mov_b32_e32 v7, s20
	s_addc_u32 s19, s19, 0
	v_cmp_eq_u32_e32 vcc, s18, v0
	s_waitcnt vmcnt(0)
	v_and_b32_e32 v6, 0xffff, v2
	v_lshlrev_b64 v[6:7], s16, v[6:7]
	s_add_u32 s16, s16, 8
	s_addc_u32 s17, s17, 0
	v_or_b32_e32 v23, v7, v23
	s_or_b64 s[14:15], vcc, s[14:15]
	v_or_b32_e32 v22, v6, v22
	s_andn2_b64 exec, exec, s[14:15]
	s_cbranch_execnz .LBB0_46
; %bb.47:                               ;   in Loop: Header=BB0_3 Depth=1
	s_or_b64 exec, exec, s[14:15]
.LBB0_48:                               ;   in Loop: Header=BB0_3 Depth=1
	s_or_b64 exec, exec, s[12:13]
	v_mov_b32_e32 v6, v24
	v_mov_b32_e32 v7, v25
                                        ; implicit-def: $vgpr0
.LBB0_49:                               ;   in Loop: Header=BB0_3 Depth=1
	s_or_saveexec_b64 s[4:5], s[4:5]
	v_mov_b32_e32 v2, 0
	s_xor_b64 exec, exec, s[4:5]
	s_cbranch_execz .LBB0_51
; %bb.50:                               ;   in Loop: Header=BB0_3 Depth=1
	global_load_dwordx2 v[22:23], v[24:25], off
	v_add_u32_e32 v2, -8, v0
.LBB0_51:                               ;   in Loop: Header=BB0_3 Depth=1
	s_or_b64 exec, exec, s[4:5]
	v_cmp_gt_u32_e32 vcc, 8, v2
	s_and_saveexec_b64 s[4:5], vcc
	s_xor_b64 s[4:5], exec, s[4:5]
	s_cbranch_execz .LBB0_57
; %bb.52:                               ;   in Loop: Header=BB0_3 Depth=1
	v_mov_b32_e32 v24, 0
	v_mov_b32_e32 v25, 0
	v_cmp_ne_u32_e32 vcc, 0, v2
	s_and_saveexec_b64 s[12:13], vcc
	s_cbranch_execz .LBB0_56
; %bb.53:                               ;   in Loop: Header=BB0_3 Depth=1
	v_mov_b32_e32 v24, 0
	s_mov_b64 s[14:15], 0
	v_mov_b32_e32 v25, 0
	s_mov_b64 s[16:17], 0
.LBB0_54:                               ;   Parent Loop BB0_3 Depth=1
                                        ; =>  This Inner Loop Header: Depth=2
	global_load_ubyte v0, v[6:7], off
	v_mov_b32_e32 v27, s20
	v_add_co_u32_e32 v6, vcc, 1, v6
	v_add_u32_e32 v2, -1, v2
	v_addc_co_u32_e32 v7, vcc, 0, v7, vcc
	v_cmp_eq_u32_e32 vcc, 0, v2
	s_waitcnt vmcnt(0)
	v_and_b32_e32 v26, 0xffff, v0
	v_lshlrev_b64 v[26:27], s16, v[26:27]
	s_add_u32 s16, s16, 8
	s_addc_u32 s17, s17, 0
	v_or_b32_e32 v25, v27, v25
	s_or_b64 s[14:15], vcc, s[14:15]
	v_or_b32_e32 v24, v26, v24
	s_andn2_b64 exec, exec, s[14:15]
	s_cbranch_execnz .LBB0_54
; %bb.55:                               ;   in Loop: Header=BB0_3 Depth=1
	s_or_b64 exec, exec, s[14:15]
.LBB0_56:                               ;   in Loop: Header=BB0_3 Depth=1
	s_or_b64 exec, exec, s[12:13]
                                        ; implicit-def: $vgpr6_vgpr7
.LBB0_57:                               ;   in Loop: Header=BB0_3 Depth=1
	s_andn2_saveexec_b64 s[4:5], s[4:5]
	s_cbranch_execz .LBB0_59
; %bb.58:                               ;   in Loop: Header=BB0_3 Depth=1
	global_load_dwordx2 v[24:25], v[6:7], off
.LBB0_59:                               ;   in Loop: Header=BB0_3 Depth=1
	s_or_b64 exec, exec, s[4:5]
	v_readfirstlane_b32 s4, v39
	v_mov_b32_e32 v6, 0
	v_mov_b32_e32 v7, 0
	v_cmp_eq_u32_e64 s[4:5], s4, v39
	s_and_saveexec_b64 s[12:13], s[4:5]
	s_cbranch_execz .LBB0_65
; %bb.60:                               ;   in Loop: Header=BB0_3 Depth=1
	s_waitcnt lgkmcnt(0)
	global_load_dwordx2 v[28:29], v3, s[10:11] offset:24 glc
	s_waitcnt vmcnt(0)
	buffer_wbinvl1_vol
	global_load_dwordx2 v[6:7], v3, s[10:11] offset:40
	global_load_dwordx2 v[26:27], v3, s[10:11]
	s_waitcnt vmcnt(1)
	v_and_b32_e32 v0, v6, v28
	v_and_b32_e32 v2, v7, v29
	v_mul_lo_u32 v2, v2, 24
	v_mul_hi_u32 v6, v0, 24
	v_mul_lo_u32 v0, v0, 24
	v_add_u32_e32 v2, v6, v2
	s_waitcnt vmcnt(0)
	v_add_co_u32_e32 v6, vcc, v26, v0
	v_addc_co_u32_e32 v7, vcc, v27, v2, vcc
	global_load_dwordx2 v[26:27], v[6:7], off glc
	s_waitcnt vmcnt(0)
	global_atomic_cmpswap_x2 v[6:7], v3, v[26:29], s[10:11] offset:24 glc
	s_waitcnt vmcnt(0)
	buffer_wbinvl1_vol
	v_cmp_ne_u64_e32 vcc, v[6:7], v[28:29]
	s_and_saveexec_b64 s[14:15], vcc
	s_cbranch_execz .LBB0_64
; %bb.61:                               ;   in Loop: Header=BB0_3 Depth=1
	s_mov_b64 s[16:17], 0
.LBB0_62:                               ;   Parent Loop BB0_3 Depth=1
                                        ; =>  This Inner Loop Header: Depth=2
	s_sleep 1
	global_load_dwordx2 v[26:27], v3, s[10:11] offset:40
	global_load_dwordx2 v[34:35], v3, s[10:11]
	v_mov_b32_e32 v29, v7
	v_mov_b32_e32 v28, v6
	s_waitcnt vmcnt(1)
	v_and_b32_e32 v0, v26, v28
	s_waitcnt vmcnt(0)
	v_mad_u64_u32 v[6:7], s[18:19], v0, 24, v[34:35]
	v_and_b32_e32 v2, v27, v29
	v_mov_b32_e32 v0, v7
	v_mad_u64_u32 v[26:27], s[18:19], v2, 24, v[0:1]
	v_mov_b32_e32 v7, v26
	global_load_dwordx2 v[26:27], v[6:7], off glc
	s_waitcnt vmcnt(0)
	global_atomic_cmpswap_x2 v[6:7], v3, v[26:29], s[10:11] offset:24 glc
	s_waitcnt vmcnt(0)
	buffer_wbinvl1_vol
	v_cmp_eq_u64_e32 vcc, v[6:7], v[28:29]
	s_or_b64 s[16:17], vcc, s[16:17]
	s_andn2_b64 exec, exec, s[16:17]
	s_cbranch_execnz .LBB0_62
; %bb.63:                               ;   in Loop: Header=BB0_3 Depth=1
	s_or_b64 exec, exec, s[16:17]
.LBB0_64:                               ;   in Loop: Header=BB0_3 Depth=1
	s_or_b64 exec, exec, s[14:15]
.LBB0_65:                               ;   in Loop: Header=BB0_3 Depth=1
	s_or_b64 exec, exec, s[12:13]
	s_waitcnt lgkmcnt(0)
	global_load_dwordx2 v[34:35], v3, s[10:11] offset:40
	global_load_dwordx4 v[26:29], v3, s[10:11]
	v_readfirstlane_b32 s13, v7
	v_readfirstlane_b32 s12, v6
	s_mov_b64 s[14:15], exec
	s_waitcnt vmcnt(1)
	v_readfirstlane_b32 s16, v34
	v_readfirstlane_b32 s17, v35
	s_and_b64 s[16:17], s[16:17], s[12:13]
	s_mul_i32 s18, s17, 24
	s_mul_hi_u32 s19, s16, 24
	s_mul_i32 s22, s16, 24
	s_add_i32 s18, s19, s18
	v_mov_b32_e32 v0, s18
	s_waitcnt vmcnt(0)
	v_add_co_u32_e32 v34, vcc, s22, v26
	v_addc_co_u32_e32 v35, vcc, v27, v0, vcc
	s_and_saveexec_b64 s[18:19], s[4:5]
	s_cbranch_execz .LBB0_67
; %bb.66:                               ;   in Loop: Header=BB0_3 Depth=1
	v_mov_b32_e32 v6, s14
	v_mov_b32_e32 v7, s15
	global_store_dwordx4 v[34:35], v[6:9], off offset:8
.LBB0_67:                               ;   in Loop: Header=BB0_3 Depth=1
	s_or_b64 exec, exec, s[18:19]
	s_lshl_b64 s[14:15], s[16:17], 12
	v_mov_b32_e32 v2, s15
	v_add_co_u32_e32 v0, vcc, s14, v28
	v_addc_co_u32_e32 v28, vcc, v29, v2, vcc
	v_cmp_gt_u64_e32 vcc, 57, v[4:5]
	v_and_b32_e32 v7, 0xffffff1f, v10
	v_cndmask_b32_e32 v2, 0, v38, vcc
	v_lshl_add_u32 v6, v32, 2, 28
	v_or_b32_e32 v2, v7, v2
	v_and_or_b32 v10, v6, s21, v2
	v_lshlrev_b32_e32 v29, 6, v39
	v_readfirstlane_b32 s14, v0
	v_readfirstlane_b32 s15, v28
	s_nop 4
	global_store_dwordx4 v29, v[10:13], s[14:15]
	global_store_dwordx4 v29, v[14:17], s[14:15] offset:16
	global_store_dwordx4 v29, v[18:21], s[14:15] offset:32
	;; [unrolled: 1-line block ×3, first 2 shown]
	s_and_saveexec_b64 s[14:15], s[4:5]
	s_cbranch_execz .LBB0_75
; %bb.68:                               ;   in Loop: Header=BB0_3 Depth=1
	global_load_dwordx2 v[14:15], v3, s[10:11] offset:32 glc
	global_load_dwordx2 v[6:7], v3, s[10:11] offset:40
	v_mov_b32_e32 v12, s12
	v_mov_b32_e32 v13, s13
	s_waitcnt vmcnt(0)
	v_readfirstlane_b32 s16, v6
	v_readfirstlane_b32 s17, v7
	s_and_b64 s[16:17], s[16:17], s[12:13]
	s_mul_i32 s17, s17, 24
	s_mul_hi_u32 s18, s16, 24
	s_mul_i32 s16, s16, 24
	s_add_i32 s17, s18, s17
	v_mov_b32_e32 v2, s17
	v_add_co_u32_e32 v6, vcc, s16, v26
	v_addc_co_u32_e32 v7, vcc, v27, v2, vcc
	global_store_dwordx2 v[6:7], v[14:15], off
	s_waitcnt vmcnt(0)
	global_atomic_cmpswap_x2 v[12:13], v3, v[12:15], s[10:11] offset:32 glc
	s_waitcnt vmcnt(0)
	v_cmp_ne_u64_e32 vcc, v[12:13], v[14:15]
	s_and_saveexec_b64 s[16:17], vcc
	s_cbranch_execz .LBB0_71
; %bb.69:                               ;   in Loop: Header=BB0_3 Depth=1
	s_mov_b64 s[18:19], 0
.LBB0_70:                               ;   Parent Loop BB0_3 Depth=1
                                        ; =>  This Inner Loop Header: Depth=2
	s_sleep 1
	global_store_dwordx2 v[6:7], v[12:13], off
	v_mov_b32_e32 v10, s12
	v_mov_b32_e32 v11, s13
	s_waitcnt vmcnt(0)
	global_atomic_cmpswap_x2 v[10:11], v3, v[10:13], s[10:11] offset:32 glc
	s_waitcnt vmcnt(0)
	v_cmp_eq_u64_e32 vcc, v[10:11], v[12:13]
	v_mov_b32_e32 v13, v11
	s_or_b64 s[18:19], vcc, s[18:19]
	v_mov_b32_e32 v12, v10
	s_andn2_b64 exec, exec, s[18:19]
	s_cbranch_execnz .LBB0_70
.LBB0_71:                               ;   in Loop: Header=BB0_3 Depth=1
	s_or_b64 exec, exec, s[16:17]
	global_load_dwordx2 v[6:7], v3, s[10:11] offset:16
	s_mov_b64 s[18:19], exec
	v_mbcnt_lo_u32_b32 v2, s18, 0
	v_mbcnt_hi_u32_b32 v2, s19, v2
	v_cmp_eq_u32_e32 vcc, 0, v2
	s_and_saveexec_b64 s[16:17], vcc
	s_cbranch_execz .LBB0_73
; %bb.72:                               ;   in Loop: Header=BB0_3 Depth=1
	s_bcnt1_i32_b64 s18, s[18:19]
	v_mov_b32_e32 v2, s18
	s_waitcnt vmcnt(0)
	global_atomic_add_x2 v[6:7], v[2:3], off offset:8
.LBB0_73:                               ;   in Loop: Header=BB0_3 Depth=1
	s_or_b64 exec, exec, s[16:17]
	s_waitcnt vmcnt(0)
	global_load_dwordx2 v[10:11], v[6:7], off offset:16
	s_waitcnt vmcnt(0)
	v_cmp_eq_u64_e32 vcc, 0, v[10:11]
	s_cbranch_vccnz .LBB0_75
; %bb.74:                               ;   in Loop: Header=BB0_3 Depth=1
	global_load_dword v2, v[6:7], off offset:24
	s_waitcnt vmcnt(0)
	v_readfirstlane_b32 s16, v2
	s_and_b32 m0, s16, 0xffffff
	global_store_dwordx2 v[10:11], v[2:3], off
	s_sendmsg sendmsg(MSG_INTERRUPT)
.LBB0_75:                               ;   in Loop: Header=BB0_3 Depth=1
	s_or_b64 exec, exec, s[14:15]
	v_add_co_u32_e32 v6, vcc, v0, v29
	v_addc_co_u32_e32 v7, vcc, 0, v28, vcc
	s_branch .LBB0_79
.LBB0_76:                               ;   in Loop: Header=BB0_79 Depth=2
	s_or_b64 exec, exec, s[14:15]
	v_readfirstlane_b32 s14, v0
	s_cmp_eq_u32 s14, 0
	s_cbranch_scc1 .LBB0_78
; %bb.77:                               ;   in Loop: Header=BB0_79 Depth=2
	s_sleep 1
	s_cbranch_execnz .LBB0_79
	s_branch .LBB0_81
.LBB0_78:                               ;   in Loop: Header=BB0_3 Depth=1
	s_branch .LBB0_81
.LBB0_79:                               ;   Parent Loop BB0_3 Depth=1
                                        ; =>  This Inner Loop Header: Depth=2
	v_mov_b32_e32 v0, 1
	s_and_saveexec_b64 s[14:15], s[4:5]
	s_cbranch_execz .LBB0_76
; %bb.80:                               ;   in Loop: Header=BB0_79 Depth=2
	global_load_dword v0, v[34:35], off offset:20 glc
	s_waitcnt vmcnt(0)
	buffer_wbinvl1_vol
	v_and_b32_e32 v0, 1, v0
	s_branch .LBB0_76
.LBB0_81:                               ;   in Loop: Header=BB0_3 Depth=1
	global_load_dwordx4 v[10:13], v[6:7], off
	s_and_saveexec_b64 s[14:15], s[4:5]
	s_cbranch_execz .LBB0_2
; %bb.82:                               ;   in Loop: Header=BB0_3 Depth=1
	global_load_dwordx2 v[6:7], v3, s[10:11] offset:40
	global_load_dwordx2 v[16:17], v3, s[10:11] offset:24 glc
	global_load_dwordx2 v[12:13], v3, s[10:11]
	s_waitcnt vmcnt(2)
	v_readfirstlane_b32 s16, v6
	v_readfirstlane_b32 s17, v7
	s_add_u32 s18, s16, 1
	s_addc_u32 s19, s17, 0
	s_add_u32 s4, s18, s12
	s_addc_u32 s5, s19, s13
	s_cmp_eq_u64 s[4:5], 0
	s_cselect_b32 s5, s19, s5
	s_cselect_b32 s4, s18, s4
	s_and_b64 s[12:13], s[4:5], s[16:17]
	s_mul_i32 s13, s13, 24
	s_mul_hi_u32 s16, s12, 24
	s_mul_i32 s12, s12, 24
	s_add_i32 s13, s16, s13
	v_mov_b32_e32 v0, s13
	s_waitcnt vmcnt(0)
	v_add_co_u32_e32 v6, vcc, s12, v12
	v_addc_co_u32_e32 v7, vcc, v13, v0, vcc
	v_mov_b32_e32 v14, s4
	global_store_dwordx2 v[6:7], v[16:17], off
	v_mov_b32_e32 v15, s5
	s_waitcnt vmcnt(0)
	global_atomic_cmpswap_x2 v[14:15], v3, v[14:17], s[10:11] offset:24 glc
	s_waitcnt vmcnt(0)
	v_cmp_ne_u64_e32 vcc, v[14:15], v[16:17]
	s_and_b64 exec, exec, vcc
	s_cbranch_execz .LBB0_2
; %bb.83:                               ;   in Loop: Header=BB0_3 Depth=1
	s_mov_b64 s[12:13], 0
.LBB0_84:                               ;   Parent Loop BB0_3 Depth=1
                                        ; =>  This Inner Loop Header: Depth=2
	s_sleep 1
	global_store_dwordx2 v[6:7], v[14:15], off
	v_mov_b32_e32 v12, s4
	v_mov_b32_e32 v13, s5
	s_waitcnt vmcnt(0)
	global_atomic_cmpswap_x2 v[12:13], v3, v[12:15], s[10:11] offset:24 glc
	s_waitcnt vmcnt(0)
	v_cmp_eq_u64_e32 vcc, v[12:13], v[14:15]
	v_mov_b32_e32 v15, v13
	s_or_b64 s[12:13], vcc, s[12:13]
	v_mov_b32_e32 v14, v12
	s_andn2_b64 exec, exec, s[12:13]
	s_cbranch_execnz .LBB0_84
	s_branch .LBB0_2
.LBB0_85:
	s_or_b64 exec, exec, s[6:7]
	s_branch .LBB0_113
.LBB0_86:
	s_load_dwordx2 s[6:7], s[8:9], 0x50
	v_mbcnt_hi_u32_b32 v3, -1, v37
	v_readfirstlane_b32 s4, v3
	v_mov_b32_e32 v8, 0
	v_mov_b32_e32 v9, 0
	v_cmp_eq_u32_e64 s[4:5], s4, v3
	s_and_saveexec_b64 s[8:9], s[4:5]
	s_cbranch_execz .LBB0_92
; %bb.87:
	v_mov_b32_e32 v0, 0
	s_waitcnt lgkmcnt(0)
	global_load_dwordx2 v[6:7], v0, s[6:7] offset:24 glc
	s_waitcnt vmcnt(0)
	buffer_wbinvl1_vol
	global_load_dwordx2 v[4:5], v0, s[6:7] offset:40
	global_load_dwordx2 v[8:9], v0, s[6:7]
	s_waitcnt vmcnt(1)
	v_and_b32_e32 v2, v4, v6
	v_and_b32_e32 v4, v5, v7
	v_mul_lo_u32 v4, v4, 24
	v_mul_hi_u32 v5, v2, 24
	v_mul_lo_u32 v2, v2, 24
	v_add_u32_e32 v5, v5, v4
	s_waitcnt vmcnt(0)
	v_add_co_u32_e32 v4, vcc, v8, v2
	v_addc_co_u32_e32 v5, vcc, v9, v5, vcc
	global_load_dwordx2 v[4:5], v[4:5], off glc
	s_waitcnt vmcnt(0)
	global_atomic_cmpswap_x2 v[8:9], v0, v[4:7], s[6:7] offset:24 glc
	s_waitcnt vmcnt(0)
	buffer_wbinvl1_vol
	v_cmp_ne_u64_e32 vcc, v[8:9], v[6:7]
	s_and_saveexec_b64 s[10:11], vcc
	s_cbranch_execz .LBB0_91
; %bb.88:
	s_mov_b64 s[12:13], 0
.LBB0_89:                               ; =>This Inner Loop Header: Depth=1
	s_sleep 1
	global_load_dwordx2 v[4:5], v0, s[6:7] offset:40
	global_load_dwordx2 v[10:11], v0, s[6:7]
	v_mov_b32_e32 v6, v8
	v_mov_b32_e32 v7, v9
	s_waitcnt vmcnt(1)
	v_and_b32_e32 v2, v4, v6
	s_waitcnt vmcnt(0)
	v_mad_u64_u32 v[8:9], s[14:15], v2, 24, v[10:11]
	v_and_b32_e32 v4, v5, v7
	v_mov_b32_e32 v2, v9
	v_mad_u64_u32 v[4:5], s[14:15], v4, 24, v[2:3]
	v_mov_b32_e32 v9, v4
	global_load_dwordx2 v[4:5], v[8:9], off glc
	s_waitcnt vmcnt(0)
	global_atomic_cmpswap_x2 v[8:9], v0, v[4:7], s[6:7] offset:24 glc
	s_waitcnt vmcnt(0)
	buffer_wbinvl1_vol
	v_cmp_eq_u64_e32 vcc, v[8:9], v[6:7]
	s_or_b64 s[12:13], vcc, s[12:13]
	s_andn2_b64 exec, exec, s[12:13]
	s_cbranch_execnz .LBB0_89
; %bb.90:
	s_or_b64 exec, exec, s[12:13]
.LBB0_91:
	s_or_b64 exec, exec, s[10:11]
.LBB0_92:
	s_or_b64 exec, exec, s[8:9]
	v_mov_b32_e32 v2, 0
	s_waitcnt lgkmcnt(0)
	global_load_dwordx2 v[10:11], v2, s[6:7] offset:40
	global_load_dwordx4 v[4:7], v2, s[6:7]
	v_readfirstlane_b32 s9, v9
	v_readfirstlane_b32 s8, v8
	s_mov_b64 s[10:11], exec
	s_waitcnt vmcnt(1)
	v_readfirstlane_b32 s12, v10
	v_readfirstlane_b32 s13, v11
	s_and_b64 s[12:13], s[12:13], s[8:9]
	s_mul_i32 s14, s13, 24
	s_mul_hi_u32 s15, s12, 24
	s_mul_i32 s16, s12, 24
	s_add_i32 s14, s15, s14
	v_mov_b32_e32 v0, s14
	s_waitcnt vmcnt(0)
	v_add_co_u32_e32 v8, vcc, s16, v4
	v_addc_co_u32_e32 v9, vcc, v5, v0, vcc
	s_and_saveexec_b64 s[14:15], s[4:5]
	s_cbranch_execz .LBB0_94
; %bb.93:
	v_mov_b32_e32 v10, s10
	v_mov_b32_e32 v11, s11
	;; [unrolled: 1-line block ×4, first 2 shown]
	global_store_dwordx4 v[8:9], v[10:13], off offset:8
.LBB0_94:
	s_or_b64 exec, exec, s[14:15]
	s_lshl_b64 s[10:11], s[12:13], 12
	v_mov_b32_e32 v0, s11
	v_add_co_u32_e32 v6, vcc, s10, v6
	v_addc_co_u32_e32 v7, vcc, v7, v0, vcc
	s_movk_i32 s10, 0xff1f
	v_and_or_b32 v0, v36, s10, 32
	v_lshlrev_b32_e32 v10, 6, v3
	s_mov_b32 s12, 0
	v_mov_b32_e32 v3, v2
	v_readfirstlane_b32 s10, v6
	v_readfirstlane_b32 s11, v7
	s_mov_b32 s13, s12
	s_mov_b32 s14, s12
	;; [unrolled: 1-line block ×3, first 2 shown]
	s_nop 1
	global_store_dwordx4 v10, v[0:3], s[10:11]
	s_nop 0
	v_mov_b32_e32 v0, s12
	v_mov_b32_e32 v1, s13
	;; [unrolled: 1-line block ×4, first 2 shown]
	global_store_dwordx4 v10, v[0:3], s[10:11] offset:16
	global_store_dwordx4 v10, v[0:3], s[10:11] offset:32
	;; [unrolled: 1-line block ×3, first 2 shown]
	s_and_saveexec_b64 s[10:11], s[4:5]
	s_cbranch_execz .LBB0_102
; %bb.95:
	v_mov_b32_e32 v6, 0
	global_load_dwordx2 v[12:13], v6, s[6:7] offset:32 glc
	global_load_dwordx2 v[0:1], v6, s[6:7] offset:40
	v_mov_b32_e32 v10, s8
	v_mov_b32_e32 v11, s9
	s_waitcnt vmcnt(0)
	v_and_b32_e32 v0, s8, v0
	v_and_b32_e32 v1, s9, v1
	v_mul_lo_u32 v1, v1, 24
	v_mul_hi_u32 v2, v0, 24
	v_mul_lo_u32 v0, v0, 24
	v_add_u32_e32 v1, v2, v1
	v_add_co_u32_e32 v4, vcc, v4, v0
	v_addc_co_u32_e32 v5, vcc, v5, v1, vcc
	global_store_dwordx2 v[4:5], v[12:13], off
	s_waitcnt vmcnt(0)
	global_atomic_cmpswap_x2 v[2:3], v6, v[10:13], s[6:7] offset:32 glc
	s_waitcnt vmcnt(0)
	v_cmp_ne_u64_e32 vcc, v[2:3], v[12:13]
	s_and_saveexec_b64 s[12:13], vcc
	s_cbranch_execz .LBB0_98
; %bb.96:
	s_mov_b64 s[14:15], 0
.LBB0_97:                               ; =>This Inner Loop Header: Depth=1
	s_sleep 1
	global_store_dwordx2 v[4:5], v[2:3], off
	v_mov_b32_e32 v0, s8
	v_mov_b32_e32 v1, s9
	s_waitcnt vmcnt(0)
	global_atomic_cmpswap_x2 v[0:1], v6, v[0:3], s[6:7] offset:32 glc
	s_waitcnt vmcnt(0)
	v_cmp_eq_u64_e32 vcc, v[0:1], v[2:3]
	v_mov_b32_e32 v3, v1
	s_or_b64 s[14:15], vcc, s[14:15]
	v_mov_b32_e32 v2, v0
	s_andn2_b64 exec, exec, s[14:15]
	s_cbranch_execnz .LBB0_97
.LBB0_98:
	s_or_b64 exec, exec, s[12:13]
	v_mov_b32_e32 v3, 0
	global_load_dwordx2 v[0:1], v3, s[6:7] offset:16
	s_mov_b64 s[12:13], exec
	v_mbcnt_lo_u32_b32 v2, s12, 0
	v_mbcnt_hi_u32_b32 v2, s13, v2
	v_cmp_eq_u32_e32 vcc, 0, v2
	s_and_saveexec_b64 s[14:15], vcc
	s_cbranch_execz .LBB0_100
; %bb.99:
	s_bcnt1_i32_b64 s12, s[12:13]
	v_mov_b32_e32 v2, s12
	s_waitcnt vmcnt(0)
	global_atomic_add_x2 v[0:1], v[2:3], off offset:8
.LBB0_100:
	s_or_b64 exec, exec, s[14:15]
	s_waitcnt vmcnt(0)
	global_load_dwordx2 v[2:3], v[0:1], off offset:16
	s_waitcnt vmcnt(0)
	v_cmp_eq_u64_e32 vcc, 0, v[2:3]
	s_cbranch_vccnz .LBB0_102
; %bb.101:
	global_load_dword v0, v[0:1], off offset:24
	v_mov_b32_e32 v1, 0
	s_waitcnt vmcnt(0)
	v_readfirstlane_b32 s12, v0
	s_and_b32 m0, s12, 0xffffff
	global_store_dwordx2 v[2:3], v[0:1], off
	s_sendmsg sendmsg(MSG_INTERRUPT)
.LBB0_102:
	s_or_b64 exec, exec, s[10:11]
	s_branch .LBB0_106
.LBB0_103:                              ;   in Loop: Header=BB0_106 Depth=1
	s_or_b64 exec, exec, s[10:11]
	v_readfirstlane_b32 s10, v0
	s_cmp_eq_u32 s10, 0
	s_cbranch_scc1 .LBB0_105
; %bb.104:                              ;   in Loop: Header=BB0_106 Depth=1
	s_sleep 1
	s_cbranch_execnz .LBB0_106
	s_branch .LBB0_108
.LBB0_105:
	s_branch .LBB0_108
.LBB0_106:                              ; =>This Inner Loop Header: Depth=1
	v_mov_b32_e32 v0, 1
	s_and_saveexec_b64 s[10:11], s[4:5]
	s_cbranch_execz .LBB0_103
; %bb.107:                              ;   in Loop: Header=BB0_106 Depth=1
	global_load_dword v0, v[8:9], off offset:20 glc
	s_waitcnt vmcnt(0)
	buffer_wbinvl1_vol
	v_and_b32_e32 v0, 1, v0
	s_branch .LBB0_103
.LBB0_108:
	s_and_saveexec_b64 s[10:11], s[4:5]
	s_cbranch_execz .LBB0_111
; %bb.109:
	v_mov_b32_e32 v6, 0
	global_load_dwordx2 v[0:1], v6, s[6:7] offset:40
	global_load_dwordx2 v[9:10], v6, s[6:7] offset:24 glc
	global_load_dwordx2 v[2:3], v6, s[6:7]
	s_waitcnt vmcnt(2)
	v_readfirstlane_b32 s12, v0
	v_readfirstlane_b32 s13, v1
	s_add_u32 s14, s12, 1
	s_addc_u32 s15, s13, 0
	s_add_u32 s4, s14, s8
	s_addc_u32 s5, s15, s9
	s_cmp_eq_u64 s[4:5], 0
	s_cselect_b32 s5, s15, s5
	s_cselect_b32 s4, s14, s4
	s_and_b64 s[8:9], s[4:5], s[12:13]
	s_mul_i32 s9, s9, 24
	s_mul_hi_u32 s12, s8, 24
	s_mul_i32 s8, s8, 24
	s_add_i32 s9, s12, s9
	v_mov_b32_e32 v0, s9
	s_waitcnt vmcnt(0)
	v_add_co_u32_e32 v4, vcc, s8, v2
	v_addc_co_u32_e32 v5, vcc, v3, v0, vcc
	v_mov_b32_e32 v7, s4
	global_store_dwordx2 v[4:5], v[9:10], off
	v_mov_b32_e32 v8, s5
	s_waitcnt vmcnt(0)
	global_atomic_cmpswap_x2 v[2:3], v6, v[7:10], s[6:7] offset:24 glc
	s_mov_b64 s[8:9], 0
	s_waitcnt vmcnt(0)
	v_cmp_ne_u64_e32 vcc, v[2:3], v[9:10]
	s_and_b64 exec, exec, vcc
	s_cbranch_execz .LBB0_111
.LBB0_110:                              ; =>This Inner Loop Header: Depth=1
	s_sleep 1
	global_store_dwordx2 v[4:5], v[2:3], off
	v_mov_b32_e32 v0, s4
	v_mov_b32_e32 v1, s5
	s_waitcnt vmcnt(0)
	global_atomic_cmpswap_x2 v[0:1], v6, v[0:3], s[6:7] offset:24 glc
	s_waitcnt vmcnt(0)
	v_cmp_eq_u64_e32 vcc, v[0:1], v[2:3]
	v_mov_b32_e32 v3, v1
	s_or_b64 s[8:9], vcc, s[8:9]
	v_mov_b32_e32 v2, v0
	s_andn2_b64 exec, exec, s[8:9]
	s_cbranch_execnz .LBB0_110
.LBB0_111:
	s_or_b64 exec, exec, s[10:11]
	s_waitcnt vmcnt(0) lgkmcnt(0)
	s_setpc_b64 s[30:31]
.LBB0_112:
	s_cbranch_execnz .LBB0_86
.LBB0_113:
	s_waitcnt vmcnt(0) lgkmcnt(0)
	s_setpc_b64 s[30:31]
.Lfunc_end0:
	.size	__ockl_fprintf_append_string_n, .Lfunc_end0-__ockl_fprintf_append_string_n
                                        ; -- End function
	.set .L__ockl_fprintf_append_string_n.num_vgpr, 40
	.set .L__ockl_fprintf_append_string_n.num_agpr, 0
	.set .L__ockl_fprintf_append_string_n.numbered_sgpr, 32
	.set .L__ockl_fprintf_append_string_n.num_named_barrier, 0
	.set .L__ockl_fprintf_append_string_n.private_seg_size, 0
	.set .L__ockl_fprintf_append_string_n.uses_vcc, 1
	.set .L__ockl_fprintf_append_string_n.uses_flat_scratch, 0
	.set .L__ockl_fprintf_append_string_n.has_dyn_sized_stack, 0
	.set .L__ockl_fprintf_append_string_n.has_recursion, 0
	.set .L__ockl_fprintf_append_string_n.has_indirect_call, 0
	.section	.AMDGPU.csdata,"",@progbits
; Function info:
; codeLenInByte = 3900
; TotalNumSgprs: 36
; NumVgprs: 40
; ScratchSize: 0
; MemoryBound: 0
	.text
	.p2align	2                               ; -- Begin function __assert_fail
	.type	__assert_fail,@function
__assert_fail:                          ; @__assert_fail
; %bb.0:
	s_waitcnt vmcnt(0) expcnt(0) lgkmcnt(0)
	s_mov_b32 s25, s33
	s_mov_b32 s33, s32
	s_or_saveexec_b64 s[4:5], -1
	buffer_store_dword v40, off, s[0:3], s33 offset:48 ; 4-byte Folded Spill
	s_mov_b64 exec, s[4:5]
	v_writelane_b32 v40, s30, 0
	s_addk_i32 s32, 0x1000
	v_writelane_b32 v40, s31, 1
	v_mov_b32_e32 v8, 0
	s_getpc_b64 s[4:5]
	s_add_u32 s4, s4, __const.__assert_fail.fmt@rel32@lo+35
	s_addc_u32 s5, s5, __const.__assert_fail.fmt@rel32@hi+43
	v_mov_b32_e32 v5, v1
	v_mov_b32_e32 v4, v0
	global_load_dwordx4 v[0:3], v8, s[4:5]
	s_getpc_b64 s[16:17]
	s_add_u32 s16, s16, __const.__assert_fail.fmt@rel32@lo+4
	s_addc_u32 s17, s17, __const.__assert_fail.fmt@rel32@hi+12
	s_getpc_b64 s[18:19]
	s_add_u32 s18, s18, __const.__assert_fail.fmt@rel32@lo+20
	s_addc_u32 s19, s19, __const.__assert_fail.fmt@rel32@hi+28
	v_mbcnt_lo_u32_b32 v9, -1, 0
	s_load_dwordx4 s[4:7], s[16:17], 0x0
	s_load_dwordx4 s[12:15], s[18:19], 0x0
	s_load_dwordx2 s[10:11], s[8:9], 0x50
	v_mbcnt_hi_u32_b32 v34, -1, v9
	v_mov_b32_e32 v6, 0
	v_readfirstlane_b32 s16, v34
	v_mov_b32_e32 v7, 0
	s_waitcnt lgkmcnt(0)
	v_mov_b32_e32 v9, s7
	v_mov_b32_e32 v11, s5
	;; [unrolled: 1-line block ×3, first 2 shown]
	v_cmp_eq_u32_e64 s[4:5], s16, v34
	v_mov_b32_e32 v10, s6
	v_mov_b32_e32 v13, s15
	;; [unrolled: 1-line block ×5, first 2 shown]
	buffer_store_dword v9, off, s[0:3], s33 offset:12
	buffer_store_dword v10, off, s[0:3], s33 offset:8
	buffer_store_dword v11, off, s[0:3], s33 offset:4
	buffer_store_dword v12, off, s[0:3], s33
	buffer_store_dword v13, off, s[0:3], s33 offset:28
	buffer_store_dword v14, off, s[0:3], s33 offset:24
	;; [unrolled: 1-line block ×4, first 2 shown]
	s_waitcnt vmcnt(8)
	buffer_store_dword v3, off, s[0:3], s33 offset:43
	buffer_store_dword v2, off, s[0:3], s33 offset:39
	;; [unrolled: 1-line block ×4, first 2 shown]
	s_and_saveexec_b64 s[6:7], s[4:5]
	s_cbranch_execz .LBB1_6
; %bb.1:
	global_load_dwordx2 v[2:3], v8, s[10:11] offset:24 glc
	s_waitcnt vmcnt(0)
	buffer_wbinvl1_vol
	global_load_dwordx2 v[0:1], v8, s[10:11] offset:40
	global_load_dwordx2 v[6:7], v8, s[10:11]
	s_waitcnt vmcnt(1)
	v_and_b32_e32 v0, v0, v2
	v_and_b32_e32 v1, v1, v3
	v_mul_lo_u32 v1, v1, 24
	v_mul_hi_u32 v9, v0, 24
	v_mul_lo_u32 v0, v0, 24
	v_add_u32_e32 v1, v9, v1
	s_waitcnt vmcnt(0)
	v_add_co_u32_e32 v0, vcc, v6, v0
	v_addc_co_u32_e32 v1, vcc, v7, v1, vcc
	global_load_dwordx2 v[0:1], v[0:1], off glc
	s_waitcnt vmcnt(0)
	global_atomic_cmpswap_x2 v[6:7], v8, v[0:3], s[10:11] offset:24 glc
	s_waitcnt vmcnt(0)
	buffer_wbinvl1_vol
	v_cmp_ne_u64_e32 vcc, v[6:7], v[2:3]
	s_and_saveexec_b64 s[12:13], vcc
	s_cbranch_execz .LBB1_5
; %bb.2:
	s_mov_b64 s[14:15], 0
	v_mov_b32_e32 v0, 0
.LBB1_3:                                ; =>This Inner Loop Header: Depth=1
	s_sleep 1
	global_load_dwordx2 v[1:2], v0, s[10:11] offset:40
	global_load_dwordx2 v[9:10], v0, s[10:11]
	v_mov_b32_e32 v12, v7
	v_mov_b32_e32 v11, v6
	s_waitcnt vmcnt(1)
	v_and_b32_e32 v1, v1, v11
	s_waitcnt vmcnt(0)
	v_mad_u64_u32 v[6:7], s[16:17], v1, 24, v[9:10]
	v_and_b32_e32 v2, v2, v12
	v_mov_b32_e32 v1, v7
	v_mad_u64_u32 v[1:2], s[16:17], v2, 24, v[1:2]
	v_mov_b32_e32 v7, v1
	global_load_dwordx2 v[9:10], v[6:7], off glc
	s_waitcnt vmcnt(0)
	global_atomic_cmpswap_x2 v[6:7], v0, v[9:12], s[10:11] offset:24 glc
	s_waitcnt vmcnt(0)
	buffer_wbinvl1_vol
	v_cmp_eq_u64_e32 vcc, v[6:7], v[11:12]
	s_or_b64 s[14:15], vcc, s[14:15]
	s_andn2_b64 exec, exec, s[14:15]
	s_cbranch_execnz .LBB1_3
; %bb.4:
	s_or_b64 exec, exec, s[14:15]
.LBB1_5:
	s_or_b64 exec, exec, s[12:13]
.LBB1_6:
	s_or_b64 exec, exec, s[6:7]
	global_load_dwordx2 v[9:10], v8, s[10:11] offset:40
	global_load_dwordx4 v[0:3], v8, s[10:11]
	v_readfirstlane_b32 s7, v7
	v_readfirstlane_b32 s6, v6
	s_mov_b64 s[12:13], exec
	s_waitcnt vmcnt(1)
	v_readfirstlane_b32 s14, v9
	v_readfirstlane_b32 s15, v10
	s_and_b64 s[14:15], s[14:15], s[6:7]
	s_mul_i32 s16, s15, 24
	s_mul_hi_u32 s17, s14, 24
	s_mul_i32 s18, s14, 24
	s_add_i32 s16, s17, s16
	v_mov_b32_e32 v6, s16
	s_waitcnt vmcnt(0)
	v_add_co_u32_e32 v10, vcc, s18, v0
	v_addc_co_u32_e32 v11, vcc, v1, v6, vcc
	s_and_saveexec_b64 s[16:17], s[4:5]
	s_cbranch_execz .LBB1_8
; %bb.7:
	v_mov_b32_e32 v6, s12
	v_mov_b32_e32 v7, s13
	;; [unrolled: 1-line block ×4, first 2 shown]
	global_store_dwordx4 v[10:11], v[6:9], off offset:8
.LBB1_8:
	s_or_b64 exec, exec, s[16:17]
	s_lshl_b64 s[12:13], s[14:15], 12
	v_mov_b32_e32 v6, s13
	v_add_co_u32_e32 v2, vcc, s12, v2
	s_mov_b32 s12, 0
	v_addc_co_u32_e32 v3, vcc, v3, v6, vcc
	v_lshlrev_b32_e32 v35, 6, v34
	s_mov_b32 s15, s12
	v_mov_b32_e32 v7, 0
	v_add_co_u32_e32 v12, vcc, v2, v35
	s_mov_b32 s13, s12
	s_mov_b32 s14, s12
	v_mov_b32_e32 v17, s15
	v_addc_co_u32_e32 v13, vcc, 0, v3, vcc
	v_mov_b32_e32 v6, 33
	v_mov_b32_e32 v8, 1
	;; [unrolled: 1-line block ×3, first 2 shown]
	v_readfirstlane_b32 s16, v2
	v_readfirstlane_b32 s17, v3
	v_mov_b32_e32 v16, s14
	v_mov_b32_e32 v15, s13
	;; [unrolled: 1-line block ×3, first 2 shown]
	s_nop 1
	global_store_dwordx4 v35, v[6:9], s[16:17]
	global_store_dwordx4 v35, v[14:17], s[16:17] offset:16
	global_store_dwordx4 v35, v[14:17], s[16:17] offset:32
	;; [unrolled: 1-line block ×3, first 2 shown]
	s_and_saveexec_b64 s[12:13], s[4:5]
	s_cbranch_execz .LBB1_16
; %bb.9:
	global_load_dwordx2 v[16:17], v7, s[10:11] offset:32 glc
	global_load_dwordx2 v[2:3], v7, s[10:11] offset:40
	v_mov_b32_e32 v14, s6
	v_mov_b32_e32 v15, s7
	s_waitcnt vmcnt(0)
	v_and_b32_e32 v2, s6, v2
	v_and_b32_e32 v3, s7, v3
	v_mul_lo_u32 v3, v3, 24
	v_mul_hi_u32 v6, v2, 24
	v_mul_lo_u32 v2, v2, 24
	v_add_u32_e32 v3, v6, v3
	v_add_co_u32_e32 v8, vcc, v0, v2
	v_addc_co_u32_e32 v9, vcc, v1, v3, vcc
	global_store_dwordx2 v[8:9], v[16:17], off
	s_waitcnt vmcnt(0)
	global_atomic_cmpswap_x2 v[2:3], v7, v[14:17], s[10:11] offset:32 glc
	s_waitcnt vmcnt(0)
	v_cmp_ne_u64_e32 vcc, v[2:3], v[16:17]
	s_and_saveexec_b64 s[14:15], vcc
	s_cbranch_execz .LBB1_12
; %bb.10:
	s_mov_b64 s[16:17], 0
	v_mov_b32_e32 v6, 0
.LBB1_11:                               ; =>This Inner Loop Header: Depth=1
	s_sleep 1
	global_store_dwordx2 v[8:9], v[2:3], off
	v_mov_b32_e32 v0, s6
	v_mov_b32_e32 v1, s7
	s_waitcnt vmcnt(0)
	global_atomic_cmpswap_x2 v[0:1], v6, v[0:3], s[10:11] offset:32 glc
	s_waitcnt vmcnt(0)
	v_cmp_eq_u64_e32 vcc, v[0:1], v[2:3]
	v_mov_b32_e32 v3, v1
	s_or_b64 s[16:17], vcc, s[16:17]
	v_mov_b32_e32 v2, v0
	s_andn2_b64 exec, exec, s[16:17]
	s_cbranch_execnz .LBB1_11
.LBB1_12:
	s_or_b64 exec, exec, s[14:15]
	v_mov_b32_e32 v3, 0
	global_load_dwordx2 v[0:1], v3, s[10:11] offset:16
	s_mov_b64 s[14:15], exec
	v_mbcnt_lo_u32_b32 v2, s14, 0
	v_mbcnt_hi_u32_b32 v2, s15, v2
	v_cmp_eq_u32_e32 vcc, 0, v2
	s_and_saveexec_b64 s[16:17], vcc
	s_cbranch_execz .LBB1_14
; %bb.13:
	s_bcnt1_i32_b64 s14, s[14:15]
	v_mov_b32_e32 v2, s14
	s_waitcnt vmcnt(0)
	global_atomic_add_x2 v[0:1], v[2:3], off offset:8
.LBB1_14:
	s_or_b64 exec, exec, s[16:17]
	s_waitcnt vmcnt(0)
	global_load_dwordx2 v[2:3], v[0:1], off offset:16
	s_waitcnt vmcnt(0)
	v_cmp_eq_u64_e32 vcc, 0, v[2:3]
	s_cbranch_vccnz .LBB1_16
; %bb.15:
	global_load_dword v0, v[0:1], off offset:24
	v_mov_b32_e32 v1, 0
	s_waitcnt vmcnt(0)
	v_readfirstlane_b32 s14, v0
	s_and_b32 m0, s14, 0xffffff
	global_store_dwordx2 v[2:3], v[0:1], off
	s_sendmsg sendmsg(MSG_INTERRUPT)
.LBB1_16:
	s_or_b64 exec, exec, s[12:13]
	s_branch .LBB1_20
.LBB1_17:                               ;   in Loop: Header=BB1_20 Depth=1
	s_or_b64 exec, exec, s[12:13]
	v_readfirstlane_b32 s12, v0
	s_cmp_eq_u32 s12, 0
	s_cbranch_scc1 .LBB1_19
; %bb.18:                               ;   in Loop: Header=BB1_20 Depth=1
	s_sleep 1
	s_cbranch_execnz .LBB1_20
	s_branch .LBB1_22
.LBB1_19:
	s_branch .LBB1_22
.LBB1_20:                               ; =>This Inner Loop Header: Depth=1
	v_mov_b32_e32 v0, 1
	s_and_saveexec_b64 s[12:13], s[4:5]
	s_cbranch_execz .LBB1_17
; %bb.21:                               ;   in Loop: Header=BB1_20 Depth=1
	global_load_dword v0, v[10:11], off offset:20 glc
	s_waitcnt vmcnt(0)
	buffer_wbinvl1_vol
	v_and_b32_e32 v0, 1, v0
	s_branch .LBB1_17
.LBB1_22:
	global_load_dwordx2 v[6:7], v[12:13], off
	s_and_saveexec_b64 s[12:13], s[4:5]
	s_cbranch_execz .LBB1_25
; %bb.23:
	v_mov_b32_e32 v10, 0
	global_load_dwordx2 v[0:1], v10, s[10:11] offset:40
	global_load_dwordx2 v[13:14], v10, s[10:11] offset:24 glc
	global_load_dwordx2 v[2:3], v10, s[10:11]
	s_waitcnt vmcnt(2)
	v_readfirstlane_b32 s14, v0
	v_readfirstlane_b32 s15, v1
	s_add_u32 s16, s14, 1
	s_addc_u32 s17, s15, 0
	s_add_u32 s4, s16, s6
	s_addc_u32 s5, s17, s7
	s_cmp_eq_u64 s[4:5], 0
	s_cselect_b32 s5, s17, s5
	s_cselect_b32 s4, s16, s4
	s_and_b64 s[6:7], s[4:5], s[14:15]
	s_mul_i32 s7, s7, 24
	s_mul_hi_u32 s14, s6, 24
	s_mul_i32 s6, s6, 24
	s_add_i32 s7, s14, s7
	v_mov_b32_e32 v0, s7
	s_waitcnt vmcnt(0)
	v_add_co_u32_e32 v8, vcc, s6, v2
	v_addc_co_u32_e32 v9, vcc, v3, v0, vcc
	v_mov_b32_e32 v11, s4
	global_store_dwordx2 v[8:9], v[13:14], off
	v_mov_b32_e32 v12, s5
	s_waitcnt vmcnt(0)
	global_atomic_cmpswap_x2 v[2:3], v10, v[11:14], s[10:11] offset:24 glc
	s_mov_b64 s[6:7], 0
	s_waitcnt vmcnt(0)
	v_cmp_ne_u64_e32 vcc, v[2:3], v[13:14]
	s_and_b64 exec, exec, vcc
	s_cbranch_execz .LBB1_25
.LBB1_24:                               ; =>This Inner Loop Header: Depth=1
	s_sleep 1
	global_store_dwordx2 v[8:9], v[2:3], off
	v_mov_b32_e32 v0, s4
	v_mov_b32_e32 v1, s5
	s_waitcnt vmcnt(0)
	global_atomic_cmpswap_x2 v[0:1], v10, v[0:3], s[10:11] offset:24 glc
	s_waitcnt vmcnt(0)
	v_cmp_eq_u64_e32 vcc, v[0:1], v[2:3]
	v_mov_b32_e32 v3, v1
	s_or_b64 s[6:7], vcc, s[6:7]
	v_mov_b32_e32 v2, v0
	s_andn2_b64 exec, exec, s[6:7]
	s_cbranch_execnz .LBB1_24
.LBB1_25:
	s_or_b64 exec, exec, s[12:13]
	s_lshr_b32 s6, s33, 6
	s_mov_b64 s[4:5], 0
.LBB1_26:                               ; =>This Inner Loop Header: Depth=1
	v_mov_b32_e32 v0, s6
	buffer_load_ubyte v1, v0, s[0:3], 0 offen
	s_add_i32 s6, s6, 1
	v_mov_b32_e32 v0, s6
	s_waitcnt vmcnt(0)
	v_cmp_eq_u16_e32 vcc, 0, v1
	s_or_b64 s[4:5], vcc, s[4:5]
	s_andn2_b64 exec, exec, s[4:5]
	s_cbranch_execnz .LBB1_26
; %bb.27:
	s_or_b64 exec, exec, s[4:5]
	s_lshr_b32 s4, s33, 6
	s_cmp_lg_u32 s4, -1
	s_cbranch_scc0 .LBB1_112
; %bb.28:
	v_lshrrev_b32_e64 v1, 6, s33
	v_subrev_u32_e32 v28, v1, v0
	v_ashrrev_i32_e32 v29, 31, v28
	v_and_b32_e32 v36, 2, v6
	v_mov_b32_e32 v31, 0
	v_and_b32_e32 v0, -3, v6
	v_mov_b32_e32 v1, v7
	s_mov_b64 s[12:13], 0
	v_lshrrev_b32_e64 v37, 6, s33
	s_mov_b32 s20, 0
	s_movk_i32 s21, 0x1e0
	v_mov_b32_e32 v10, 2
	v_mov_b32_e32 v11, 1
	s_branch .LBB1_30
.LBB1_29:                               ;   in Loop: Header=BB1_30 Depth=1
	s_or_b64 exec, exec, s[6:7]
	v_sub_co_u32_e32 v28, vcc, v28, v38
	v_subb_co_u32_e32 v29, vcc, v29, v39, vcc
	v_cmp_eq_u64_e32 vcc, 0, v[28:29]
	v_add_u32_e32 v37, v37, v38
	s_or_b64 s[12:13], vcc, s[12:13]
	s_andn2_b64 exec, exec, s[12:13]
	s_cbranch_execz .LBB1_113
.LBB1_30:                               ; =>This Loop Header: Depth=1
                                        ;     Child Loop BB1_33 Depth 2
                                        ;     Child Loop BB1_41 Depth 2
	;; [unrolled: 1-line block ×11, first 2 shown]
	v_cmp_gt_u64_e32 vcc, 56, v[28:29]
	v_cmp_gt_u64_e64 s[4:5], 8, v[28:29]
	v_cndmask_b32_e32 v38, 56, v28, vcc
	v_add_u32_e32 v9, 8, v37
	s_and_saveexec_b64 s[6:7], s[4:5]
	s_xor_b64 s[6:7], exec, s[6:7]
	s_cbranch_execz .LBB1_36
; %bb.31:                               ;   in Loop: Header=BB1_30 Depth=1
	v_mov_b32_e32 v2, 0
	v_cmp_ne_u64_e64 s[4:5], 0, v[28:29]
	v_mov_b32_e32 v3, 0
	s_and_saveexec_b64 s[14:15], s[4:5]
	s_cbranch_execz .LBB1_35
; %bb.32:                               ;   in Loop: Header=BB1_30 Depth=1
	v_mov_b32_e32 v2, 0
	s_mov_b32 s22, 0
	s_mov_b64 s[16:17], 0
	v_mov_b32_e32 v3, 0
	s_mov_b64 s[18:19], 0
.LBB1_33:                               ;   Parent Loop BB1_30 Depth=1
                                        ; =>  This Inner Loop Header: Depth=2
	v_add_u32_e32 v8, s22, v37
	buffer_load_ubyte v8, v8, s[0:3], 0 offen
	v_mov_b32_e32 v9, s20
	s_add_i32 s22, s22, 1
	v_cmp_eq_u32_e64 s[4:5], s22, v38
	s_waitcnt vmcnt(0)
	v_and_b32_e32 v8, 0xffff, v8
	v_lshlrev_b64 v[8:9], s18, v[8:9]
	s_add_u32 s18, s18, 8
	s_addc_u32 s19, s19, 0
	v_or_b32_e32 v3, v9, v3
	s_or_b64 s[16:17], s[4:5], s[16:17]
	v_or_b32_e32 v2, v8, v2
	s_andn2_b64 exec, exec, s[16:17]
	s_cbranch_execnz .LBB1_33
; %bb.34:                               ;   in Loop: Header=BB1_30 Depth=1
	s_or_b64 exec, exec, s[16:17]
.LBB1_35:                               ;   in Loop: Header=BB1_30 Depth=1
	s_or_b64 exec, exec, s[14:15]
	v_mov_b32_e32 v9, v37
.LBB1_36:                               ;   in Loop: Header=BB1_30 Depth=1
	s_or_saveexec_b64 s[4:5], s[6:7]
	v_mov_b32_e32 v14, 0
	s_xor_b64 exec, exec, s[4:5]
	s_cbranch_execz .LBB1_38
; %bb.37:                               ;   in Loop: Header=BB1_30 Depth=1
	buffer_load_dword v2, v37, s[0:3], 0 offen
	buffer_load_dword v3, v37, s[0:3], 0 offen offset:4
	v_add_u32_e32 v14, -8, v38
.LBB1_38:                               ;   in Loop: Header=BB1_30 Depth=1
	s_or_b64 exec, exec, s[4:5]
	v_cmp_gt_u32_e64 s[4:5], 8, v14
	v_add_u32_e32 v8, 8, v9
                                        ; implicit-def: $vgpr12_vgpr13
	s_and_saveexec_b64 s[6:7], s[4:5]
	s_xor_b64 s[6:7], exec, s[6:7]
	s_cbranch_execz .LBB1_44
; %bb.39:                               ;   in Loop: Header=BB1_30 Depth=1
	v_mov_b32_e32 v12, 0
	v_mov_b32_e32 v13, 0
	v_cmp_ne_u32_e64 s[4:5], 0, v14
	s_and_saveexec_b64 s[14:15], s[4:5]
	s_cbranch_execz .LBB1_43
; %bb.40:                               ;   in Loop: Header=BB1_30 Depth=1
	v_mov_b32_e32 v12, 0
	s_mov_b32 s22, 0
	s_mov_b64 s[16:17], 0
	v_mov_b32_e32 v13, 0
	s_mov_b64 s[18:19], 0
.LBB1_41:                               ;   Parent Loop BB1_30 Depth=1
                                        ; =>  This Inner Loop Header: Depth=2
	v_add_u32_e32 v8, s22, v9
	buffer_load_ubyte v8, v8, s[0:3], 0 offen
	v_mov_b32_e32 v16, s20
	s_add_i32 s22, s22, 1
	v_cmp_eq_u32_e64 s[4:5], s22, v14
	s_waitcnt vmcnt(0)
	v_and_b32_e32 v15, 0xffff, v8
	v_lshlrev_b64 v[15:16], s18, v[15:16]
	s_add_u32 s18, s18, 8
	s_addc_u32 s19, s19, 0
	v_or_b32_e32 v13, v16, v13
	s_or_b64 s[16:17], s[4:5], s[16:17]
	v_or_b32_e32 v12, v15, v12
	s_andn2_b64 exec, exec, s[16:17]
	s_cbranch_execnz .LBB1_41
; %bb.42:                               ;   in Loop: Header=BB1_30 Depth=1
	s_or_b64 exec, exec, s[16:17]
.LBB1_43:                               ;   in Loop: Header=BB1_30 Depth=1
	s_or_b64 exec, exec, s[14:15]
	v_mov_b32_e32 v8, v9
                                        ; implicit-def: $vgpr14
.LBB1_44:                               ;   in Loop: Header=BB1_30 Depth=1
	s_or_saveexec_b64 s[4:5], s[6:7]
	v_mov_b32_e32 v16, 0
	s_xor_b64 exec, exec, s[4:5]
	s_cbranch_execz .LBB1_46
; %bb.45:                               ;   in Loop: Header=BB1_30 Depth=1
	buffer_load_dword v12, v9, s[0:3], 0 offen
	buffer_load_dword v13, v9, s[0:3], 0 offen offset:4
	v_add_u32_e32 v16, -8, v14
.LBB1_46:                               ;   in Loop: Header=BB1_30 Depth=1
	s_or_b64 exec, exec, s[4:5]
	v_cmp_gt_u32_e64 s[4:5], 8, v16
	v_add_u32_e32 v9, 8, v8
	s_and_saveexec_b64 s[6:7], s[4:5]
	s_xor_b64 s[6:7], exec, s[6:7]
	s_cbranch_execz .LBB1_52
; %bb.47:                               ;   in Loop: Header=BB1_30 Depth=1
	v_mov_b32_e32 v14, 0
	v_mov_b32_e32 v15, 0
	v_cmp_ne_u32_e64 s[4:5], 0, v16
	s_and_saveexec_b64 s[14:15], s[4:5]
	s_cbranch_execz .LBB1_51
; %bb.48:                               ;   in Loop: Header=BB1_30 Depth=1
	v_mov_b32_e32 v14, 0
	s_mov_b32 s22, 0
	s_mov_b64 s[16:17], 0
	v_mov_b32_e32 v15, 0
	s_mov_b64 s[18:19], 0
.LBB1_49:                               ;   Parent Loop BB1_30 Depth=1
                                        ; =>  This Inner Loop Header: Depth=2
	v_add_u32_e32 v9, s22, v8
	buffer_load_ubyte v9, v9, s[0:3], 0 offen
	v_mov_b32_e32 v18, s20
	s_add_i32 s22, s22, 1
	v_cmp_eq_u32_e64 s[4:5], s22, v16
	s_waitcnt vmcnt(0)
	v_and_b32_e32 v17, 0xffff, v9
	v_lshlrev_b64 v[17:18], s18, v[17:18]
	s_add_u32 s18, s18, 8
	s_addc_u32 s19, s19, 0
	v_or_b32_e32 v15, v18, v15
	s_or_b64 s[16:17], s[4:5], s[16:17]
	v_or_b32_e32 v14, v17, v14
	s_andn2_b64 exec, exec, s[16:17]
	s_cbranch_execnz .LBB1_49
; %bb.50:                               ;   in Loop: Header=BB1_30 Depth=1
	s_or_b64 exec, exec, s[16:17]
.LBB1_51:                               ;   in Loop: Header=BB1_30 Depth=1
	s_or_b64 exec, exec, s[14:15]
	v_mov_b32_e32 v9, v8
                                        ; implicit-def: $vgpr16
.LBB1_52:                               ;   in Loop: Header=BB1_30 Depth=1
	s_or_saveexec_b64 s[4:5], s[6:7]
	v_mov_b32_e32 v18, 0
	s_xor_b64 exec, exec, s[4:5]
	s_cbranch_execz .LBB1_54
; %bb.53:                               ;   in Loop: Header=BB1_30 Depth=1
	buffer_load_dword v14, v8, s[0:3], 0 offen
	buffer_load_dword v15, v8, s[0:3], 0 offen offset:4
	v_add_u32_e32 v18, -8, v16
.LBB1_54:                               ;   in Loop: Header=BB1_30 Depth=1
	s_or_b64 exec, exec, s[4:5]
	v_cmp_gt_u32_e64 s[4:5], 8, v18
	v_add_u32_e32 v8, 8, v9
                                        ; implicit-def: $vgpr16_vgpr17
	s_and_saveexec_b64 s[6:7], s[4:5]
	s_xor_b64 s[6:7], exec, s[6:7]
	s_cbranch_execz .LBB1_60
; %bb.55:                               ;   in Loop: Header=BB1_30 Depth=1
	v_mov_b32_e32 v16, 0
	v_mov_b32_e32 v17, 0
	v_cmp_ne_u32_e64 s[4:5], 0, v18
	s_and_saveexec_b64 s[14:15], s[4:5]
	s_cbranch_execz .LBB1_59
; %bb.56:                               ;   in Loop: Header=BB1_30 Depth=1
	v_mov_b32_e32 v16, 0
	s_mov_b32 s22, 0
	s_mov_b64 s[16:17], 0
	v_mov_b32_e32 v17, 0
	s_mov_b64 s[18:19], 0
.LBB1_57:                               ;   Parent Loop BB1_30 Depth=1
                                        ; =>  This Inner Loop Header: Depth=2
	v_add_u32_e32 v8, s22, v9
	buffer_load_ubyte v8, v8, s[0:3], 0 offen
	v_mov_b32_e32 v20, s20
	s_add_i32 s22, s22, 1
	v_cmp_eq_u32_e64 s[4:5], s22, v18
	s_waitcnt vmcnt(0)
	v_and_b32_e32 v19, 0xffff, v8
	v_lshlrev_b64 v[19:20], s18, v[19:20]
	s_add_u32 s18, s18, 8
	s_addc_u32 s19, s19, 0
	v_or_b32_e32 v17, v20, v17
	s_or_b64 s[16:17], s[4:5], s[16:17]
	v_or_b32_e32 v16, v19, v16
	s_andn2_b64 exec, exec, s[16:17]
	s_cbranch_execnz .LBB1_57
; %bb.58:                               ;   in Loop: Header=BB1_30 Depth=1
	s_or_b64 exec, exec, s[16:17]
.LBB1_59:                               ;   in Loop: Header=BB1_30 Depth=1
	s_or_b64 exec, exec, s[14:15]
	v_mov_b32_e32 v8, v9
                                        ; implicit-def: $vgpr18
.LBB1_60:                               ;   in Loop: Header=BB1_30 Depth=1
	s_or_saveexec_b64 s[4:5], s[6:7]
	v_mov_b32_e32 v20, 0
	s_xor_b64 exec, exec, s[4:5]
	s_cbranch_execz .LBB1_62
; %bb.61:                               ;   in Loop: Header=BB1_30 Depth=1
	buffer_load_dword v16, v9, s[0:3], 0 offen
	buffer_load_dword v17, v9, s[0:3], 0 offen offset:4
	v_add_u32_e32 v20, -8, v18
.LBB1_62:                               ;   in Loop: Header=BB1_30 Depth=1
	s_or_b64 exec, exec, s[4:5]
	v_cmp_gt_u32_e64 s[4:5], 8, v20
	v_add_u32_e32 v9, 8, v8
	s_and_saveexec_b64 s[6:7], s[4:5]
	s_xor_b64 s[6:7], exec, s[6:7]
	s_cbranch_execz .LBB1_68
; %bb.63:                               ;   in Loop: Header=BB1_30 Depth=1
	v_mov_b32_e32 v18, 0
	v_mov_b32_e32 v19, 0
	v_cmp_ne_u32_e64 s[4:5], 0, v20
	s_and_saveexec_b64 s[14:15], s[4:5]
	s_cbranch_execz .LBB1_67
; %bb.64:                               ;   in Loop: Header=BB1_30 Depth=1
	v_mov_b32_e32 v18, 0
	s_mov_b32 s22, 0
	s_mov_b64 s[16:17], 0
	v_mov_b32_e32 v19, 0
	s_mov_b64 s[18:19], 0
.LBB1_65:                               ;   Parent Loop BB1_30 Depth=1
                                        ; =>  This Inner Loop Header: Depth=2
	v_add_u32_e32 v9, s22, v8
	buffer_load_ubyte v9, v9, s[0:3], 0 offen
	v_mov_b32_e32 v22, s20
	s_add_i32 s22, s22, 1
	v_cmp_eq_u32_e64 s[4:5], s22, v20
	s_waitcnt vmcnt(0)
	v_and_b32_e32 v21, 0xffff, v9
	v_lshlrev_b64 v[21:22], s18, v[21:22]
	s_add_u32 s18, s18, 8
	s_addc_u32 s19, s19, 0
	v_or_b32_e32 v19, v22, v19
	s_or_b64 s[16:17], s[4:5], s[16:17]
	v_or_b32_e32 v18, v21, v18
	s_andn2_b64 exec, exec, s[16:17]
	s_cbranch_execnz .LBB1_65
; %bb.66:                               ;   in Loop: Header=BB1_30 Depth=1
	s_or_b64 exec, exec, s[16:17]
.LBB1_67:                               ;   in Loop: Header=BB1_30 Depth=1
	s_or_b64 exec, exec, s[14:15]
	v_mov_b32_e32 v9, v8
                                        ; implicit-def: $vgpr20
.LBB1_68:                               ;   in Loop: Header=BB1_30 Depth=1
	s_or_saveexec_b64 s[4:5], s[6:7]
	v_mov_b32_e32 v22, 0
	s_xor_b64 exec, exec, s[4:5]
	s_cbranch_execz .LBB1_70
; %bb.69:                               ;   in Loop: Header=BB1_30 Depth=1
	buffer_load_dword v18, v8, s[0:3], 0 offen
	buffer_load_dword v19, v8, s[0:3], 0 offen offset:4
	v_add_u32_e32 v22, -8, v20
.LBB1_70:                               ;   in Loop: Header=BB1_30 Depth=1
	s_or_b64 exec, exec, s[4:5]
	v_cmp_gt_u32_e64 s[4:5], 8, v22
	v_add_u32_e32 v8, 8, v9
                                        ; implicit-def: $vgpr20_vgpr21
	s_and_saveexec_b64 s[6:7], s[4:5]
	s_xor_b64 s[6:7], exec, s[6:7]
	s_cbranch_execz .LBB1_76
; %bb.71:                               ;   in Loop: Header=BB1_30 Depth=1
	v_mov_b32_e32 v20, 0
	v_mov_b32_e32 v21, 0
	v_cmp_ne_u32_e64 s[4:5], 0, v22
	s_and_saveexec_b64 s[14:15], s[4:5]
	s_cbranch_execz .LBB1_75
; %bb.72:                               ;   in Loop: Header=BB1_30 Depth=1
	v_mov_b32_e32 v20, 0
	s_mov_b32 s22, 0
	s_mov_b64 s[16:17], 0
	v_mov_b32_e32 v21, 0
	s_mov_b64 s[18:19], 0
.LBB1_73:                               ;   Parent Loop BB1_30 Depth=1
                                        ; =>  This Inner Loop Header: Depth=2
	v_add_u32_e32 v8, s22, v9
	buffer_load_ubyte v8, v8, s[0:3], 0 offen
	v_mov_b32_e32 v24, s20
	s_add_i32 s22, s22, 1
	v_cmp_eq_u32_e64 s[4:5], s22, v22
	s_waitcnt vmcnt(0)
	v_and_b32_e32 v23, 0xffff, v8
	v_lshlrev_b64 v[23:24], s18, v[23:24]
	s_add_u32 s18, s18, 8
	s_addc_u32 s19, s19, 0
	v_or_b32_e32 v21, v24, v21
	s_or_b64 s[16:17], s[4:5], s[16:17]
	v_or_b32_e32 v20, v23, v20
	s_andn2_b64 exec, exec, s[16:17]
	s_cbranch_execnz .LBB1_73
; %bb.74:                               ;   in Loop: Header=BB1_30 Depth=1
	s_or_b64 exec, exec, s[16:17]
.LBB1_75:                               ;   in Loop: Header=BB1_30 Depth=1
	s_or_b64 exec, exec, s[14:15]
	v_mov_b32_e32 v8, v9
                                        ; implicit-def: $vgpr22
.LBB1_76:                               ;   in Loop: Header=BB1_30 Depth=1
	s_or_saveexec_b64 s[4:5], s[6:7]
	v_mov_b32_e32 v24, 0
	s_xor_b64 exec, exec, s[4:5]
	s_cbranch_execz .LBB1_78
; %bb.77:                               ;   in Loop: Header=BB1_30 Depth=1
	buffer_load_dword v20, v9, s[0:3], 0 offen
	buffer_load_dword v21, v9, s[0:3], 0 offen offset:4
	v_add_u32_e32 v24, -8, v22
.LBB1_78:                               ;   in Loop: Header=BB1_30 Depth=1
	s_or_b64 exec, exec, s[4:5]
	v_cmp_gt_u32_e64 s[4:5], 8, v24
	s_and_saveexec_b64 s[6:7], s[4:5]
	s_xor_b64 s[6:7], exec, s[6:7]
	s_cbranch_execz .LBB1_84
; %bb.79:                               ;   in Loop: Header=BB1_30 Depth=1
	v_mov_b32_e32 v22, 0
	v_mov_b32_e32 v23, 0
	v_cmp_ne_u32_e64 s[4:5], 0, v24
	s_and_saveexec_b64 s[14:15], s[4:5]
	s_cbranch_execz .LBB1_83
; %bb.80:                               ;   in Loop: Header=BB1_30 Depth=1
	v_mov_b32_e32 v22, 0
	s_mov_b64 s[16:17], 0
	v_mov_b32_e32 v23, 0
	s_mov_b64 s[18:19], 0
.LBB1_81:                               ;   Parent Loop BB1_30 Depth=1
                                        ; =>  This Inner Loop Header: Depth=2
	buffer_load_ubyte v9, v8, s[0:3], 0 offen
	v_mov_b32_e32 v26, s20
	v_add_u32_e32 v24, -1, v24
	v_cmp_eq_u32_e64 s[4:5], 0, v24
	v_add_u32_e32 v8, 1, v8
	s_waitcnt vmcnt(0)
	v_and_b32_e32 v25, 0xffff, v9
	v_lshlrev_b64 v[25:26], s18, v[25:26]
	s_add_u32 s18, s18, 8
	s_addc_u32 s19, s19, 0
	v_or_b32_e32 v23, v26, v23
	s_or_b64 s[16:17], s[4:5], s[16:17]
	v_or_b32_e32 v22, v25, v22
	s_andn2_b64 exec, exec, s[16:17]
	s_cbranch_execnz .LBB1_81
; %bb.82:                               ;   in Loop: Header=BB1_30 Depth=1
	s_or_b64 exec, exec, s[16:17]
.LBB1_83:                               ;   in Loop: Header=BB1_30 Depth=1
	s_or_b64 exec, exec, s[14:15]
                                        ; implicit-def: $vgpr8
.LBB1_84:                               ;   in Loop: Header=BB1_30 Depth=1
	s_andn2_saveexec_b64 s[4:5], s[6:7]
	s_cbranch_execz .LBB1_86
; %bb.85:                               ;   in Loop: Header=BB1_30 Depth=1
	buffer_load_dword v22, v8, s[0:3], 0 offen
	buffer_load_dword v23, v8, s[0:3], 0 offen offset:4
.LBB1_86:                               ;   in Loop: Header=BB1_30 Depth=1
	s_or_b64 exec, exec, s[4:5]
	v_readfirstlane_b32 s4, v34
	v_mov_b32_e32 v8, 0
	v_mov_b32_e32 v9, 0
	v_cmp_eq_u32_e64 s[4:5], s4, v34
	s_and_saveexec_b64 s[14:15], s[4:5]
	s_cbranch_execz .LBB1_92
; %bb.87:                               ;   in Loop: Header=BB1_30 Depth=1
	global_load_dwordx2 v[26:27], v31, s[10:11] offset:24 glc
	s_waitcnt vmcnt(0)
	buffer_wbinvl1_vol
	global_load_dwordx2 v[8:9], v31, s[10:11] offset:40
	global_load_dwordx2 v[24:25], v31, s[10:11]
	s_waitcnt vmcnt(1)
	v_and_b32_e32 v8, v8, v26
	v_and_b32_e32 v9, v9, v27
	v_mul_lo_u32 v9, v9, 24
	v_mul_hi_u32 v30, v8, 24
	v_mul_lo_u32 v8, v8, 24
	v_add_u32_e32 v9, v30, v9
	s_waitcnt vmcnt(0)
	v_add_co_u32_e64 v8, s[6:7], v24, v8
	v_addc_co_u32_e64 v9, s[6:7], v25, v9, s[6:7]
	global_load_dwordx2 v[24:25], v[8:9], off glc
	s_waitcnt vmcnt(0)
	global_atomic_cmpswap_x2 v[8:9], v31, v[24:27], s[10:11] offset:24 glc
	s_waitcnt vmcnt(0)
	buffer_wbinvl1_vol
	v_cmp_ne_u64_e64 s[6:7], v[8:9], v[26:27]
	s_and_saveexec_b64 s[16:17], s[6:7]
	s_cbranch_execz .LBB1_91
; %bb.88:                               ;   in Loop: Header=BB1_30 Depth=1
	s_mov_b64 s[18:19], 0
.LBB1_89:                               ;   Parent Loop BB1_30 Depth=1
                                        ; =>  This Inner Loop Header: Depth=2
	s_sleep 1
	global_load_dwordx2 v[24:25], v31, s[10:11] offset:40
	global_load_dwordx2 v[32:33], v31, s[10:11]
	v_mov_b32_e32 v27, v9
	v_mov_b32_e32 v26, v8
	s_waitcnt vmcnt(1)
	v_and_b32_e32 v8, v24, v26
	s_waitcnt vmcnt(0)
	v_mad_u64_u32 v[8:9], s[6:7], v8, 24, v[32:33]
	v_and_b32_e32 v24, v25, v27
	v_mad_u64_u32 v[24:25], s[6:7], v24, 24, v[9:10]
	v_mov_b32_e32 v9, v24
	global_load_dwordx2 v[24:25], v[8:9], off glc
	s_waitcnt vmcnt(0)
	global_atomic_cmpswap_x2 v[8:9], v31, v[24:27], s[10:11] offset:24 glc
	s_waitcnt vmcnt(0)
	buffer_wbinvl1_vol
	v_cmp_eq_u64_e64 s[6:7], v[8:9], v[26:27]
	s_or_b64 s[18:19], s[6:7], s[18:19]
	s_andn2_b64 exec, exec, s[18:19]
	s_cbranch_execnz .LBB1_89
; %bb.90:                               ;   in Loop: Header=BB1_30 Depth=1
	s_or_b64 exec, exec, s[18:19]
.LBB1_91:                               ;   in Loop: Header=BB1_30 Depth=1
	s_or_b64 exec, exec, s[16:17]
.LBB1_92:                               ;   in Loop: Header=BB1_30 Depth=1
	s_or_b64 exec, exec, s[14:15]
	global_load_dwordx2 v[32:33], v31, s[10:11] offset:40
	global_load_dwordx4 v[24:27], v31, s[10:11]
	v_readfirstlane_b32 s15, v9
	v_readfirstlane_b32 s14, v8
	s_mov_b64 s[16:17], exec
	s_waitcnt vmcnt(1)
	v_readfirstlane_b32 s6, v32
	v_readfirstlane_b32 s7, v33
	s_and_b64 s[18:19], s[6:7], s[14:15]
	s_mul_i32 s6, s19, 24
	s_mul_hi_u32 s7, s18, 24
	s_mul_i32 s22, s18, 24
	s_add_i32 s6, s7, s6
	v_mov_b32_e32 v8, s6
	s_waitcnt vmcnt(0)
	v_add_co_u32_e64 v32, s[6:7], s22, v24
	v_addc_co_u32_e64 v33, s[6:7], v25, v8, s[6:7]
	s_and_saveexec_b64 s[6:7], s[4:5]
	s_cbranch_execz .LBB1_94
; %bb.93:                               ;   in Loop: Header=BB1_30 Depth=1
	v_mov_b32_e32 v8, s16
	v_mov_b32_e32 v9, s17
	global_store_dwordx4 v[32:33], v[8:11], off offset:8
.LBB1_94:                               ;   in Loop: Header=BB1_30 Depth=1
	s_or_b64 exec, exec, s[6:7]
	s_lshl_b64 s[6:7], s[18:19], 12
	v_cndmask_b32_e32 v39, 0, v29, vcc
	v_mov_b32_e32 v8, s7
	v_add_co_u32_e32 v26, vcc, s6, v26
	v_addc_co_u32_e32 v27, vcc, v27, v8, vcc
	v_cmp_gt_u64_e32 vcc, 57, v[28:29]
	v_and_b32_e32 v0, 0xffffff1f, v0
	v_cndmask_b32_e32 v8, 0, v36, vcc
	v_lshl_add_u32 v9, v38, 2, 28
	v_or_b32_e32 v0, v0, v8
	v_and_or_b32 v0, v9, s21, v0
	v_readfirstlane_b32 s6, v26
	v_readfirstlane_b32 s7, v27
	s_nop 4
	global_store_dwordx4 v35, v[0:3], s[6:7]
	global_store_dwordx4 v35, v[12:15], s[6:7] offset:16
	global_store_dwordx4 v35, v[16:19], s[6:7] offset:32
	global_store_dwordx4 v35, v[20:23], s[6:7] offset:48
	s_and_saveexec_b64 s[6:7], s[4:5]
	s_cbranch_execz .LBB1_102
; %bb.95:                               ;   in Loop: Header=BB1_30 Depth=1
	global_load_dwordx2 v[14:15], v31, s[10:11] offset:32 glc
	global_load_dwordx2 v[0:1], v31, s[10:11] offset:40
	v_mov_b32_e32 v12, s14
	v_mov_b32_e32 v13, s15
	s_waitcnt vmcnt(0)
	v_readfirstlane_b32 s16, v0
	v_readfirstlane_b32 s17, v1
	s_and_b64 s[16:17], s[16:17], s[14:15]
	s_mul_i32 s17, s17, 24
	s_mul_hi_u32 s18, s16, 24
	s_mul_i32 s16, s16, 24
	s_add_i32 s17, s18, s17
	v_mov_b32_e32 v0, s17
	v_add_co_u32_e32 v8, vcc, s16, v24
	v_addc_co_u32_e32 v9, vcc, v25, v0, vcc
	global_store_dwordx2 v[8:9], v[14:15], off
	s_waitcnt vmcnt(0)
	global_atomic_cmpswap_x2 v[2:3], v31, v[12:15], s[10:11] offset:32 glc
	s_waitcnt vmcnt(0)
	v_cmp_ne_u64_e32 vcc, v[2:3], v[14:15]
	s_and_saveexec_b64 s[16:17], vcc
	s_cbranch_execz .LBB1_98
; %bb.96:                               ;   in Loop: Header=BB1_30 Depth=1
	s_mov_b64 s[18:19], 0
.LBB1_97:                               ;   Parent Loop BB1_30 Depth=1
                                        ; =>  This Inner Loop Header: Depth=2
	s_sleep 1
	global_store_dwordx2 v[8:9], v[2:3], off
	v_mov_b32_e32 v0, s14
	v_mov_b32_e32 v1, s15
	s_waitcnt vmcnt(0)
	global_atomic_cmpswap_x2 v[0:1], v31, v[0:3], s[10:11] offset:32 glc
	s_waitcnt vmcnt(0)
	v_cmp_eq_u64_e32 vcc, v[0:1], v[2:3]
	v_mov_b32_e32 v3, v1
	s_or_b64 s[18:19], vcc, s[18:19]
	v_mov_b32_e32 v2, v0
	s_andn2_b64 exec, exec, s[18:19]
	s_cbranch_execnz .LBB1_97
.LBB1_98:                               ;   in Loop: Header=BB1_30 Depth=1
	s_or_b64 exec, exec, s[16:17]
	global_load_dwordx2 v[0:1], v31, s[10:11] offset:16
	s_mov_b64 s[18:19], exec
	v_mbcnt_lo_u32_b32 v2, s18, 0
	v_mbcnt_hi_u32_b32 v2, s19, v2
	v_cmp_eq_u32_e32 vcc, 0, v2
	s_and_saveexec_b64 s[16:17], vcc
	s_cbranch_execz .LBB1_100
; %bb.99:                               ;   in Loop: Header=BB1_30 Depth=1
	s_bcnt1_i32_b64 s18, s[18:19]
	v_mov_b32_e32 v30, s18
	s_waitcnt vmcnt(0)
	global_atomic_add_x2 v[0:1], v[30:31], off offset:8
.LBB1_100:                              ;   in Loop: Header=BB1_30 Depth=1
	s_or_b64 exec, exec, s[16:17]
	s_waitcnt vmcnt(0)
	global_load_dwordx2 v[2:3], v[0:1], off offset:16
	s_waitcnt vmcnt(0)
	v_cmp_eq_u64_e32 vcc, 0, v[2:3]
	s_cbranch_vccnz .LBB1_102
; %bb.101:                              ;   in Loop: Header=BB1_30 Depth=1
	global_load_dword v30, v[0:1], off offset:24
	s_waitcnt vmcnt(0)
	v_readfirstlane_b32 s16, v30
	s_and_b32 m0, s16, 0xffffff
	global_store_dwordx2 v[2:3], v[30:31], off
	s_sendmsg sendmsg(MSG_INTERRUPT)
.LBB1_102:                              ;   in Loop: Header=BB1_30 Depth=1
	s_or_b64 exec, exec, s[6:7]
	v_add_co_u32_e32 v0, vcc, v26, v35
	v_addc_co_u32_e32 v1, vcc, 0, v27, vcc
	s_branch .LBB1_106
.LBB1_103:                              ;   in Loop: Header=BB1_106 Depth=2
	s_or_b64 exec, exec, s[6:7]
	v_readfirstlane_b32 s6, v2
	s_cmp_eq_u32 s6, 0
	s_cbranch_scc1 .LBB1_105
; %bb.104:                              ;   in Loop: Header=BB1_106 Depth=2
	s_sleep 1
	s_cbranch_execnz .LBB1_106
	s_branch .LBB1_108
.LBB1_105:                              ;   in Loop: Header=BB1_30 Depth=1
	s_branch .LBB1_108
.LBB1_106:                              ;   Parent Loop BB1_30 Depth=1
                                        ; =>  This Inner Loop Header: Depth=2
	v_mov_b32_e32 v2, 1
	s_and_saveexec_b64 s[6:7], s[4:5]
	s_cbranch_execz .LBB1_103
; %bb.107:                              ;   in Loop: Header=BB1_106 Depth=2
	global_load_dword v2, v[32:33], off offset:20 glc
	s_waitcnt vmcnt(0)
	buffer_wbinvl1_vol
	v_and_b32_e32 v2, 1, v2
	s_branch .LBB1_103
.LBB1_108:                              ;   in Loop: Header=BB1_30 Depth=1
	global_load_dwordx2 v[0:1], v[0:1], off
	s_and_saveexec_b64 s[6:7], s[4:5]
	s_cbranch_execz .LBB1_29
; %bb.109:                              ;   in Loop: Header=BB1_30 Depth=1
	global_load_dwordx2 v[2:3], v31, s[10:11] offset:40
	global_load_dwordx2 v[16:17], v31, s[10:11] offset:24 glc
	global_load_dwordx2 v[8:9], v31, s[10:11]
	s_waitcnt vmcnt(2)
	v_readfirstlane_b32 s16, v2
	v_readfirstlane_b32 s17, v3
	s_add_u32 s18, s16, 1
	s_addc_u32 s19, s17, 0
	s_add_u32 s4, s18, s14
	s_addc_u32 s5, s19, s15
	s_cmp_eq_u64 s[4:5], 0
	s_cselect_b32 s5, s19, s5
	s_cselect_b32 s4, s18, s4
	s_and_b64 s[14:15], s[4:5], s[16:17]
	s_mul_i32 s15, s15, 24
	s_mul_hi_u32 s16, s14, 24
	s_mul_i32 s14, s14, 24
	s_add_i32 s15, s16, s15
	v_mov_b32_e32 v3, s15
	s_waitcnt vmcnt(0)
	v_add_co_u32_e32 v2, vcc, s14, v8
	v_addc_co_u32_e32 v3, vcc, v9, v3, vcc
	v_mov_b32_e32 v14, s4
	global_store_dwordx2 v[2:3], v[16:17], off
	v_mov_b32_e32 v15, s5
	s_waitcnt vmcnt(0)
	global_atomic_cmpswap_x2 v[14:15], v31, v[14:17], s[10:11] offset:24 glc
	s_waitcnt vmcnt(0)
	v_cmp_ne_u64_e32 vcc, v[14:15], v[16:17]
	s_and_b64 exec, exec, vcc
	s_cbranch_execz .LBB1_29
; %bb.110:                              ;   in Loop: Header=BB1_30 Depth=1
	s_mov_b64 s[14:15], 0
.LBB1_111:                              ;   Parent Loop BB1_30 Depth=1
                                        ; =>  This Inner Loop Header: Depth=2
	s_sleep 1
	global_store_dwordx2 v[2:3], v[14:15], off
	v_mov_b32_e32 v12, s4
	v_mov_b32_e32 v13, s5
	s_waitcnt vmcnt(0)
	global_atomic_cmpswap_x2 v[8:9], v31, v[12:15], s[10:11] offset:24 glc
	s_waitcnt vmcnt(0)
	v_cmp_eq_u64_e32 vcc, v[8:9], v[14:15]
	v_mov_b32_e32 v15, v9
	s_or_b64 s[14:15], vcc, s[14:15]
	v_mov_b32_e32 v14, v8
	s_andn2_b64 exec, exec, s[14:15]
	s_cbranch_execnz .LBB1_111
	s_branch .LBB1_29
.LBB1_112:
                                        ; implicit-def: $vgpr0_vgpr1
	s_cbranch_execnz .LBB1_114
	s_branch .LBB1_140
.LBB1_113:
	s_or_b64 exec, exec, s[12:13]
	s_branch .LBB1_140
.LBB1_114:
	v_readfirstlane_b32 s4, v34
	v_mov_b32_e32 v9, 0
	v_mov_b32_e32 v10, 0
	v_cmp_eq_u32_e64 s[4:5], s4, v34
	s_and_saveexec_b64 s[6:7], s[4:5]
	s_cbranch_execz .LBB1_120
; %bb.115:
	s_waitcnt vmcnt(0)
	v_mov_b32_e32 v0, 0
	global_load_dwordx2 v[11:12], v0, s[10:11] offset:24 glc
	s_waitcnt vmcnt(0)
	buffer_wbinvl1_vol
	global_load_dwordx2 v[1:2], v0, s[10:11] offset:40
	global_load_dwordx2 v[8:9], v0, s[10:11]
	s_waitcnt vmcnt(1)
	v_and_b32_e32 v1, v1, v11
	v_and_b32_e32 v2, v2, v12
	v_mul_lo_u32 v2, v2, 24
	v_mul_hi_u32 v3, v1, 24
	v_mul_lo_u32 v1, v1, 24
	v_add_u32_e32 v2, v3, v2
	s_waitcnt vmcnt(0)
	v_add_co_u32_e32 v1, vcc, v8, v1
	v_addc_co_u32_e32 v2, vcc, v9, v2, vcc
	global_load_dwordx2 v[9:10], v[1:2], off glc
	s_waitcnt vmcnt(0)
	global_atomic_cmpswap_x2 v[9:10], v0, v[9:12], s[10:11] offset:24 glc
	s_waitcnt vmcnt(0)
	buffer_wbinvl1_vol
	v_cmp_ne_u64_e32 vcc, v[9:10], v[11:12]
	s_and_saveexec_b64 s[12:13], vcc
	s_cbranch_execz .LBB1_119
; %bb.116:
	s_mov_b64 s[14:15], 0
.LBB1_117:                              ; =>This Inner Loop Header: Depth=1
	s_sleep 1
	global_load_dwordx2 v[1:2], v0, s[10:11] offset:40
	global_load_dwordx2 v[13:14], v0, s[10:11]
	v_mov_b32_e32 v12, v10
	v_mov_b32_e32 v11, v9
	s_waitcnt vmcnt(1)
	v_and_b32_e32 v1, v1, v11
	s_waitcnt vmcnt(0)
	v_mad_u64_u32 v[8:9], s[16:17], v1, 24, v[13:14]
	v_and_b32_e32 v2, v2, v12
	v_mov_b32_e32 v1, v9
	v_mad_u64_u32 v[1:2], s[16:17], v2, 24, v[1:2]
	v_mov_b32_e32 v9, v1
	global_load_dwordx2 v[9:10], v[8:9], off glc
	s_waitcnt vmcnt(0)
	global_atomic_cmpswap_x2 v[9:10], v0, v[9:12], s[10:11] offset:24 glc
	s_waitcnt vmcnt(0)
	buffer_wbinvl1_vol
	v_cmp_eq_u64_e32 vcc, v[9:10], v[11:12]
	s_or_b64 s[14:15], vcc, s[14:15]
	s_andn2_b64 exec, exec, s[14:15]
	s_cbranch_execnz .LBB1_117
; %bb.118:
	s_or_b64 exec, exec, s[14:15]
.LBB1_119:
	s_or_b64 exec, exec, s[12:13]
.LBB1_120:
	s_or_b64 exec, exec, s[6:7]
	v_mov_b32_e32 v8, 0
	global_load_dwordx2 v[11:12], v8, s[10:11] offset:40
	global_load_dwordx4 v[0:3], v8, s[10:11]
	v_readfirstlane_b32 s7, v10
	v_readfirstlane_b32 s6, v9
	s_mov_b64 s[12:13], exec
	s_waitcnt vmcnt(1)
	v_readfirstlane_b32 s14, v11
	v_readfirstlane_b32 s15, v12
	s_and_b64 s[14:15], s[14:15], s[6:7]
	s_mul_i32 s16, s15, 24
	s_mul_hi_u32 s17, s14, 24
	s_mul_i32 s18, s14, 24
	s_add_i32 s16, s17, s16
	v_mov_b32_e32 v9, s16
	s_waitcnt vmcnt(0)
	v_add_co_u32_e32 v10, vcc, s18, v0
	v_addc_co_u32_e32 v11, vcc, v1, v9, vcc
	s_and_saveexec_b64 s[16:17], s[4:5]
	s_cbranch_execz .LBB1_122
; %bb.121:
	v_mov_b32_e32 v12, s12
	v_mov_b32_e32 v13, s13
	;; [unrolled: 1-line block ×4, first 2 shown]
	global_store_dwordx4 v[10:11], v[12:15], off offset:8
.LBB1_122:
	s_or_b64 exec, exec, s[16:17]
	s_lshl_b64 s[12:13], s[14:15], 12
	v_mov_b32_e32 v9, s13
	v_add_co_u32_e32 v2, vcc, s12, v2
	v_addc_co_u32_e32 v3, vcc, v3, v9, vcc
	s_movk_i32 s12, 0xff1f
	v_and_or_b32 v6, v6, s12, 32
	s_mov_b32 s12, 0
	v_mov_b32_e32 v9, v8
	v_readfirstlane_b32 s16, v2
	v_readfirstlane_b32 s17, v3
	v_add_co_u32_e32 v12, vcc, v2, v35
	s_mov_b32 s13, s12
	s_mov_b32 s14, s12
	;; [unrolled: 1-line block ×3, first 2 shown]
	s_nop 0
	global_store_dwordx4 v35, v[6:9], s[16:17]
	v_addc_co_u32_e32 v13, vcc, 0, v3, vcc
	v_mov_b32_e32 v6, s12
	v_mov_b32_e32 v7, s13
	;; [unrolled: 1-line block ×4, first 2 shown]
	global_store_dwordx4 v35, v[6:9], s[16:17] offset:16
	global_store_dwordx4 v35, v[6:9], s[16:17] offset:32
	;; [unrolled: 1-line block ×3, first 2 shown]
	s_and_saveexec_b64 s[12:13], s[4:5]
	s_cbranch_execz .LBB1_130
; %bb.123:
	v_mov_b32_e32 v8, 0
	global_load_dwordx2 v[16:17], v8, s[10:11] offset:32 glc
	global_load_dwordx2 v[2:3], v8, s[10:11] offset:40
	v_mov_b32_e32 v14, s6
	v_mov_b32_e32 v15, s7
	s_waitcnt vmcnt(0)
	v_readfirstlane_b32 s14, v2
	v_readfirstlane_b32 s15, v3
	s_and_b64 s[14:15], s[14:15], s[6:7]
	s_mul_i32 s15, s15, 24
	s_mul_hi_u32 s16, s14, 24
	s_mul_i32 s14, s14, 24
	s_add_i32 s15, s16, s15
	v_mov_b32_e32 v2, s15
	v_add_co_u32_e32 v6, vcc, s14, v0
	v_addc_co_u32_e32 v7, vcc, v1, v2, vcc
	global_store_dwordx2 v[6:7], v[16:17], off
	s_waitcnt vmcnt(0)
	global_atomic_cmpswap_x2 v[2:3], v8, v[14:17], s[10:11] offset:32 glc
	s_waitcnt vmcnt(0)
	v_cmp_ne_u64_e32 vcc, v[2:3], v[16:17]
	s_and_saveexec_b64 s[14:15], vcc
	s_cbranch_execz .LBB1_126
; %bb.124:
	s_mov_b64 s[16:17], 0
.LBB1_125:                              ; =>This Inner Loop Header: Depth=1
	s_sleep 1
	global_store_dwordx2 v[6:7], v[2:3], off
	v_mov_b32_e32 v0, s6
	v_mov_b32_e32 v1, s7
	s_waitcnt vmcnt(0)
	global_atomic_cmpswap_x2 v[0:1], v8, v[0:3], s[10:11] offset:32 glc
	s_waitcnt vmcnt(0)
	v_cmp_eq_u64_e32 vcc, v[0:1], v[2:3]
	v_mov_b32_e32 v3, v1
	s_or_b64 s[16:17], vcc, s[16:17]
	v_mov_b32_e32 v2, v0
	s_andn2_b64 exec, exec, s[16:17]
	s_cbranch_execnz .LBB1_125
.LBB1_126:
	s_or_b64 exec, exec, s[14:15]
	v_mov_b32_e32 v3, 0
	global_load_dwordx2 v[0:1], v3, s[10:11] offset:16
	s_mov_b64 s[14:15], exec
	v_mbcnt_lo_u32_b32 v2, s14, 0
	v_mbcnt_hi_u32_b32 v2, s15, v2
	v_cmp_eq_u32_e32 vcc, 0, v2
	s_and_saveexec_b64 s[16:17], vcc
	s_cbranch_execz .LBB1_128
; %bb.127:
	s_bcnt1_i32_b64 s14, s[14:15]
	v_mov_b32_e32 v2, s14
	s_waitcnt vmcnt(0)
	global_atomic_add_x2 v[0:1], v[2:3], off offset:8
.LBB1_128:
	s_or_b64 exec, exec, s[16:17]
	s_waitcnt vmcnt(0)
	global_load_dwordx2 v[2:3], v[0:1], off offset:16
	s_waitcnt vmcnt(0)
	v_cmp_eq_u64_e32 vcc, 0, v[2:3]
	s_cbranch_vccnz .LBB1_130
; %bb.129:
	global_load_dword v0, v[0:1], off offset:24
	v_mov_b32_e32 v1, 0
	s_waitcnt vmcnt(0)
	v_readfirstlane_b32 s14, v0
	s_and_b32 m0, s14, 0xffffff
	global_store_dwordx2 v[2:3], v[0:1], off
	s_sendmsg sendmsg(MSG_INTERRUPT)
.LBB1_130:
	s_or_b64 exec, exec, s[12:13]
	s_branch .LBB1_134
.LBB1_131:                              ;   in Loop: Header=BB1_134 Depth=1
	s_or_b64 exec, exec, s[12:13]
	v_readfirstlane_b32 s12, v0
	s_cmp_eq_u32 s12, 0
	s_cbranch_scc1 .LBB1_133
; %bb.132:                              ;   in Loop: Header=BB1_134 Depth=1
	s_sleep 1
	s_cbranch_execnz .LBB1_134
	s_branch .LBB1_136
.LBB1_133:
	s_branch .LBB1_136
.LBB1_134:                              ; =>This Inner Loop Header: Depth=1
	v_mov_b32_e32 v0, 1
	s_and_saveexec_b64 s[12:13], s[4:5]
	s_cbranch_execz .LBB1_131
; %bb.135:                              ;   in Loop: Header=BB1_134 Depth=1
	global_load_dword v0, v[10:11], off offset:20 glc
	s_waitcnt vmcnt(0)
	buffer_wbinvl1_vol
	v_and_b32_e32 v0, 1, v0
	s_branch .LBB1_131
.LBB1_136:
	global_load_dwordx2 v[0:1], v[12:13], off
	s_and_saveexec_b64 s[12:13], s[4:5]
	s_cbranch_execz .LBB1_139
; %bb.137:
	v_mov_b32_e32 v10, 0
	global_load_dwordx2 v[2:3], v10, s[10:11] offset:40
	global_load_dwordx2 v[13:14], v10, s[10:11] offset:24 glc
	global_load_dwordx2 v[6:7], v10, s[10:11]
	s_waitcnt vmcnt(2)
	v_readfirstlane_b32 s14, v2
	v_readfirstlane_b32 s15, v3
	s_add_u32 s16, s14, 1
	s_addc_u32 s17, s15, 0
	s_add_u32 s4, s16, s6
	s_addc_u32 s5, s17, s7
	s_cmp_eq_u64 s[4:5], 0
	s_cselect_b32 s5, s17, s5
	s_cselect_b32 s4, s16, s4
	s_and_b64 s[6:7], s[4:5], s[14:15]
	s_mul_i32 s7, s7, 24
	s_mul_hi_u32 s14, s6, 24
	s_mul_i32 s6, s6, 24
	s_add_i32 s7, s14, s7
	v_mov_b32_e32 v3, s7
	s_waitcnt vmcnt(0)
	v_add_co_u32_e32 v2, vcc, s6, v6
	v_addc_co_u32_e32 v3, vcc, v7, v3, vcc
	v_mov_b32_e32 v11, s4
	global_store_dwordx2 v[2:3], v[13:14], off
	v_mov_b32_e32 v12, s5
	s_waitcnt vmcnt(0)
	global_atomic_cmpswap_x2 v[8:9], v10, v[11:14], s[10:11] offset:24 glc
	s_mov_b64 s[6:7], 0
	s_waitcnt vmcnt(0)
	v_cmp_ne_u64_e32 vcc, v[8:9], v[13:14]
	s_and_b64 exec, exec, vcc
	s_cbranch_execz .LBB1_139
.LBB1_138:                              ; =>This Inner Loop Header: Depth=1
	s_sleep 1
	global_store_dwordx2 v[2:3], v[8:9], off
	v_mov_b32_e32 v6, s4
	v_mov_b32_e32 v7, s5
	s_waitcnt vmcnt(0)
	global_atomic_cmpswap_x2 v[6:7], v10, v[6:9], s[10:11] offset:24 glc
	s_waitcnt vmcnt(0)
	v_cmp_eq_u64_e32 vcc, v[6:7], v[8:9]
	v_mov_b32_e32 v9, v7
	s_or_b64 s[6:7], vcc, s[6:7]
	v_mov_b32_e32 v8, v6
	s_andn2_b64 exec, exec, s[6:7]
	s_cbranch_execnz .LBB1_138
.LBB1_139:
	s_or_b64 exec, exec, s[12:13]
.LBB1_140:
	s_getpc_b64 s[6:7]
	s_add_u32 s6, s6, .str.4@rel32@lo+4
	s_addc_u32 s7, s7, .str.4@rel32@hi+12
	s_cmp_lg_u64 s[6:7], 0
	s_cbranch_scc0 .LBB1_225
; %bb.141:
	s_getpc_b64 s[4:5]
	s_add_u32 s4, s4, .str.4@rel32@lo+80
	s_addc_u32 s5, s5, .str.4@rel32@hi+88
	s_sub_i32 s12, s4, s6
	s_ashr_i32 s13, s12, 31
	s_waitcnt vmcnt(0)
	v_and_b32_e32 v32, 2, v0
	v_mov_b32_e32 v3, 0
	v_and_b32_e32 v6, -3, v0
	v_mov_b32_e32 v7, v1
	v_mov_b32_e32 v12, 2
	;; [unrolled: 1-line block ×3, first 2 shown]
	s_branch .LBB1_143
.LBB1_142:                              ;   in Loop: Header=BB1_143 Depth=1
	s_or_b64 exec, exec, s[18:19]
	s_sub_u32 s12, s12, s14
	s_subb_u32 s13, s13, s15
	s_add_u32 s6, s6, s14
	s_addc_u32 s7, s7, s15
	s_cmp_lg_u64 s[12:13], 0
	s_cbranch_scc0 .LBB1_226
.LBB1_143:                              ; =>This Loop Header: Depth=1
                                        ;     Child Loop BB1_146 Depth 2
                                        ;     Child Loop BB1_154 Depth 2
                                        ;     Child Loop BB1_162 Depth 2
                                        ;     Child Loop BB1_170 Depth 2
                                        ;     Child Loop BB1_178 Depth 2
                                        ;     Child Loop BB1_186 Depth 2
                                        ;     Child Loop BB1_194 Depth 2
                                        ;     Child Loop BB1_202 Depth 2
                                        ;     Child Loop BB1_210 Depth 2
                                        ;     Child Loop BB1_219 Depth 2
                                        ;     Child Loop BB1_224 Depth 2
	v_cmp_lt_u64_e64 s[4:5], s[12:13], 56
	v_cmp_gt_u64_e64 s[16:17], s[12:13], 7
	s_and_b64 s[4:5], s[4:5], exec
	s_cselect_b32 s15, s13, 0
	s_cselect_b32 s14, s12, 56
	s_add_u32 s4, s6, 8
	s_addc_u32 s5, s7, 0
	s_and_b64 vcc, exec, s[16:17]
	s_cbranch_vccnz .LBB1_147
; %bb.144:                              ;   in Loop: Header=BB1_143 Depth=1
	s_cmp_eq_u64 s[12:13], 0
	s_cbranch_scc1 .LBB1_148
; %bb.145:                              ;   in Loop: Header=BB1_143 Depth=1
	v_mov_b32_e32 v8, 0
	s_lshl_b64 s[4:5], s[14:15], 3
	s_mov_b64 s[16:17], 0
	v_mov_b32_e32 v9, 0
	s_mov_b64 s[18:19], s[6:7]
.LBB1_146:                              ;   Parent Loop BB1_143 Depth=1
                                        ; =>  This Inner Loop Header: Depth=2
	global_load_ubyte v2, v3, s[18:19]
	s_waitcnt vmcnt(0)
	v_and_b32_e32 v2, 0xffff, v2
	v_lshlrev_b64 v[10:11], s16, v[2:3]
	s_add_u32 s16, s16, 8
	s_addc_u32 s17, s17, 0
	s_add_u32 s18, s18, 1
	s_addc_u32 s19, s19, 0
	v_or_b32_e32 v8, v10, v8
	s_cmp_lg_u32 s4, s16
	v_or_b32_e32 v9, v11, v9
	s_cbranch_scc1 .LBB1_146
	s_branch .LBB1_149
.LBB1_147:                              ;   in Loop: Header=BB1_143 Depth=1
	s_mov_b32 s20, 0
	s_branch .LBB1_150
.LBB1_148:                              ;   in Loop: Header=BB1_143 Depth=1
	v_mov_b32_e32 v8, 0
	v_mov_b32_e32 v9, 0
.LBB1_149:                              ;   in Loop: Header=BB1_143 Depth=1
	s_mov_b64 s[4:5], s[6:7]
	s_mov_b32 s20, 0
	s_cbranch_execnz .LBB1_151
.LBB1_150:                              ;   in Loop: Header=BB1_143 Depth=1
	global_load_dwordx2 v[8:9], v3, s[6:7]
	s_add_i32 s20, s14, -8
.LBB1_151:                              ;   in Loop: Header=BB1_143 Depth=1
	s_add_u32 s16, s4, 8
	s_addc_u32 s17, s5, 0
	s_cmp_gt_u32 s20, 7
	s_cbranch_scc1 .LBB1_155
; %bb.152:                              ;   in Loop: Header=BB1_143 Depth=1
	s_cmp_eq_u32 s20, 0
	s_cbranch_scc1 .LBB1_156
; %bb.153:                              ;   in Loop: Header=BB1_143 Depth=1
	v_mov_b32_e32 v14, 0
	s_mov_b64 s[16:17], 0
	v_mov_b32_e32 v15, 0
	s_mov_b64 s[18:19], 0
.LBB1_154:                              ;   Parent Loop BB1_143 Depth=1
                                        ; =>  This Inner Loop Header: Depth=2
	s_add_u32 s22, s4, s18
	s_addc_u32 s23, s5, s19
	global_load_ubyte v2, v3, s[22:23]
	s_add_u32 s18, s18, 1
	s_addc_u32 s19, s19, 0
	s_waitcnt vmcnt(0)
	v_and_b32_e32 v2, 0xffff, v2
	v_lshlrev_b64 v[10:11], s16, v[2:3]
	s_add_u32 s16, s16, 8
	s_addc_u32 s17, s17, 0
	v_or_b32_e32 v14, v10, v14
	s_cmp_lg_u32 s20, s18
	v_or_b32_e32 v15, v11, v15
	s_cbranch_scc1 .LBB1_154
	s_branch .LBB1_157
.LBB1_155:                              ;   in Loop: Header=BB1_143 Depth=1
                                        ; implicit-def: $vgpr14_vgpr15
	s_mov_b32 s21, 0
	s_branch .LBB1_158
.LBB1_156:                              ;   in Loop: Header=BB1_143 Depth=1
	v_mov_b32_e32 v14, 0
	v_mov_b32_e32 v15, 0
.LBB1_157:                              ;   in Loop: Header=BB1_143 Depth=1
	s_mov_b64 s[16:17], s[4:5]
	s_mov_b32 s21, 0
	s_cbranch_execnz .LBB1_159
.LBB1_158:                              ;   in Loop: Header=BB1_143 Depth=1
	global_load_dwordx2 v[14:15], v3, s[4:5]
	s_add_i32 s21, s20, -8
.LBB1_159:                              ;   in Loop: Header=BB1_143 Depth=1
	s_add_u32 s4, s16, 8
	s_addc_u32 s5, s17, 0
	s_cmp_gt_u32 s21, 7
	s_cbranch_scc1 .LBB1_163
; %bb.160:                              ;   in Loop: Header=BB1_143 Depth=1
	s_cmp_eq_u32 s21, 0
	s_cbranch_scc1 .LBB1_164
; %bb.161:                              ;   in Loop: Header=BB1_143 Depth=1
	v_mov_b32_e32 v16, 0
	s_mov_b64 s[4:5], 0
	v_mov_b32_e32 v17, 0
	s_mov_b64 s[18:19], 0
.LBB1_162:                              ;   Parent Loop BB1_143 Depth=1
                                        ; =>  This Inner Loop Header: Depth=2
	s_add_u32 s22, s16, s18
	s_addc_u32 s23, s17, s19
	global_load_ubyte v2, v3, s[22:23]
	s_add_u32 s18, s18, 1
	s_addc_u32 s19, s19, 0
	s_waitcnt vmcnt(0)
	v_and_b32_e32 v2, 0xffff, v2
	v_lshlrev_b64 v[10:11], s4, v[2:3]
	s_add_u32 s4, s4, 8
	s_addc_u32 s5, s5, 0
	v_or_b32_e32 v16, v10, v16
	s_cmp_lg_u32 s21, s18
	v_or_b32_e32 v17, v11, v17
	s_cbranch_scc1 .LBB1_162
	s_branch .LBB1_165
.LBB1_163:                              ;   in Loop: Header=BB1_143 Depth=1
	s_mov_b32 s20, 0
	s_branch .LBB1_166
.LBB1_164:                              ;   in Loop: Header=BB1_143 Depth=1
	v_mov_b32_e32 v16, 0
	v_mov_b32_e32 v17, 0
.LBB1_165:                              ;   in Loop: Header=BB1_143 Depth=1
	s_mov_b64 s[4:5], s[16:17]
	s_mov_b32 s20, 0
	s_cbranch_execnz .LBB1_167
.LBB1_166:                              ;   in Loop: Header=BB1_143 Depth=1
	global_load_dwordx2 v[16:17], v3, s[16:17]
	s_add_i32 s20, s21, -8
.LBB1_167:                              ;   in Loop: Header=BB1_143 Depth=1
	s_add_u32 s16, s4, 8
	s_addc_u32 s17, s5, 0
	s_cmp_gt_u32 s20, 7
	s_cbranch_scc1 .LBB1_171
; %bb.168:                              ;   in Loop: Header=BB1_143 Depth=1
	s_cmp_eq_u32 s20, 0
	s_cbranch_scc1 .LBB1_172
; %bb.169:                              ;   in Loop: Header=BB1_143 Depth=1
	v_mov_b32_e32 v18, 0
	s_mov_b64 s[16:17], 0
	v_mov_b32_e32 v19, 0
	s_mov_b64 s[18:19], 0
.LBB1_170:                              ;   Parent Loop BB1_143 Depth=1
                                        ; =>  This Inner Loop Header: Depth=2
	s_add_u32 s22, s4, s18
	s_addc_u32 s23, s5, s19
	global_load_ubyte v2, v3, s[22:23]
	s_add_u32 s18, s18, 1
	s_addc_u32 s19, s19, 0
	s_waitcnt vmcnt(0)
	v_and_b32_e32 v2, 0xffff, v2
	v_lshlrev_b64 v[10:11], s16, v[2:3]
	s_add_u32 s16, s16, 8
	s_addc_u32 s17, s17, 0
	v_or_b32_e32 v18, v10, v18
	s_cmp_lg_u32 s20, s18
	v_or_b32_e32 v19, v11, v19
	s_cbranch_scc1 .LBB1_170
	s_branch .LBB1_173
.LBB1_171:                              ;   in Loop: Header=BB1_143 Depth=1
                                        ; implicit-def: $vgpr18_vgpr19
	s_mov_b32 s21, 0
	s_branch .LBB1_174
.LBB1_172:                              ;   in Loop: Header=BB1_143 Depth=1
	v_mov_b32_e32 v18, 0
	v_mov_b32_e32 v19, 0
.LBB1_173:                              ;   in Loop: Header=BB1_143 Depth=1
	s_mov_b64 s[16:17], s[4:5]
	s_mov_b32 s21, 0
	s_cbranch_execnz .LBB1_175
.LBB1_174:                              ;   in Loop: Header=BB1_143 Depth=1
	global_load_dwordx2 v[18:19], v3, s[4:5]
	s_add_i32 s21, s20, -8
.LBB1_175:                              ;   in Loop: Header=BB1_143 Depth=1
	s_add_u32 s4, s16, 8
	s_addc_u32 s5, s17, 0
	s_cmp_gt_u32 s21, 7
	s_cbranch_scc1 .LBB1_179
; %bb.176:                              ;   in Loop: Header=BB1_143 Depth=1
	s_cmp_eq_u32 s21, 0
	s_cbranch_scc1 .LBB1_180
; %bb.177:                              ;   in Loop: Header=BB1_143 Depth=1
	v_mov_b32_e32 v20, 0
	s_mov_b64 s[4:5], 0
	v_mov_b32_e32 v21, 0
	s_mov_b64 s[18:19], 0
.LBB1_178:                              ;   Parent Loop BB1_143 Depth=1
                                        ; =>  This Inner Loop Header: Depth=2
	s_add_u32 s22, s16, s18
	s_addc_u32 s23, s17, s19
	global_load_ubyte v2, v3, s[22:23]
	s_add_u32 s18, s18, 1
	s_addc_u32 s19, s19, 0
	s_waitcnt vmcnt(0)
	v_and_b32_e32 v2, 0xffff, v2
	v_lshlrev_b64 v[10:11], s4, v[2:3]
	s_add_u32 s4, s4, 8
	s_addc_u32 s5, s5, 0
	v_or_b32_e32 v20, v10, v20
	s_cmp_lg_u32 s21, s18
	v_or_b32_e32 v21, v11, v21
	s_cbranch_scc1 .LBB1_178
	s_branch .LBB1_181
.LBB1_179:                              ;   in Loop: Header=BB1_143 Depth=1
	s_mov_b32 s20, 0
	s_branch .LBB1_182
.LBB1_180:                              ;   in Loop: Header=BB1_143 Depth=1
	v_mov_b32_e32 v20, 0
	v_mov_b32_e32 v21, 0
.LBB1_181:                              ;   in Loop: Header=BB1_143 Depth=1
	s_mov_b64 s[4:5], s[16:17]
	s_mov_b32 s20, 0
	s_cbranch_execnz .LBB1_183
.LBB1_182:                              ;   in Loop: Header=BB1_143 Depth=1
	global_load_dwordx2 v[20:21], v3, s[16:17]
	s_add_i32 s20, s21, -8
.LBB1_183:                              ;   in Loop: Header=BB1_143 Depth=1
	s_add_u32 s16, s4, 8
	s_addc_u32 s17, s5, 0
	s_cmp_gt_u32 s20, 7
	s_cbranch_scc1 .LBB1_187
; %bb.184:                              ;   in Loop: Header=BB1_143 Depth=1
	s_cmp_eq_u32 s20, 0
	s_cbranch_scc1 .LBB1_188
; %bb.185:                              ;   in Loop: Header=BB1_143 Depth=1
	v_mov_b32_e32 v22, 0
	s_mov_b64 s[16:17], 0
	v_mov_b32_e32 v23, 0
	s_mov_b64 s[18:19], 0
.LBB1_186:                              ;   Parent Loop BB1_143 Depth=1
                                        ; =>  This Inner Loop Header: Depth=2
	s_add_u32 s22, s4, s18
	s_addc_u32 s23, s5, s19
	global_load_ubyte v2, v3, s[22:23]
	s_add_u32 s18, s18, 1
	s_addc_u32 s19, s19, 0
	s_waitcnt vmcnt(0)
	v_and_b32_e32 v2, 0xffff, v2
	v_lshlrev_b64 v[10:11], s16, v[2:3]
	s_add_u32 s16, s16, 8
	s_addc_u32 s17, s17, 0
	v_or_b32_e32 v22, v10, v22
	s_cmp_lg_u32 s20, s18
	v_or_b32_e32 v23, v11, v23
	s_cbranch_scc1 .LBB1_186
	s_branch .LBB1_189
.LBB1_187:                              ;   in Loop: Header=BB1_143 Depth=1
                                        ; implicit-def: $vgpr22_vgpr23
	s_mov_b32 s21, 0
	s_branch .LBB1_190
.LBB1_188:                              ;   in Loop: Header=BB1_143 Depth=1
	v_mov_b32_e32 v22, 0
	v_mov_b32_e32 v23, 0
.LBB1_189:                              ;   in Loop: Header=BB1_143 Depth=1
	s_mov_b64 s[16:17], s[4:5]
	s_mov_b32 s21, 0
	s_cbranch_execnz .LBB1_191
.LBB1_190:                              ;   in Loop: Header=BB1_143 Depth=1
	global_load_dwordx2 v[22:23], v3, s[4:5]
	s_add_i32 s21, s20, -8
.LBB1_191:                              ;   in Loop: Header=BB1_143 Depth=1
	s_cmp_gt_u32 s21, 7
	s_cbranch_scc1 .LBB1_195
; %bb.192:                              ;   in Loop: Header=BB1_143 Depth=1
	s_cmp_eq_u32 s21, 0
	s_cbranch_scc1 .LBB1_196
; %bb.193:                              ;   in Loop: Header=BB1_143 Depth=1
	v_mov_b32_e32 v24, 0
	s_mov_b64 s[4:5], 0
	v_mov_b32_e32 v25, 0
	s_mov_b64 s[18:19], s[16:17]
.LBB1_194:                              ;   Parent Loop BB1_143 Depth=1
                                        ; =>  This Inner Loop Header: Depth=2
	global_load_ubyte v2, v3, s[18:19]
	s_add_i32 s21, s21, -1
	s_waitcnt vmcnt(0)
	v_and_b32_e32 v2, 0xffff, v2
	v_lshlrev_b64 v[10:11], s4, v[2:3]
	s_add_u32 s4, s4, 8
	s_addc_u32 s5, s5, 0
	s_add_u32 s18, s18, 1
	s_addc_u32 s19, s19, 0
	v_or_b32_e32 v24, v10, v24
	s_cmp_lg_u32 s21, 0
	v_or_b32_e32 v25, v11, v25
	s_cbranch_scc1 .LBB1_194
	s_branch .LBB1_197
.LBB1_195:                              ;   in Loop: Header=BB1_143 Depth=1
	s_branch .LBB1_198
.LBB1_196:                              ;   in Loop: Header=BB1_143 Depth=1
	v_mov_b32_e32 v24, 0
	v_mov_b32_e32 v25, 0
.LBB1_197:                              ;   in Loop: Header=BB1_143 Depth=1
	s_cbranch_execnz .LBB1_199
.LBB1_198:                              ;   in Loop: Header=BB1_143 Depth=1
	global_load_dwordx2 v[24:25], v3, s[16:17]
.LBB1_199:                              ;   in Loop: Header=BB1_143 Depth=1
	v_readfirstlane_b32 s4, v34
	v_mov_b32_e32 v10, 0
	v_mov_b32_e32 v11, 0
	v_cmp_eq_u32_e64 s[4:5], s4, v34
	s_and_saveexec_b64 s[16:17], s[4:5]
	s_cbranch_execz .LBB1_205
; %bb.200:                              ;   in Loop: Header=BB1_143 Depth=1
	global_load_dwordx2 v[28:29], v3, s[10:11] offset:24 glc
	s_waitcnt vmcnt(0)
	buffer_wbinvl1_vol
	global_load_dwordx2 v[10:11], v3, s[10:11] offset:40
	global_load_dwordx2 v[26:27], v3, s[10:11]
	s_waitcnt vmcnt(1)
	v_and_b32_e32 v2, v10, v28
	v_and_b32_e32 v10, v11, v29
	v_mul_lo_u32 v10, v10, 24
	v_mul_hi_u32 v11, v2, 24
	v_mul_lo_u32 v2, v2, 24
	v_add_u32_e32 v11, v11, v10
	s_waitcnt vmcnt(0)
	v_add_co_u32_e32 v10, vcc, v26, v2
	v_addc_co_u32_e32 v11, vcc, v27, v11, vcc
	global_load_dwordx2 v[26:27], v[10:11], off glc
	s_waitcnt vmcnt(0)
	global_atomic_cmpswap_x2 v[10:11], v3, v[26:29], s[10:11] offset:24 glc
	s_waitcnt vmcnt(0)
	buffer_wbinvl1_vol
	v_cmp_ne_u64_e32 vcc, v[10:11], v[28:29]
	s_and_saveexec_b64 s[18:19], vcc
	s_cbranch_execz .LBB1_204
; %bb.201:                              ;   in Loop: Header=BB1_143 Depth=1
	s_mov_b64 s[20:21], 0
.LBB1_202:                              ;   Parent Loop BB1_143 Depth=1
                                        ; =>  This Inner Loop Header: Depth=2
	s_sleep 1
	global_load_dwordx2 v[26:27], v3, s[10:11] offset:40
	global_load_dwordx2 v[30:31], v3, s[10:11]
	v_mov_b32_e32 v29, v11
	v_mov_b32_e32 v28, v10
	s_waitcnt vmcnt(1)
	v_and_b32_e32 v2, v26, v28
	s_waitcnt vmcnt(0)
	v_mad_u64_u32 v[10:11], s[22:23], v2, 24, v[30:31]
	v_and_b32_e32 v26, v27, v29
	v_mov_b32_e32 v2, v11
	v_mad_u64_u32 v[26:27], s[22:23], v26, 24, v[2:3]
	v_mov_b32_e32 v11, v26
	global_load_dwordx2 v[26:27], v[10:11], off glc
	s_waitcnt vmcnt(0)
	global_atomic_cmpswap_x2 v[10:11], v3, v[26:29], s[10:11] offset:24 glc
	s_waitcnt vmcnt(0)
	buffer_wbinvl1_vol
	v_cmp_eq_u64_e32 vcc, v[10:11], v[28:29]
	s_or_b64 s[20:21], vcc, s[20:21]
	s_andn2_b64 exec, exec, s[20:21]
	s_cbranch_execnz .LBB1_202
; %bb.203:                              ;   in Loop: Header=BB1_143 Depth=1
	s_or_b64 exec, exec, s[20:21]
.LBB1_204:                              ;   in Loop: Header=BB1_143 Depth=1
	s_or_b64 exec, exec, s[18:19]
.LBB1_205:                              ;   in Loop: Header=BB1_143 Depth=1
	s_or_b64 exec, exec, s[16:17]
	global_load_dwordx2 v[30:31], v3, s[10:11] offset:40
	global_load_dwordx4 v[26:29], v3, s[10:11]
	v_readfirstlane_b32 s17, v11
	v_readfirstlane_b32 s16, v10
	s_mov_b64 s[18:19], exec
	s_waitcnt vmcnt(1)
	v_readfirstlane_b32 s20, v30
	v_readfirstlane_b32 s21, v31
	s_and_b64 s[20:21], s[20:21], s[16:17]
	s_mul_i32 s22, s21, 24
	s_mul_hi_u32 s23, s20, 24
	s_mul_i32 s24, s20, 24
	s_add_i32 s22, s23, s22
	v_mov_b32_e32 v2, s22
	s_waitcnt vmcnt(0)
	v_add_co_u32_e32 v30, vcc, s24, v26
	v_addc_co_u32_e32 v31, vcc, v27, v2, vcc
	s_and_saveexec_b64 s[22:23], s[4:5]
	s_cbranch_execz .LBB1_207
; %bb.206:                              ;   in Loop: Header=BB1_143 Depth=1
	v_mov_b32_e32 v10, s18
	v_mov_b32_e32 v11, s19
	global_store_dwordx4 v[30:31], v[10:13], off offset:8
.LBB1_207:                              ;   in Loop: Header=BB1_143 Depth=1
	s_or_b64 exec, exec, s[22:23]
	s_lshl_b64 s[18:19], s[20:21], 12
	v_mov_b32_e32 v2, s19
	v_add_co_u32_e32 v28, vcc, s18, v28
	v_addc_co_u32_e32 v29, vcc, v29, v2, vcc
	v_cmp_lt_u64_e64 vcc, s[12:13], 57
	s_lshl_b32 s18, s14, 2
	v_cndmask_b32_e32 v2, 0, v32, vcc
	s_add_i32 s18, s18, 28
	v_and_b32_e32 v6, 0xffffff1f, v6
	s_and_b32 s18, s18, 0x1e0
	v_or_b32_e32 v2, v6, v2
	v_or_b32_e32 v6, s18, v2
	v_readfirstlane_b32 s18, v28
	v_readfirstlane_b32 s19, v29
	s_nop 4
	global_store_dwordx4 v35, v[6:9], s[18:19]
	global_store_dwordx4 v35, v[14:17], s[18:19] offset:16
	global_store_dwordx4 v35, v[18:21], s[18:19] offset:32
	;; [unrolled: 1-line block ×3, first 2 shown]
	s_and_saveexec_b64 s[18:19], s[4:5]
	s_cbranch_execz .LBB1_215
; %bb.208:                              ;   in Loop: Header=BB1_143 Depth=1
	global_load_dwordx2 v[16:17], v3, s[10:11] offset:32 glc
	global_load_dwordx2 v[6:7], v3, s[10:11] offset:40
	v_mov_b32_e32 v14, s16
	v_mov_b32_e32 v15, s17
	s_waitcnt vmcnt(0)
	v_readfirstlane_b32 s20, v6
	v_readfirstlane_b32 s21, v7
	s_and_b64 s[20:21], s[20:21], s[16:17]
	s_mul_i32 s21, s21, 24
	s_mul_hi_u32 s22, s20, 24
	s_mul_i32 s20, s20, 24
	s_add_i32 s21, s22, s21
	v_mov_b32_e32 v2, s21
	v_add_co_u32_e32 v10, vcc, s20, v26
	v_addc_co_u32_e32 v11, vcc, v27, v2, vcc
	global_store_dwordx2 v[10:11], v[16:17], off
	s_waitcnt vmcnt(0)
	global_atomic_cmpswap_x2 v[8:9], v3, v[14:17], s[10:11] offset:32 glc
	s_waitcnt vmcnt(0)
	v_cmp_ne_u64_e32 vcc, v[8:9], v[16:17]
	s_and_saveexec_b64 s[20:21], vcc
	s_cbranch_execz .LBB1_211
; %bb.209:                              ;   in Loop: Header=BB1_143 Depth=1
	s_mov_b64 s[22:23], 0
.LBB1_210:                              ;   Parent Loop BB1_143 Depth=1
                                        ; =>  This Inner Loop Header: Depth=2
	s_sleep 1
	global_store_dwordx2 v[10:11], v[8:9], off
	v_mov_b32_e32 v6, s16
	v_mov_b32_e32 v7, s17
	s_waitcnt vmcnt(0)
	global_atomic_cmpswap_x2 v[6:7], v3, v[6:9], s[10:11] offset:32 glc
	s_waitcnt vmcnt(0)
	v_cmp_eq_u64_e32 vcc, v[6:7], v[8:9]
	v_mov_b32_e32 v9, v7
	s_or_b64 s[22:23], vcc, s[22:23]
	v_mov_b32_e32 v8, v6
	s_andn2_b64 exec, exec, s[22:23]
	s_cbranch_execnz .LBB1_210
.LBB1_211:                              ;   in Loop: Header=BB1_143 Depth=1
	s_or_b64 exec, exec, s[20:21]
	global_load_dwordx2 v[6:7], v3, s[10:11] offset:16
	s_mov_b64 s[22:23], exec
	v_mbcnt_lo_u32_b32 v2, s22, 0
	v_mbcnt_hi_u32_b32 v2, s23, v2
	v_cmp_eq_u32_e32 vcc, 0, v2
	s_and_saveexec_b64 s[20:21], vcc
	s_cbranch_execz .LBB1_213
; %bb.212:                              ;   in Loop: Header=BB1_143 Depth=1
	s_bcnt1_i32_b64 s22, s[22:23]
	v_mov_b32_e32 v2, s22
	s_waitcnt vmcnt(0)
	global_atomic_add_x2 v[6:7], v[2:3], off offset:8
.LBB1_213:                              ;   in Loop: Header=BB1_143 Depth=1
	s_or_b64 exec, exec, s[20:21]
	s_waitcnt vmcnt(0)
	global_load_dwordx2 v[8:9], v[6:7], off offset:16
	s_waitcnt vmcnt(0)
	v_cmp_eq_u64_e32 vcc, 0, v[8:9]
	s_cbranch_vccnz .LBB1_215
; %bb.214:                              ;   in Loop: Header=BB1_143 Depth=1
	global_load_dword v2, v[6:7], off offset:24
	s_waitcnt vmcnt(0)
	v_readfirstlane_b32 s20, v2
	s_and_b32 m0, s20, 0xffffff
	global_store_dwordx2 v[8:9], v[2:3], off
	s_sendmsg sendmsg(MSG_INTERRUPT)
.LBB1_215:                              ;   in Loop: Header=BB1_143 Depth=1
	s_or_b64 exec, exec, s[18:19]
	v_add_co_u32_e32 v6, vcc, v28, v35
	v_addc_co_u32_e32 v7, vcc, 0, v29, vcc
	s_branch .LBB1_219
.LBB1_216:                              ;   in Loop: Header=BB1_219 Depth=2
	s_or_b64 exec, exec, s[18:19]
	v_readfirstlane_b32 s18, v2
	s_cmp_eq_u32 s18, 0
	s_cbranch_scc1 .LBB1_218
; %bb.217:                              ;   in Loop: Header=BB1_219 Depth=2
	s_sleep 1
	s_cbranch_execnz .LBB1_219
	s_branch .LBB1_221
.LBB1_218:                              ;   in Loop: Header=BB1_143 Depth=1
	s_branch .LBB1_221
.LBB1_219:                              ;   Parent Loop BB1_143 Depth=1
                                        ; =>  This Inner Loop Header: Depth=2
	v_mov_b32_e32 v2, 1
	s_and_saveexec_b64 s[18:19], s[4:5]
	s_cbranch_execz .LBB1_216
; %bb.220:                              ;   in Loop: Header=BB1_219 Depth=2
	global_load_dword v2, v[30:31], off offset:20 glc
	s_waitcnt vmcnt(0)
	buffer_wbinvl1_vol
	v_and_b32_e32 v2, 1, v2
	s_branch .LBB1_216
.LBB1_221:                              ;   in Loop: Header=BB1_143 Depth=1
	global_load_dwordx2 v[6:7], v[6:7], off
	s_and_saveexec_b64 s[18:19], s[4:5]
	s_cbranch_execz .LBB1_142
; %bb.222:                              ;   in Loop: Header=BB1_143 Depth=1
	global_load_dwordx2 v[8:9], v3, s[10:11] offset:40
	global_load_dwordx2 v[18:19], v3, s[10:11] offset:24 glc
	global_load_dwordx2 v[10:11], v3, s[10:11]
	s_waitcnt vmcnt(2)
	v_readfirstlane_b32 s20, v8
	v_readfirstlane_b32 s21, v9
	s_add_u32 s22, s20, 1
	s_addc_u32 s23, s21, 0
	s_add_u32 s4, s22, s16
	s_addc_u32 s5, s23, s17
	s_cmp_eq_u64 s[4:5], 0
	s_cselect_b32 s5, s23, s5
	s_cselect_b32 s4, s22, s4
	s_and_b64 s[16:17], s[4:5], s[20:21]
	s_mul_i32 s17, s17, 24
	s_mul_hi_u32 s20, s16, 24
	s_mul_i32 s16, s16, 24
	s_add_i32 s17, s20, s17
	v_mov_b32_e32 v2, s17
	s_waitcnt vmcnt(0)
	v_add_co_u32_e32 v14, vcc, s16, v10
	v_addc_co_u32_e32 v15, vcc, v11, v2, vcc
	v_mov_b32_e32 v16, s4
	global_store_dwordx2 v[14:15], v[18:19], off
	v_mov_b32_e32 v17, s5
	s_waitcnt vmcnt(0)
	global_atomic_cmpswap_x2 v[10:11], v3, v[16:19], s[10:11] offset:24 glc
	s_waitcnt vmcnt(0)
	v_cmp_ne_u64_e32 vcc, v[10:11], v[18:19]
	s_and_b64 exec, exec, vcc
	s_cbranch_execz .LBB1_142
; %bb.223:                              ;   in Loop: Header=BB1_143 Depth=1
	s_mov_b64 s[16:17], 0
.LBB1_224:                              ;   Parent Loop BB1_143 Depth=1
                                        ; =>  This Inner Loop Header: Depth=2
	s_sleep 1
	global_store_dwordx2 v[14:15], v[10:11], off
	v_mov_b32_e32 v8, s4
	v_mov_b32_e32 v9, s5
	s_waitcnt vmcnt(0)
	global_atomic_cmpswap_x2 v[8:9], v3, v[8:11], s[10:11] offset:24 glc
	s_waitcnt vmcnt(0)
	v_cmp_eq_u64_e32 vcc, v[8:9], v[10:11]
	v_mov_b32_e32 v11, v9
	s_or_b64 s[16:17], vcc, s[16:17]
	v_mov_b32_e32 v10, v8
	s_andn2_b64 exec, exec, s[16:17]
	s_cbranch_execnz .LBB1_224
	s_branch .LBB1_142
.LBB1_225:
                                        ; implicit-def: $vgpr6_vgpr7
	s_cbranch_execnz .LBB1_227
	s_branch .LBB1_253
.LBB1_226:
	s_branch .LBB1_253
.LBB1_227:
	v_readfirstlane_b32 s4, v34
	v_mov_b32_e32 v10, 0
	v_mov_b32_e32 v11, 0
	v_cmp_eq_u32_e64 s[4:5], s4, v34
	s_and_saveexec_b64 s[6:7], s[4:5]
	s_cbranch_execz .LBB1_233
; %bb.228:
	v_mov_b32_e32 v2, 0
	global_load_dwordx2 v[8:9], v2, s[10:11] offset:24 glc
	s_waitcnt vmcnt(0)
	buffer_wbinvl1_vol
	global_load_dwordx2 v[6:7], v2, s[10:11] offset:40
	global_load_dwordx2 v[10:11], v2, s[10:11]
	s_waitcnt vmcnt(1)
	v_and_b32_e32 v3, v6, v8
	v_and_b32_e32 v6, v7, v9
	v_mul_lo_u32 v6, v6, 24
	v_mul_hi_u32 v7, v3, 24
	v_mul_lo_u32 v3, v3, 24
	v_add_u32_e32 v7, v7, v6
	s_waitcnt vmcnt(0)
	v_add_co_u32_e32 v6, vcc, v10, v3
	v_addc_co_u32_e32 v7, vcc, v11, v7, vcc
	global_load_dwordx2 v[6:7], v[6:7], off glc
	s_waitcnt vmcnt(0)
	global_atomic_cmpswap_x2 v[10:11], v2, v[6:9], s[10:11] offset:24 glc
	s_waitcnt vmcnt(0)
	buffer_wbinvl1_vol
	v_cmp_ne_u64_e32 vcc, v[10:11], v[8:9]
	s_and_saveexec_b64 s[12:13], vcc
	s_cbranch_execz .LBB1_232
; %bb.229:
	s_mov_b64 s[14:15], 0
.LBB1_230:                              ; =>This Inner Loop Header: Depth=1
	s_sleep 1
	global_load_dwordx2 v[6:7], v2, s[10:11] offset:40
	global_load_dwordx2 v[12:13], v2, s[10:11]
	v_mov_b32_e32 v8, v10
	v_mov_b32_e32 v9, v11
	s_waitcnt vmcnt(1)
	v_and_b32_e32 v3, v6, v8
	s_waitcnt vmcnt(0)
	v_mad_u64_u32 v[10:11], s[16:17], v3, 24, v[12:13]
	v_and_b32_e32 v6, v7, v9
	v_mov_b32_e32 v3, v11
	v_mad_u64_u32 v[6:7], s[16:17], v6, 24, v[3:4]
	v_mov_b32_e32 v11, v6
	global_load_dwordx2 v[6:7], v[10:11], off glc
	s_waitcnt vmcnt(0)
	global_atomic_cmpswap_x2 v[10:11], v2, v[6:9], s[10:11] offset:24 glc
	s_waitcnt vmcnt(0)
	buffer_wbinvl1_vol
	v_cmp_eq_u64_e32 vcc, v[10:11], v[8:9]
	s_or_b64 s[14:15], vcc, s[14:15]
	s_andn2_b64 exec, exec, s[14:15]
	s_cbranch_execnz .LBB1_230
; %bb.231:
	s_or_b64 exec, exec, s[14:15]
.LBB1_232:
	s_or_b64 exec, exec, s[12:13]
.LBB1_233:
	s_or_b64 exec, exec, s[6:7]
	v_mov_b32_e32 v2, 0
	global_load_dwordx2 v[12:13], v2, s[10:11] offset:40
	global_load_dwordx4 v[6:9], v2, s[10:11]
	v_readfirstlane_b32 s7, v11
	v_readfirstlane_b32 s6, v10
	s_mov_b64 s[12:13], exec
	s_waitcnt vmcnt(1)
	v_readfirstlane_b32 s14, v12
	v_readfirstlane_b32 s15, v13
	s_and_b64 s[14:15], s[14:15], s[6:7]
	s_mul_i32 s16, s15, 24
	s_mul_hi_u32 s17, s14, 24
	s_mul_i32 s18, s14, 24
	s_add_i32 s16, s17, s16
	v_mov_b32_e32 v3, s16
	s_waitcnt vmcnt(0)
	v_add_co_u32_e32 v10, vcc, s18, v6
	v_addc_co_u32_e32 v11, vcc, v7, v3, vcc
	s_and_saveexec_b64 s[16:17], s[4:5]
	s_cbranch_execz .LBB1_235
; %bb.234:
	v_mov_b32_e32 v12, s12
	v_mov_b32_e32 v13, s13
	v_mov_b32_e32 v14, 2
	v_mov_b32_e32 v15, 1
	global_store_dwordx4 v[10:11], v[12:15], off offset:8
.LBB1_235:
	s_or_b64 exec, exec, s[16:17]
	s_lshl_b64 s[12:13], s[14:15], 12
	v_mov_b32_e32 v3, s13
	v_add_co_u32_e32 v12, vcc, s12, v8
	v_addc_co_u32_e32 v13, vcc, v9, v3, vcc
	s_movk_i32 s12, 0xff1f
	v_and_or_b32 v0, v0, s12, 32
	s_mov_b32 s12, 0
	v_mov_b32_e32 v3, v2
	v_readfirstlane_b32 s16, v12
	v_readfirstlane_b32 s17, v13
	v_add_co_u32_e32 v8, vcc, v12, v35
	s_mov_b32 s13, s12
	s_mov_b32 s14, s12
	;; [unrolled: 1-line block ×3, first 2 shown]
	s_nop 0
	global_store_dwordx4 v35, v[0:3], s[16:17]
	v_addc_co_u32_e32 v9, vcc, 0, v13, vcc
	v_mov_b32_e32 v0, s12
	v_mov_b32_e32 v1, s13
	;; [unrolled: 1-line block ×4, first 2 shown]
	global_store_dwordx4 v35, v[0:3], s[16:17] offset:16
	global_store_dwordx4 v35, v[0:3], s[16:17] offset:32
	;; [unrolled: 1-line block ×3, first 2 shown]
	s_and_saveexec_b64 s[12:13], s[4:5]
	s_cbranch_execz .LBB1_243
; %bb.236:
	v_mov_b32_e32 v12, 0
	global_load_dwordx2 v[15:16], v12, s[10:11] offset:32 glc
	global_load_dwordx2 v[0:1], v12, s[10:11] offset:40
	v_mov_b32_e32 v13, s6
	v_mov_b32_e32 v14, s7
	s_waitcnt vmcnt(0)
	v_readfirstlane_b32 s14, v0
	v_readfirstlane_b32 s15, v1
	s_and_b64 s[14:15], s[14:15], s[6:7]
	s_mul_i32 s15, s15, 24
	s_mul_hi_u32 s16, s14, 24
	s_mul_i32 s14, s14, 24
	s_add_i32 s15, s16, s15
	v_mov_b32_e32 v0, s15
	v_add_co_u32_e32 v6, vcc, s14, v6
	v_addc_co_u32_e32 v7, vcc, v7, v0, vcc
	global_store_dwordx2 v[6:7], v[15:16], off
	s_waitcnt vmcnt(0)
	global_atomic_cmpswap_x2 v[2:3], v12, v[13:16], s[10:11] offset:32 glc
	s_waitcnt vmcnt(0)
	v_cmp_ne_u64_e32 vcc, v[2:3], v[15:16]
	s_and_saveexec_b64 s[14:15], vcc
	s_cbranch_execz .LBB1_239
; %bb.237:
	s_mov_b64 s[16:17], 0
.LBB1_238:                              ; =>This Inner Loop Header: Depth=1
	s_sleep 1
	global_store_dwordx2 v[6:7], v[2:3], off
	v_mov_b32_e32 v0, s6
	v_mov_b32_e32 v1, s7
	s_waitcnt vmcnt(0)
	global_atomic_cmpswap_x2 v[0:1], v12, v[0:3], s[10:11] offset:32 glc
	s_waitcnt vmcnt(0)
	v_cmp_eq_u64_e32 vcc, v[0:1], v[2:3]
	v_mov_b32_e32 v3, v1
	s_or_b64 s[16:17], vcc, s[16:17]
	v_mov_b32_e32 v2, v0
	s_andn2_b64 exec, exec, s[16:17]
	s_cbranch_execnz .LBB1_238
.LBB1_239:
	s_or_b64 exec, exec, s[14:15]
	v_mov_b32_e32 v3, 0
	global_load_dwordx2 v[0:1], v3, s[10:11] offset:16
	s_mov_b64 s[14:15], exec
	v_mbcnt_lo_u32_b32 v2, s14, 0
	v_mbcnt_hi_u32_b32 v2, s15, v2
	v_cmp_eq_u32_e32 vcc, 0, v2
	s_and_saveexec_b64 s[16:17], vcc
	s_cbranch_execz .LBB1_241
; %bb.240:
	s_bcnt1_i32_b64 s14, s[14:15]
	v_mov_b32_e32 v2, s14
	s_waitcnt vmcnt(0)
	global_atomic_add_x2 v[0:1], v[2:3], off offset:8
.LBB1_241:
	s_or_b64 exec, exec, s[16:17]
	s_waitcnt vmcnt(0)
	global_load_dwordx2 v[2:3], v[0:1], off offset:16
	s_waitcnt vmcnt(0)
	v_cmp_eq_u64_e32 vcc, 0, v[2:3]
	s_cbranch_vccnz .LBB1_243
; %bb.242:
	global_load_dword v0, v[0:1], off offset:24
	v_mov_b32_e32 v1, 0
	s_waitcnt vmcnt(0)
	v_readfirstlane_b32 s14, v0
	s_and_b32 m0, s14, 0xffffff
	global_store_dwordx2 v[2:3], v[0:1], off
	s_sendmsg sendmsg(MSG_INTERRUPT)
.LBB1_243:
	s_or_b64 exec, exec, s[12:13]
	s_branch .LBB1_247
.LBB1_244:                              ;   in Loop: Header=BB1_247 Depth=1
	s_or_b64 exec, exec, s[12:13]
	v_readfirstlane_b32 s12, v0
	s_cmp_eq_u32 s12, 0
	s_cbranch_scc1 .LBB1_246
; %bb.245:                              ;   in Loop: Header=BB1_247 Depth=1
	s_sleep 1
	s_cbranch_execnz .LBB1_247
	s_branch .LBB1_249
.LBB1_246:
	s_branch .LBB1_249
.LBB1_247:                              ; =>This Inner Loop Header: Depth=1
	v_mov_b32_e32 v0, 1
	s_and_saveexec_b64 s[12:13], s[4:5]
	s_cbranch_execz .LBB1_244
; %bb.248:                              ;   in Loop: Header=BB1_247 Depth=1
	global_load_dword v0, v[10:11], off offset:20 glc
	s_waitcnt vmcnt(0)
	buffer_wbinvl1_vol
	v_and_b32_e32 v0, 1, v0
	s_branch .LBB1_244
.LBB1_249:
	global_load_dwordx2 v[6:7], v[8:9], off
	s_and_saveexec_b64 s[12:13], s[4:5]
	s_cbranch_execz .LBB1_252
; %bb.250:
	v_mov_b32_e32 v10, 0
	global_load_dwordx2 v[0:1], v10, s[10:11] offset:40
	global_load_dwordx2 v[13:14], v10, s[10:11] offset:24 glc
	global_load_dwordx2 v[2:3], v10, s[10:11]
	s_waitcnt vmcnt(2)
	v_readfirstlane_b32 s14, v0
	v_readfirstlane_b32 s15, v1
	s_add_u32 s16, s14, 1
	s_addc_u32 s17, s15, 0
	s_add_u32 s4, s16, s6
	s_addc_u32 s5, s17, s7
	s_cmp_eq_u64 s[4:5], 0
	s_cselect_b32 s5, s17, s5
	s_cselect_b32 s4, s16, s4
	s_and_b64 s[6:7], s[4:5], s[14:15]
	s_mul_i32 s7, s7, 24
	s_mul_hi_u32 s14, s6, 24
	s_mul_i32 s6, s6, 24
	s_add_i32 s7, s14, s7
	v_mov_b32_e32 v0, s7
	s_waitcnt vmcnt(0)
	v_add_co_u32_e32 v8, vcc, s6, v2
	v_addc_co_u32_e32 v9, vcc, v3, v0, vcc
	v_mov_b32_e32 v11, s4
	global_store_dwordx2 v[8:9], v[13:14], off
	v_mov_b32_e32 v12, s5
	s_waitcnt vmcnt(0)
	global_atomic_cmpswap_x2 v[2:3], v10, v[11:14], s[10:11] offset:24 glc
	s_mov_b64 s[6:7], 0
	s_waitcnt vmcnt(0)
	v_cmp_ne_u64_e32 vcc, v[2:3], v[13:14]
	s_and_b64 exec, exec, vcc
	s_cbranch_execz .LBB1_252
.LBB1_251:                              ; =>This Inner Loop Header: Depth=1
	s_sleep 1
	global_store_dwordx2 v[8:9], v[2:3], off
	v_mov_b32_e32 v0, s4
	v_mov_b32_e32 v1, s5
	s_waitcnt vmcnt(0)
	global_atomic_cmpswap_x2 v[0:1], v10, v[0:3], s[10:11] offset:24 glc
	s_waitcnt vmcnt(0)
	v_cmp_eq_u64_e32 vcc, v[0:1], v[2:3]
	v_mov_b32_e32 v3, v1
	s_or_b64 s[6:7], vcc, s[6:7]
	v_mov_b32_e32 v2, v0
	s_andn2_b64 exec, exec, s[6:7]
	s_cbranch_execnz .LBB1_251
.LBB1_252:
	s_or_b64 exec, exec, s[12:13]
.LBB1_253:
	v_readfirstlane_b32 s4, v34
	v_mov_b32_e32 v10, 0
	v_mov_b32_e32 v11, 0
	v_cmp_eq_u32_e64 s[4:5], s4, v34
	s_and_saveexec_b64 s[6:7], s[4:5]
	s_cbranch_execz .LBB1_259
; %bb.254:
	s_waitcnt vmcnt(0)
	v_mov_b32_e32 v0, 0
	global_load_dwordx2 v[12:13], v0, s[10:11] offset:24 glc
	s_waitcnt vmcnt(0)
	buffer_wbinvl1_vol
	global_load_dwordx2 v[1:2], v0, s[10:11] offset:40
	global_load_dwordx2 v[8:9], v0, s[10:11]
	s_waitcnt vmcnt(1)
	v_and_b32_e32 v1, v1, v12
	v_and_b32_e32 v2, v2, v13
	v_mul_lo_u32 v2, v2, 24
	v_mul_hi_u32 v3, v1, 24
	v_mul_lo_u32 v1, v1, 24
	v_add_u32_e32 v2, v3, v2
	s_waitcnt vmcnt(0)
	v_add_co_u32_e32 v1, vcc, v8, v1
	v_addc_co_u32_e32 v2, vcc, v9, v2, vcc
	global_load_dwordx2 v[10:11], v[1:2], off glc
	s_waitcnt vmcnt(0)
	global_atomic_cmpswap_x2 v[10:11], v0, v[10:13], s[10:11] offset:24 glc
	s_waitcnt vmcnt(0)
	buffer_wbinvl1_vol
	v_cmp_ne_u64_e32 vcc, v[10:11], v[12:13]
	s_and_saveexec_b64 s[12:13], vcc
	s_cbranch_execz .LBB1_258
; %bb.255:
	s_mov_b64 s[14:15], 0
.LBB1_256:                              ; =>This Inner Loop Header: Depth=1
	s_sleep 1
	global_load_dwordx2 v[1:2], v0, s[10:11] offset:40
	global_load_dwordx2 v[8:9], v0, s[10:11]
	v_mov_b32_e32 v13, v11
	v_mov_b32_e32 v12, v10
	s_waitcnt vmcnt(1)
	v_and_b32_e32 v1, v1, v12
	s_waitcnt vmcnt(0)
	v_mad_u64_u32 v[8:9], s[16:17], v1, 24, v[8:9]
	v_and_b32_e32 v2, v2, v13
	v_mov_b32_e32 v1, v9
	v_mad_u64_u32 v[1:2], s[16:17], v2, 24, v[1:2]
	v_mov_b32_e32 v9, v1
	global_load_dwordx2 v[10:11], v[8:9], off glc
	s_waitcnt vmcnt(0)
	global_atomic_cmpswap_x2 v[10:11], v0, v[10:13], s[10:11] offset:24 glc
	s_waitcnt vmcnt(0)
	buffer_wbinvl1_vol
	v_cmp_eq_u64_e32 vcc, v[10:11], v[12:13]
	s_or_b64 s[14:15], vcc, s[14:15]
	s_andn2_b64 exec, exec, s[14:15]
	s_cbranch_execnz .LBB1_256
; %bb.257:
	s_or_b64 exec, exec, s[14:15]
.LBB1_258:
	s_or_b64 exec, exec, s[12:13]
.LBB1_259:
	s_or_b64 exec, exec, s[6:7]
	v_mov_b32_e32 v9, 0
	global_load_dwordx2 v[12:13], v9, s[10:11] offset:40
	global_load_dwordx4 v[0:3], v9, s[10:11]
	v_readfirstlane_b32 s7, v11
	v_readfirstlane_b32 s6, v10
	s_mov_b64 s[12:13], exec
	s_waitcnt vmcnt(1)
	v_readfirstlane_b32 s14, v12
	v_readfirstlane_b32 s15, v13
	s_and_b64 s[14:15], s[14:15], s[6:7]
	s_mul_i32 s16, s15, 24
	s_mul_hi_u32 s17, s14, 24
	s_mul_i32 s18, s14, 24
	s_add_i32 s16, s17, s16
	v_mov_b32_e32 v8, s16
	s_waitcnt vmcnt(0)
	v_add_co_u32_e32 v10, vcc, s18, v0
	v_addc_co_u32_e32 v11, vcc, v1, v8, vcc
	s_and_saveexec_b64 s[16:17], s[4:5]
	s_cbranch_execz .LBB1_261
; %bb.260:
	v_mov_b32_e32 v12, s12
	v_mov_b32_e32 v13, s13
	v_mov_b32_e32 v14, 2
	v_mov_b32_e32 v15, 1
	global_store_dwordx4 v[10:11], v[12:15], off offset:8
.LBB1_261:
	s_or_b64 exec, exec, s[16:17]
	s_lshl_b64 s[12:13], s[14:15], 12
	v_mov_b32_e32 v8, s13
	v_add_co_u32_e32 v2, vcc, s12, v2
	v_addc_co_u32_e32 v3, vcc, v3, v8, vcc
	s_movk_i32 s12, 0xff1f
	v_and_or_b32 v6, v6, s12, 32
	s_mov_b32 s12, 0
	v_mov_b32_e32 v8, 0x331
	v_readfirstlane_b32 s16, v2
	v_readfirstlane_b32 s17, v3
	v_add_co_u32_e32 v12, vcc, v2, v35
	s_mov_b32 s13, s12
	s_mov_b32 s14, s12
	;; [unrolled: 1-line block ×3, first 2 shown]
	s_nop 0
	global_store_dwordx4 v35, v[6:9], s[16:17]
	v_addc_co_u32_e32 v13, vcc, 0, v3, vcc
	v_mov_b32_e32 v6, s12
	v_mov_b32_e32 v7, s13
	;; [unrolled: 1-line block ×4, first 2 shown]
	global_store_dwordx4 v35, v[6:9], s[16:17] offset:16
	global_store_dwordx4 v35, v[6:9], s[16:17] offset:32
	;; [unrolled: 1-line block ×3, first 2 shown]
	s_and_saveexec_b64 s[12:13], s[4:5]
	s_cbranch_execz .LBB1_269
; %bb.262:
	v_mov_b32_e32 v8, 0
	global_load_dwordx2 v[16:17], v8, s[10:11] offset:32 glc
	global_load_dwordx2 v[2:3], v8, s[10:11] offset:40
	v_mov_b32_e32 v14, s6
	v_mov_b32_e32 v15, s7
	s_waitcnt vmcnt(0)
	v_readfirstlane_b32 s14, v2
	v_readfirstlane_b32 s15, v3
	s_and_b64 s[14:15], s[14:15], s[6:7]
	s_mul_i32 s15, s15, 24
	s_mul_hi_u32 s16, s14, 24
	s_mul_i32 s14, s14, 24
	s_add_i32 s15, s16, s15
	v_mov_b32_e32 v2, s15
	v_add_co_u32_e32 v6, vcc, s14, v0
	v_addc_co_u32_e32 v7, vcc, v1, v2, vcc
	global_store_dwordx2 v[6:7], v[16:17], off
	s_waitcnt vmcnt(0)
	global_atomic_cmpswap_x2 v[2:3], v8, v[14:17], s[10:11] offset:32 glc
	s_waitcnt vmcnt(0)
	v_cmp_ne_u64_e32 vcc, v[2:3], v[16:17]
	s_and_saveexec_b64 s[14:15], vcc
	s_cbranch_execz .LBB1_265
; %bb.263:
	s_mov_b64 s[16:17], 0
.LBB1_264:                              ; =>This Inner Loop Header: Depth=1
	s_sleep 1
	global_store_dwordx2 v[6:7], v[2:3], off
	v_mov_b32_e32 v0, s6
	v_mov_b32_e32 v1, s7
	s_waitcnt vmcnt(0)
	global_atomic_cmpswap_x2 v[0:1], v8, v[0:3], s[10:11] offset:32 glc
	s_waitcnt vmcnt(0)
	v_cmp_eq_u64_e32 vcc, v[0:1], v[2:3]
	v_mov_b32_e32 v3, v1
	s_or_b64 s[16:17], vcc, s[16:17]
	v_mov_b32_e32 v2, v0
	s_andn2_b64 exec, exec, s[16:17]
	s_cbranch_execnz .LBB1_264
.LBB1_265:
	s_or_b64 exec, exec, s[14:15]
	v_mov_b32_e32 v3, 0
	global_load_dwordx2 v[0:1], v3, s[10:11] offset:16
	s_mov_b64 s[14:15], exec
	v_mbcnt_lo_u32_b32 v2, s14, 0
	v_mbcnt_hi_u32_b32 v2, s15, v2
	v_cmp_eq_u32_e32 vcc, 0, v2
	s_and_saveexec_b64 s[16:17], vcc
	s_cbranch_execz .LBB1_267
; %bb.266:
	s_bcnt1_i32_b64 s14, s[14:15]
	v_mov_b32_e32 v2, s14
	s_waitcnt vmcnt(0)
	global_atomic_add_x2 v[0:1], v[2:3], off offset:8
.LBB1_267:
	s_or_b64 exec, exec, s[16:17]
	s_waitcnt vmcnt(0)
	global_load_dwordx2 v[2:3], v[0:1], off offset:16
	s_waitcnt vmcnt(0)
	v_cmp_eq_u64_e32 vcc, 0, v[2:3]
	s_cbranch_vccnz .LBB1_269
; %bb.268:
	global_load_dword v0, v[0:1], off offset:24
	v_mov_b32_e32 v1, 0
	s_waitcnt vmcnt(0)
	v_readfirstlane_b32 s14, v0
	s_and_b32 m0, s14, 0xffffff
	global_store_dwordx2 v[2:3], v[0:1], off
	s_sendmsg sendmsg(MSG_INTERRUPT)
.LBB1_269:
	s_or_b64 exec, exec, s[12:13]
	s_branch .LBB1_273
.LBB1_270:                              ;   in Loop: Header=BB1_273 Depth=1
	s_or_b64 exec, exec, s[12:13]
	v_readfirstlane_b32 s12, v0
	s_cmp_eq_u32 s12, 0
	s_cbranch_scc1 .LBB1_272
; %bb.271:                              ;   in Loop: Header=BB1_273 Depth=1
	s_sleep 1
	s_cbranch_execnz .LBB1_273
	s_branch .LBB1_275
.LBB1_272:
	s_branch .LBB1_275
.LBB1_273:                              ; =>This Inner Loop Header: Depth=1
	v_mov_b32_e32 v0, 1
	s_and_saveexec_b64 s[12:13], s[4:5]
	s_cbranch_execz .LBB1_270
; %bb.274:                              ;   in Loop: Header=BB1_273 Depth=1
	global_load_dword v0, v[10:11], off offset:20 glc
	s_waitcnt vmcnt(0)
	buffer_wbinvl1_vol
	v_and_b32_e32 v0, 1, v0
	s_branch .LBB1_270
.LBB1_275:
	global_load_dwordx2 v[0:1], v[12:13], off
	s_and_saveexec_b64 s[12:13], s[4:5]
	s_cbranch_execz .LBB1_278
; %bb.276:
	v_mov_b32_e32 v10, 0
	global_load_dwordx2 v[2:3], v10, s[10:11] offset:40
	global_load_dwordx2 v[13:14], v10, s[10:11] offset:24 glc
	global_load_dwordx2 v[6:7], v10, s[10:11]
	s_waitcnt vmcnt(2)
	v_readfirstlane_b32 s14, v2
	v_readfirstlane_b32 s15, v3
	s_add_u32 s16, s14, 1
	s_addc_u32 s17, s15, 0
	s_add_u32 s4, s16, s6
	s_addc_u32 s5, s17, s7
	s_cmp_eq_u64 s[4:5], 0
	s_cselect_b32 s5, s17, s5
	s_cselect_b32 s4, s16, s4
	s_and_b64 s[6:7], s[4:5], s[14:15]
	s_mul_i32 s7, s7, 24
	s_mul_hi_u32 s14, s6, 24
	s_mul_i32 s6, s6, 24
	s_add_i32 s7, s14, s7
	v_mov_b32_e32 v3, s7
	s_waitcnt vmcnt(0)
	v_add_co_u32_e32 v2, vcc, s6, v6
	v_addc_co_u32_e32 v3, vcc, v7, v3, vcc
	v_mov_b32_e32 v11, s4
	global_store_dwordx2 v[2:3], v[13:14], off
	v_mov_b32_e32 v12, s5
	s_waitcnt vmcnt(0)
	global_atomic_cmpswap_x2 v[8:9], v10, v[11:14], s[10:11] offset:24 glc
	s_mov_b64 s[6:7], 0
	s_waitcnt vmcnt(0)
	v_cmp_ne_u64_e32 vcc, v[8:9], v[13:14]
	s_and_b64 exec, exec, vcc
	s_cbranch_execz .LBB1_278
.LBB1_277:                              ; =>This Inner Loop Header: Depth=1
	s_sleep 1
	global_store_dwordx2 v[2:3], v[8:9], off
	v_mov_b32_e32 v6, s4
	v_mov_b32_e32 v7, s5
	s_waitcnt vmcnt(0)
	global_atomic_cmpswap_x2 v[6:7], v10, v[6:9], s[10:11] offset:24 glc
	s_waitcnt vmcnt(0)
	v_cmp_eq_u64_e32 vcc, v[6:7], v[8:9]
	v_mov_b32_e32 v9, v7
	s_or_b64 s[6:7], vcc, s[6:7]
	v_mov_b32_e32 v8, v6
	s_andn2_b64 exec, exec, s[6:7]
	s_cbranch_execnz .LBB1_277
.LBB1_278:
	s_or_b64 exec, exec, s[12:13]
	v_mov_b32_e32 v7, v5
	s_mov_b64 s[4:5], 0
	v_mov_b32_e32 v6, v4
.LBB1_279:                              ; =>This Inner Loop Header: Depth=1
	global_load_ubyte v8, v[6:7], off
	v_add_co_u32_e32 v2, vcc, 1, v6
	v_addc_co_u32_e32 v3, vcc, 0, v7, vcc
	v_mov_b32_e32 v7, v3
	v_mov_b32_e32 v6, v2
	s_waitcnt vmcnt(0)
	v_cmp_eq_u16_e32 vcc, 0, v8
	s_or_b64 s[4:5], vcc, s[4:5]
	s_andn2_b64 exec, exec, s[4:5]
	s_cbranch_execnz .LBB1_279
; %bb.280:
	s_or_b64 exec, exec, s[4:5]
	v_cmp_ne_u64_e32 vcc, 0, v[4:5]
	s_mov_b64 s[12:13], 0
	s_and_saveexec_b64 s[4:5], vcc
	s_xor_b64 s[6:7], exec, s[4:5]
	s_cbranch_execz .LBB1_366
; %bb.281:
	v_sub_u32_e32 v26, v2, v4
	v_ashrrev_i32_e32 v27, 31, v26
	v_and_b32_e32 v36, 2, v0
	v_mov_b32_e32 v29, 0
	v_and_b32_e32 v0, -3, v0
	s_mov_b32 s22, 0
	s_movk_i32 s23, 0x1e0
	v_mov_b32_e32 v8, 2
	v_mov_b32_e32 v9, 1
	s_branch .LBB1_283
.LBB1_282:                              ;   in Loop: Header=BB1_283 Depth=1
	s_or_b64 exec, exec, s[16:17]
	v_sub_co_u32_e32 v26, vcc, v26, v30
	v_subb_co_u32_e32 v27, vcc, v27, v31, vcc
	v_cmp_eq_u64_e32 vcc, 0, v[26:27]
	s_or_b64 s[12:13], vcc, s[12:13]
	v_add_co_u32_e32 v4, vcc, v4, v30
	v_addc_co_u32_e32 v5, vcc, v5, v31, vcc
	s_andn2_b64 exec, exec, s[12:13]
	s_cbranch_execz .LBB1_365
.LBB1_283:                              ; =>This Loop Header: Depth=1
                                        ;     Child Loop BB1_286 Depth 2
                                        ;     Child Loop BB1_294 Depth 2
	;; [unrolled: 1-line block ×11, first 2 shown]
	v_cmp_gt_u64_e32 vcc, 56, v[26:27]
	v_add_co_u32_e64 v12, s[4:5], 8, v4
	v_cndmask_b32_e32 v31, 0, v27, vcc
	v_cndmask_b32_e32 v30, 56, v26, vcc
	v_cmp_gt_u64_e32 vcc, 8, v[26:27]
	v_addc_co_u32_e64 v13, s[4:5], 0, v5, s[4:5]
	s_and_saveexec_b64 s[4:5], vcc
	s_xor_b64 s[4:5], exec, s[4:5]
	s_cbranch_execz .LBB1_289
; %bb.284:                              ;   in Loop: Header=BB1_283 Depth=1
	v_mov_b32_e32 v2, 0
	v_cmp_ne_u64_e32 vcc, 0, v[26:27]
	v_mov_b32_e32 v3, 0
	s_and_saveexec_b64 s[14:15], vcc
	s_cbranch_execz .LBB1_288
; %bb.285:                              ;   in Loop: Header=BB1_283 Depth=1
	v_lshlrev_b64 v[6:7], 3, v[30:31]
	v_mov_b32_e32 v2, 0
	v_mov_b32_e32 v11, v5
	s_mov_b64 s[16:17], 0
	v_mov_b32_e32 v3, 0
	v_mov_b32_e32 v10, v4
	s_mov_b64 s[18:19], 0
.LBB1_286:                              ;   Parent Loop BB1_283 Depth=1
                                        ; =>  This Inner Loop Header: Depth=2
	global_load_ubyte v7, v[10:11], off
	v_mov_b32_e32 v13, s22
	v_add_co_u32_e32 v10, vcc, 1, v10
	v_addc_co_u32_e32 v11, vcc, 0, v11, vcc
	s_waitcnt vmcnt(0)
	v_and_b32_e32 v12, 0xffff, v7
	v_lshlrev_b64 v[12:13], s18, v[12:13]
	s_add_u32 s18, s18, 8
	s_addc_u32 s19, s19, 0
	v_cmp_eq_u32_e32 vcc, s18, v6
	v_or_b32_e32 v3, v13, v3
	s_or_b64 s[16:17], vcc, s[16:17]
	v_or_b32_e32 v2, v12, v2
	s_andn2_b64 exec, exec, s[16:17]
	s_cbranch_execnz .LBB1_286
; %bb.287:                              ;   in Loop: Header=BB1_283 Depth=1
	s_or_b64 exec, exec, s[16:17]
.LBB1_288:                              ;   in Loop: Header=BB1_283 Depth=1
	s_or_b64 exec, exec, s[14:15]
	v_mov_b32_e32 v13, v5
	v_mov_b32_e32 v12, v4
.LBB1_289:                              ;   in Loop: Header=BB1_283 Depth=1
	s_or_saveexec_b64 s[4:5], s[4:5]
	v_mov_b32_e32 v14, 0
	s_xor_b64 exec, exec, s[4:5]
	s_cbranch_execz .LBB1_291
; %bb.290:                              ;   in Loop: Header=BB1_283 Depth=1
	global_load_dwordx2 v[2:3], v[4:5], off
	v_add_u32_e32 v14, -8, v30
.LBB1_291:                              ;   in Loop: Header=BB1_283 Depth=1
	s_or_b64 exec, exec, s[4:5]
	v_add_co_u32_e64 v6, s[4:5], 8, v12
	v_cmp_gt_u32_e32 vcc, 8, v14
	v_addc_co_u32_e64 v7, s[4:5], 0, v13, s[4:5]
                                        ; implicit-def: $vgpr10_vgpr11
	s_and_saveexec_b64 s[4:5], vcc
	s_xor_b64 s[4:5], exec, s[4:5]
	s_cbranch_execz .LBB1_297
; %bb.292:                              ;   in Loop: Header=BB1_283 Depth=1
	v_mov_b32_e32 v10, 0
	v_mov_b32_e32 v11, 0
	v_cmp_ne_u32_e32 vcc, 0, v14
	s_and_saveexec_b64 s[14:15], vcc
	s_cbranch_execz .LBB1_296
; %bb.293:                              ;   in Loop: Header=BB1_283 Depth=1
	v_mov_b32_e32 v10, 0
	s_mov_b64 s[16:17], 0
	v_mov_b32_e32 v11, 0
	s_mov_b64 s[18:19], 0
	s_mov_b64 s[20:21], 0
.LBB1_294:                              ;   Parent Loop BB1_283 Depth=1
                                        ; =>  This Inner Loop Header: Depth=2
	v_mov_b32_e32 v7, s21
	v_add_co_u32_e32 v6, vcc, s20, v12
	v_addc_co_u32_e32 v7, vcc, v13, v7, vcc
	global_load_ubyte v6, v[6:7], off
	s_add_u32 s20, s20, 1
	v_mov_b32_e32 v7, s22
	s_addc_u32 s21, s21, 0
	v_cmp_eq_u32_e32 vcc, s20, v14
	s_waitcnt vmcnt(0)
	v_and_b32_e32 v6, 0xffff, v6
	v_lshlrev_b64 v[6:7], s18, v[6:7]
	s_add_u32 s18, s18, 8
	s_addc_u32 s19, s19, 0
	v_or_b32_e32 v11, v7, v11
	s_or_b64 s[16:17], vcc, s[16:17]
	v_or_b32_e32 v10, v6, v10
	s_andn2_b64 exec, exec, s[16:17]
	s_cbranch_execnz .LBB1_294
; %bb.295:                              ;   in Loop: Header=BB1_283 Depth=1
	s_or_b64 exec, exec, s[16:17]
.LBB1_296:                              ;   in Loop: Header=BB1_283 Depth=1
	s_or_b64 exec, exec, s[14:15]
	v_mov_b32_e32 v6, v12
	v_mov_b32_e32 v7, v13
                                        ; implicit-def: $vgpr14
.LBB1_297:                              ;   in Loop: Header=BB1_283 Depth=1
	s_or_saveexec_b64 s[4:5], s[4:5]
	v_mov_b32_e32 v15, 0
	s_xor_b64 exec, exec, s[4:5]
	s_cbranch_execz .LBB1_299
; %bb.298:                              ;   in Loop: Header=BB1_283 Depth=1
	global_load_dwordx2 v[10:11], v[12:13], off
	v_add_u32_e32 v15, -8, v14
.LBB1_299:                              ;   in Loop: Header=BB1_283 Depth=1
	s_or_b64 exec, exec, s[4:5]
	v_add_co_u32_e64 v16, s[4:5], 8, v6
	v_cmp_gt_u32_e32 vcc, 8, v15
	v_addc_co_u32_e64 v17, s[4:5], 0, v7, s[4:5]
	s_and_saveexec_b64 s[4:5], vcc
	s_xor_b64 s[4:5], exec, s[4:5]
	s_cbranch_execz .LBB1_305
; %bb.300:                              ;   in Loop: Header=BB1_283 Depth=1
	v_mov_b32_e32 v12, 0
	v_mov_b32_e32 v13, 0
	v_cmp_ne_u32_e32 vcc, 0, v15
	s_and_saveexec_b64 s[14:15], vcc
	s_cbranch_execz .LBB1_304
; %bb.301:                              ;   in Loop: Header=BB1_283 Depth=1
	v_mov_b32_e32 v12, 0
	s_mov_b64 s[16:17], 0
	v_mov_b32_e32 v13, 0
	s_mov_b64 s[18:19], 0
	s_mov_b64 s[20:21], 0
.LBB1_302:                              ;   Parent Loop BB1_283 Depth=1
                                        ; =>  This Inner Loop Header: Depth=2
	v_mov_b32_e32 v14, s21
	v_add_co_u32_e32 v16, vcc, s20, v6
	v_addc_co_u32_e32 v17, vcc, v7, v14, vcc
	global_load_ubyte v14, v[16:17], off
	s_add_u32 s20, s20, 1
	v_mov_b32_e32 v17, s22
	s_addc_u32 s21, s21, 0
	v_cmp_eq_u32_e32 vcc, s20, v15
	s_waitcnt vmcnt(0)
	v_and_b32_e32 v16, 0xffff, v14
	v_lshlrev_b64 v[16:17], s18, v[16:17]
	s_add_u32 s18, s18, 8
	s_addc_u32 s19, s19, 0
	v_or_b32_e32 v13, v17, v13
	s_or_b64 s[16:17], vcc, s[16:17]
	v_or_b32_e32 v12, v16, v12
	s_andn2_b64 exec, exec, s[16:17]
	s_cbranch_execnz .LBB1_302
; %bb.303:                              ;   in Loop: Header=BB1_283 Depth=1
	s_or_b64 exec, exec, s[16:17]
.LBB1_304:                              ;   in Loop: Header=BB1_283 Depth=1
	s_or_b64 exec, exec, s[14:15]
	v_mov_b32_e32 v17, v7
	v_mov_b32_e32 v16, v6
                                        ; implicit-def: $vgpr15
.LBB1_305:                              ;   in Loop: Header=BB1_283 Depth=1
	s_or_saveexec_b64 s[4:5], s[4:5]
	v_mov_b32_e32 v18, 0
	s_xor_b64 exec, exec, s[4:5]
	s_cbranch_execz .LBB1_307
; %bb.306:                              ;   in Loop: Header=BB1_283 Depth=1
	global_load_dwordx2 v[12:13], v[6:7], off
	v_add_u32_e32 v18, -8, v15
.LBB1_307:                              ;   in Loop: Header=BB1_283 Depth=1
	s_or_b64 exec, exec, s[4:5]
	v_add_co_u32_e64 v6, s[4:5], 8, v16
	v_cmp_gt_u32_e32 vcc, 8, v18
	v_addc_co_u32_e64 v7, s[4:5], 0, v17, s[4:5]
                                        ; implicit-def: $vgpr14_vgpr15
	s_and_saveexec_b64 s[4:5], vcc
	s_xor_b64 s[4:5], exec, s[4:5]
	s_cbranch_execz .LBB1_313
; %bb.308:                              ;   in Loop: Header=BB1_283 Depth=1
	v_mov_b32_e32 v14, 0
	v_mov_b32_e32 v15, 0
	v_cmp_ne_u32_e32 vcc, 0, v18
	s_and_saveexec_b64 s[14:15], vcc
	s_cbranch_execz .LBB1_312
; %bb.309:                              ;   in Loop: Header=BB1_283 Depth=1
	v_mov_b32_e32 v14, 0
	s_mov_b64 s[16:17], 0
	v_mov_b32_e32 v15, 0
	s_mov_b64 s[18:19], 0
	s_mov_b64 s[20:21], 0
.LBB1_310:                              ;   Parent Loop BB1_283 Depth=1
                                        ; =>  This Inner Loop Header: Depth=2
	v_mov_b32_e32 v7, s21
	v_add_co_u32_e32 v6, vcc, s20, v16
	v_addc_co_u32_e32 v7, vcc, v17, v7, vcc
	global_load_ubyte v6, v[6:7], off
	s_add_u32 s20, s20, 1
	v_mov_b32_e32 v7, s22
	s_addc_u32 s21, s21, 0
	v_cmp_eq_u32_e32 vcc, s20, v18
	s_waitcnt vmcnt(0)
	v_and_b32_e32 v6, 0xffff, v6
	v_lshlrev_b64 v[6:7], s18, v[6:7]
	s_add_u32 s18, s18, 8
	s_addc_u32 s19, s19, 0
	v_or_b32_e32 v15, v7, v15
	s_or_b64 s[16:17], vcc, s[16:17]
	v_or_b32_e32 v14, v6, v14
	s_andn2_b64 exec, exec, s[16:17]
	s_cbranch_execnz .LBB1_310
; %bb.311:                              ;   in Loop: Header=BB1_283 Depth=1
	s_or_b64 exec, exec, s[16:17]
.LBB1_312:                              ;   in Loop: Header=BB1_283 Depth=1
	s_or_b64 exec, exec, s[14:15]
	v_mov_b32_e32 v6, v16
	v_mov_b32_e32 v7, v17
                                        ; implicit-def: $vgpr18
.LBB1_313:                              ;   in Loop: Header=BB1_283 Depth=1
	s_or_saveexec_b64 s[4:5], s[4:5]
	v_mov_b32_e32 v19, 0
	s_xor_b64 exec, exec, s[4:5]
	s_cbranch_execz .LBB1_315
; %bb.314:                              ;   in Loop: Header=BB1_283 Depth=1
	global_load_dwordx2 v[14:15], v[16:17], off
	v_add_u32_e32 v19, -8, v18
.LBB1_315:                              ;   in Loop: Header=BB1_283 Depth=1
	s_or_b64 exec, exec, s[4:5]
	v_add_co_u32_e64 v20, s[4:5], 8, v6
	v_cmp_gt_u32_e32 vcc, 8, v19
	v_addc_co_u32_e64 v21, s[4:5], 0, v7, s[4:5]
	s_and_saveexec_b64 s[4:5], vcc
	s_xor_b64 s[4:5], exec, s[4:5]
	s_cbranch_execz .LBB1_321
; %bb.316:                              ;   in Loop: Header=BB1_283 Depth=1
	v_mov_b32_e32 v16, 0
	v_mov_b32_e32 v17, 0
	v_cmp_ne_u32_e32 vcc, 0, v19
	s_and_saveexec_b64 s[14:15], vcc
	s_cbranch_execz .LBB1_320
; %bb.317:                              ;   in Loop: Header=BB1_283 Depth=1
	v_mov_b32_e32 v16, 0
	s_mov_b64 s[16:17], 0
	v_mov_b32_e32 v17, 0
	s_mov_b64 s[18:19], 0
	s_mov_b64 s[20:21], 0
.LBB1_318:                              ;   Parent Loop BB1_283 Depth=1
                                        ; =>  This Inner Loop Header: Depth=2
	v_mov_b32_e32 v18, s21
	v_add_co_u32_e32 v20, vcc, s20, v6
	v_addc_co_u32_e32 v21, vcc, v7, v18, vcc
	global_load_ubyte v18, v[20:21], off
	s_add_u32 s20, s20, 1
	v_mov_b32_e32 v21, s22
	s_addc_u32 s21, s21, 0
	v_cmp_eq_u32_e32 vcc, s20, v19
	s_waitcnt vmcnt(0)
	v_and_b32_e32 v20, 0xffff, v18
	v_lshlrev_b64 v[20:21], s18, v[20:21]
	s_add_u32 s18, s18, 8
	s_addc_u32 s19, s19, 0
	v_or_b32_e32 v17, v21, v17
	s_or_b64 s[16:17], vcc, s[16:17]
	v_or_b32_e32 v16, v20, v16
	s_andn2_b64 exec, exec, s[16:17]
	s_cbranch_execnz .LBB1_318
; %bb.319:                              ;   in Loop: Header=BB1_283 Depth=1
	s_or_b64 exec, exec, s[16:17]
.LBB1_320:                              ;   in Loop: Header=BB1_283 Depth=1
	s_or_b64 exec, exec, s[14:15]
	v_mov_b32_e32 v21, v7
	v_mov_b32_e32 v20, v6
                                        ; implicit-def: $vgpr19
.LBB1_321:                              ;   in Loop: Header=BB1_283 Depth=1
	s_or_saveexec_b64 s[4:5], s[4:5]
	v_mov_b32_e32 v22, 0
	s_xor_b64 exec, exec, s[4:5]
	s_cbranch_execz .LBB1_323
; %bb.322:                              ;   in Loop: Header=BB1_283 Depth=1
	global_load_dwordx2 v[16:17], v[6:7], off
	v_add_u32_e32 v22, -8, v19
.LBB1_323:                              ;   in Loop: Header=BB1_283 Depth=1
	s_or_b64 exec, exec, s[4:5]
	v_add_co_u32_e64 v6, s[4:5], 8, v20
	v_cmp_gt_u32_e32 vcc, 8, v22
	v_addc_co_u32_e64 v7, s[4:5], 0, v21, s[4:5]
                                        ; implicit-def: $vgpr18_vgpr19
	s_and_saveexec_b64 s[4:5], vcc
	s_xor_b64 s[4:5], exec, s[4:5]
	s_cbranch_execz .LBB1_329
; %bb.324:                              ;   in Loop: Header=BB1_283 Depth=1
	v_mov_b32_e32 v18, 0
	v_mov_b32_e32 v19, 0
	v_cmp_ne_u32_e32 vcc, 0, v22
	s_and_saveexec_b64 s[14:15], vcc
	s_cbranch_execz .LBB1_328
; %bb.325:                              ;   in Loop: Header=BB1_283 Depth=1
	v_mov_b32_e32 v18, 0
	s_mov_b64 s[16:17], 0
	v_mov_b32_e32 v19, 0
	s_mov_b64 s[18:19], 0
	s_mov_b64 s[20:21], 0
.LBB1_326:                              ;   Parent Loop BB1_283 Depth=1
                                        ; =>  This Inner Loop Header: Depth=2
	v_mov_b32_e32 v7, s21
	v_add_co_u32_e32 v6, vcc, s20, v20
	v_addc_co_u32_e32 v7, vcc, v21, v7, vcc
	global_load_ubyte v6, v[6:7], off
	s_add_u32 s20, s20, 1
	v_mov_b32_e32 v7, s22
	s_addc_u32 s21, s21, 0
	v_cmp_eq_u32_e32 vcc, s20, v22
	s_waitcnt vmcnt(0)
	v_and_b32_e32 v6, 0xffff, v6
	v_lshlrev_b64 v[6:7], s18, v[6:7]
	s_add_u32 s18, s18, 8
	s_addc_u32 s19, s19, 0
	v_or_b32_e32 v19, v7, v19
	s_or_b64 s[16:17], vcc, s[16:17]
	v_or_b32_e32 v18, v6, v18
	s_andn2_b64 exec, exec, s[16:17]
	s_cbranch_execnz .LBB1_326
; %bb.327:                              ;   in Loop: Header=BB1_283 Depth=1
	s_or_b64 exec, exec, s[16:17]
.LBB1_328:                              ;   in Loop: Header=BB1_283 Depth=1
	s_or_b64 exec, exec, s[14:15]
	v_mov_b32_e32 v6, v20
	v_mov_b32_e32 v7, v21
                                        ; implicit-def: $vgpr22
.LBB1_329:                              ;   in Loop: Header=BB1_283 Depth=1
	s_or_saveexec_b64 s[4:5], s[4:5]
	v_mov_b32_e32 v23, 0
	s_xor_b64 exec, exec, s[4:5]
	s_cbranch_execz .LBB1_331
; %bb.330:                              ;   in Loop: Header=BB1_283 Depth=1
	global_load_dwordx2 v[18:19], v[20:21], off
	v_add_u32_e32 v23, -8, v22
.LBB1_331:                              ;   in Loop: Header=BB1_283 Depth=1
	s_or_b64 exec, exec, s[4:5]
	v_cmp_gt_u32_e32 vcc, 8, v23
	s_and_saveexec_b64 s[4:5], vcc
	s_xor_b64 s[4:5], exec, s[4:5]
	s_cbranch_execz .LBB1_337
; %bb.332:                              ;   in Loop: Header=BB1_283 Depth=1
	v_mov_b32_e32 v20, 0
	v_mov_b32_e32 v21, 0
	v_cmp_ne_u32_e32 vcc, 0, v23
	s_and_saveexec_b64 s[14:15], vcc
	s_cbranch_execz .LBB1_336
; %bb.333:                              ;   in Loop: Header=BB1_283 Depth=1
	v_mov_b32_e32 v20, 0
	s_mov_b64 s[16:17], 0
	v_mov_b32_e32 v21, 0
	s_mov_b64 s[18:19], 0
.LBB1_334:                              ;   Parent Loop BB1_283 Depth=1
                                        ; =>  This Inner Loop Header: Depth=2
	global_load_ubyte v22, v[6:7], off
	v_mov_b32_e32 v25, s22
	v_add_co_u32_e32 v6, vcc, 1, v6
	v_add_u32_e32 v23, -1, v23
	v_addc_co_u32_e32 v7, vcc, 0, v7, vcc
	v_cmp_eq_u32_e32 vcc, 0, v23
	s_waitcnt vmcnt(0)
	v_and_b32_e32 v24, 0xffff, v22
	v_lshlrev_b64 v[24:25], s18, v[24:25]
	s_add_u32 s18, s18, 8
	s_addc_u32 s19, s19, 0
	v_or_b32_e32 v21, v25, v21
	s_or_b64 s[16:17], vcc, s[16:17]
	v_or_b32_e32 v20, v24, v20
	s_andn2_b64 exec, exec, s[16:17]
	s_cbranch_execnz .LBB1_334
; %bb.335:                              ;   in Loop: Header=BB1_283 Depth=1
	s_or_b64 exec, exec, s[16:17]
.LBB1_336:                              ;   in Loop: Header=BB1_283 Depth=1
	s_or_b64 exec, exec, s[14:15]
                                        ; implicit-def: $vgpr6_vgpr7
.LBB1_337:                              ;   in Loop: Header=BB1_283 Depth=1
	s_andn2_saveexec_b64 s[4:5], s[4:5]
	s_cbranch_execz .LBB1_339
; %bb.338:                              ;   in Loop: Header=BB1_283 Depth=1
	global_load_dwordx2 v[20:21], v[6:7], off
.LBB1_339:                              ;   in Loop: Header=BB1_283 Depth=1
	s_or_b64 exec, exec, s[4:5]
	v_readfirstlane_b32 s4, v34
	v_mov_b32_e32 v6, 0
	v_mov_b32_e32 v7, 0
	v_cmp_eq_u32_e64 s[4:5], s4, v34
	s_and_saveexec_b64 s[14:15], s[4:5]
	s_cbranch_execz .LBB1_345
; %bb.340:                              ;   in Loop: Header=BB1_283 Depth=1
	global_load_dwordx2 v[24:25], v29, s[10:11] offset:24 glc
	s_waitcnt vmcnt(0)
	buffer_wbinvl1_vol
	global_load_dwordx2 v[6:7], v29, s[10:11] offset:40
	global_load_dwordx2 v[22:23], v29, s[10:11]
	s_waitcnt vmcnt(1)
	v_and_b32_e32 v6, v6, v24
	v_and_b32_e32 v7, v7, v25
	v_mul_lo_u32 v7, v7, 24
	v_mul_hi_u32 v28, v6, 24
	v_mul_lo_u32 v6, v6, 24
	v_add_u32_e32 v7, v28, v7
	s_waitcnt vmcnt(0)
	v_add_co_u32_e32 v6, vcc, v22, v6
	v_addc_co_u32_e32 v7, vcc, v23, v7, vcc
	global_load_dwordx2 v[22:23], v[6:7], off glc
	s_waitcnt vmcnt(0)
	global_atomic_cmpswap_x2 v[6:7], v29, v[22:25], s[10:11] offset:24 glc
	s_waitcnt vmcnt(0)
	buffer_wbinvl1_vol
	v_cmp_ne_u64_e32 vcc, v[6:7], v[24:25]
	s_and_saveexec_b64 s[16:17], vcc
	s_cbranch_execz .LBB1_344
; %bb.341:                              ;   in Loop: Header=BB1_283 Depth=1
	s_mov_b64 s[18:19], 0
.LBB1_342:                              ;   Parent Loop BB1_283 Depth=1
                                        ; =>  This Inner Loop Header: Depth=2
	s_sleep 1
	global_load_dwordx2 v[22:23], v29, s[10:11] offset:40
	global_load_dwordx2 v[32:33], v29, s[10:11]
	v_mov_b32_e32 v25, v7
	v_mov_b32_e32 v24, v6
	s_waitcnt vmcnt(1)
	v_and_b32_e32 v6, v22, v24
	s_waitcnt vmcnt(0)
	v_mad_u64_u32 v[6:7], s[20:21], v6, 24, v[32:33]
	v_and_b32_e32 v22, v23, v25
	v_mad_u64_u32 v[22:23], s[20:21], v22, 24, v[7:8]
	v_mov_b32_e32 v7, v22
	global_load_dwordx2 v[22:23], v[6:7], off glc
	s_waitcnt vmcnt(0)
	global_atomic_cmpswap_x2 v[6:7], v29, v[22:25], s[10:11] offset:24 glc
	s_waitcnt vmcnt(0)
	buffer_wbinvl1_vol
	v_cmp_eq_u64_e32 vcc, v[6:7], v[24:25]
	s_or_b64 s[18:19], vcc, s[18:19]
	s_andn2_b64 exec, exec, s[18:19]
	s_cbranch_execnz .LBB1_342
; %bb.343:                              ;   in Loop: Header=BB1_283 Depth=1
	s_or_b64 exec, exec, s[18:19]
.LBB1_344:                              ;   in Loop: Header=BB1_283 Depth=1
	s_or_b64 exec, exec, s[16:17]
.LBB1_345:                              ;   in Loop: Header=BB1_283 Depth=1
	s_or_b64 exec, exec, s[14:15]
	global_load_dwordx2 v[32:33], v29, s[10:11] offset:40
	global_load_dwordx4 v[22:25], v29, s[10:11]
	v_readfirstlane_b32 s15, v7
	v_readfirstlane_b32 s14, v6
	s_mov_b64 s[16:17], exec
	s_waitcnt vmcnt(1)
	v_readfirstlane_b32 s18, v32
	v_readfirstlane_b32 s19, v33
	s_and_b64 s[18:19], s[18:19], s[14:15]
	s_mul_i32 s20, s19, 24
	s_mul_hi_u32 s21, s18, 24
	s_mul_i32 s24, s18, 24
	s_add_i32 s20, s21, s20
	v_mov_b32_e32 v6, s20
	s_waitcnt vmcnt(0)
	v_add_co_u32_e32 v32, vcc, s24, v22
	v_addc_co_u32_e32 v33, vcc, v23, v6, vcc
	s_and_saveexec_b64 s[20:21], s[4:5]
	s_cbranch_execz .LBB1_347
; %bb.346:                              ;   in Loop: Header=BB1_283 Depth=1
	v_mov_b32_e32 v6, s16
	v_mov_b32_e32 v7, s17
	global_store_dwordx4 v[32:33], v[6:9], off offset:8
.LBB1_347:                              ;   in Loop: Header=BB1_283 Depth=1
	s_or_b64 exec, exec, s[20:21]
	s_lshl_b64 s[16:17], s[18:19], 12
	v_mov_b32_e32 v6, s17
	v_add_co_u32_e32 v24, vcc, s16, v24
	v_addc_co_u32_e32 v25, vcc, v25, v6, vcc
	v_cmp_gt_u64_e32 vcc, 57, v[26:27]
	v_and_b32_e32 v0, 0xffffff1f, v0
	v_cndmask_b32_e32 v6, 0, v36, vcc
	v_lshl_add_u32 v7, v30, 2, 28
	v_or_b32_e32 v0, v0, v6
	v_and_or_b32 v0, v7, s23, v0
	v_readfirstlane_b32 s16, v24
	v_readfirstlane_b32 s17, v25
	s_nop 4
	global_store_dwordx4 v35, v[0:3], s[16:17]
	global_store_dwordx4 v35, v[10:13], s[16:17] offset:16
	global_store_dwordx4 v35, v[14:17], s[16:17] offset:32
	;; [unrolled: 1-line block ×3, first 2 shown]
	s_and_saveexec_b64 s[16:17], s[4:5]
	s_cbranch_execz .LBB1_355
; %bb.348:                              ;   in Loop: Header=BB1_283 Depth=1
	global_load_dwordx2 v[12:13], v29, s[10:11] offset:32 glc
	global_load_dwordx2 v[0:1], v29, s[10:11] offset:40
	v_mov_b32_e32 v10, s14
	v_mov_b32_e32 v11, s15
	s_waitcnt vmcnt(0)
	v_readfirstlane_b32 s18, v0
	v_readfirstlane_b32 s19, v1
	s_and_b64 s[18:19], s[18:19], s[14:15]
	s_mul_i32 s19, s19, 24
	s_mul_hi_u32 s20, s18, 24
	s_mul_i32 s18, s18, 24
	s_add_i32 s19, s20, s19
	v_mov_b32_e32 v0, s19
	v_add_co_u32_e32 v6, vcc, s18, v22
	v_addc_co_u32_e32 v7, vcc, v23, v0, vcc
	global_store_dwordx2 v[6:7], v[12:13], off
	s_waitcnt vmcnt(0)
	global_atomic_cmpswap_x2 v[2:3], v29, v[10:13], s[10:11] offset:32 glc
	s_waitcnt vmcnt(0)
	v_cmp_ne_u64_e32 vcc, v[2:3], v[12:13]
	s_and_saveexec_b64 s[18:19], vcc
	s_cbranch_execz .LBB1_351
; %bb.349:                              ;   in Loop: Header=BB1_283 Depth=1
	s_mov_b64 s[20:21], 0
.LBB1_350:                              ;   Parent Loop BB1_283 Depth=1
                                        ; =>  This Inner Loop Header: Depth=2
	s_sleep 1
	global_store_dwordx2 v[6:7], v[2:3], off
	v_mov_b32_e32 v0, s14
	v_mov_b32_e32 v1, s15
	s_waitcnt vmcnt(0)
	global_atomic_cmpswap_x2 v[0:1], v29, v[0:3], s[10:11] offset:32 glc
	s_waitcnt vmcnt(0)
	v_cmp_eq_u64_e32 vcc, v[0:1], v[2:3]
	v_mov_b32_e32 v3, v1
	s_or_b64 s[20:21], vcc, s[20:21]
	v_mov_b32_e32 v2, v0
	s_andn2_b64 exec, exec, s[20:21]
	s_cbranch_execnz .LBB1_350
.LBB1_351:                              ;   in Loop: Header=BB1_283 Depth=1
	s_or_b64 exec, exec, s[18:19]
	global_load_dwordx2 v[0:1], v29, s[10:11] offset:16
	s_mov_b64 s[20:21], exec
	v_mbcnt_lo_u32_b32 v2, s20, 0
	v_mbcnt_hi_u32_b32 v2, s21, v2
	v_cmp_eq_u32_e32 vcc, 0, v2
	s_and_saveexec_b64 s[18:19], vcc
	s_cbranch_execz .LBB1_353
; %bb.352:                              ;   in Loop: Header=BB1_283 Depth=1
	s_bcnt1_i32_b64 s20, s[20:21]
	v_mov_b32_e32 v28, s20
	s_waitcnt vmcnt(0)
	global_atomic_add_x2 v[0:1], v[28:29], off offset:8
.LBB1_353:                              ;   in Loop: Header=BB1_283 Depth=1
	s_or_b64 exec, exec, s[18:19]
	s_waitcnt vmcnt(0)
	global_load_dwordx2 v[2:3], v[0:1], off offset:16
	s_waitcnt vmcnt(0)
	v_cmp_eq_u64_e32 vcc, 0, v[2:3]
	s_cbranch_vccnz .LBB1_355
; %bb.354:                              ;   in Loop: Header=BB1_283 Depth=1
	global_load_dword v28, v[0:1], off offset:24
	s_waitcnt vmcnt(0)
	v_readfirstlane_b32 s18, v28
	s_and_b32 m0, s18, 0xffffff
	global_store_dwordx2 v[2:3], v[28:29], off
	s_sendmsg sendmsg(MSG_INTERRUPT)
.LBB1_355:                              ;   in Loop: Header=BB1_283 Depth=1
	s_or_b64 exec, exec, s[16:17]
	v_add_co_u32_e32 v0, vcc, v24, v35
	v_addc_co_u32_e32 v1, vcc, 0, v25, vcc
	s_branch .LBB1_359
.LBB1_356:                              ;   in Loop: Header=BB1_359 Depth=2
	s_or_b64 exec, exec, s[16:17]
	v_readfirstlane_b32 s16, v2
	s_cmp_eq_u32 s16, 0
	s_cbranch_scc1 .LBB1_358
; %bb.357:                              ;   in Loop: Header=BB1_359 Depth=2
	s_sleep 1
	s_cbranch_execnz .LBB1_359
	s_branch .LBB1_361
.LBB1_358:                              ;   in Loop: Header=BB1_283 Depth=1
	s_branch .LBB1_361
.LBB1_359:                              ;   Parent Loop BB1_283 Depth=1
                                        ; =>  This Inner Loop Header: Depth=2
	v_mov_b32_e32 v2, 1
	s_and_saveexec_b64 s[16:17], s[4:5]
	s_cbranch_execz .LBB1_356
; %bb.360:                              ;   in Loop: Header=BB1_359 Depth=2
	global_load_dword v2, v[32:33], off offset:20 glc
	s_waitcnt vmcnt(0)
	buffer_wbinvl1_vol
	v_and_b32_e32 v2, 1, v2
	s_branch .LBB1_356
.LBB1_361:                              ;   in Loop: Header=BB1_283 Depth=1
	global_load_dwordx2 v[0:1], v[0:1], off
	s_and_saveexec_b64 s[16:17], s[4:5]
	s_cbranch_execz .LBB1_282
; %bb.362:                              ;   in Loop: Header=BB1_283 Depth=1
	global_load_dwordx2 v[2:3], v29, s[10:11] offset:40
	global_load_dwordx2 v[14:15], v29, s[10:11] offset:24 glc
	global_load_dwordx2 v[6:7], v29, s[10:11]
	s_waitcnt vmcnt(2)
	v_readfirstlane_b32 s18, v2
	v_readfirstlane_b32 s19, v3
	s_add_u32 s20, s18, 1
	s_addc_u32 s21, s19, 0
	s_add_u32 s4, s20, s14
	s_addc_u32 s5, s21, s15
	s_cmp_eq_u64 s[4:5], 0
	s_cselect_b32 s5, s21, s5
	s_cselect_b32 s4, s20, s4
	s_and_b64 s[14:15], s[4:5], s[18:19]
	s_mul_i32 s15, s15, 24
	s_mul_hi_u32 s18, s14, 24
	s_mul_i32 s14, s14, 24
	s_add_i32 s15, s18, s15
	v_mov_b32_e32 v3, s15
	s_waitcnt vmcnt(0)
	v_add_co_u32_e32 v2, vcc, s14, v6
	v_addc_co_u32_e32 v3, vcc, v7, v3, vcc
	v_mov_b32_e32 v12, s4
	global_store_dwordx2 v[2:3], v[14:15], off
	v_mov_b32_e32 v13, s5
	s_waitcnt vmcnt(0)
	global_atomic_cmpswap_x2 v[12:13], v29, v[12:15], s[10:11] offset:24 glc
	s_waitcnt vmcnt(0)
	v_cmp_ne_u64_e32 vcc, v[12:13], v[14:15]
	s_and_b64 exec, exec, vcc
	s_cbranch_execz .LBB1_282
; %bb.363:                              ;   in Loop: Header=BB1_283 Depth=1
	s_mov_b64 s[14:15], 0
.LBB1_364:                              ;   Parent Loop BB1_283 Depth=1
                                        ; =>  This Inner Loop Header: Depth=2
	s_sleep 1
	global_store_dwordx2 v[2:3], v[12:13], off
	v_mov_b32_e32 v10, s4
	v_mov_b32_e32 v11, s5
	s_waitcnt vmcnt(0)
	global_atomic_cmpswap_x2 v[6:7], v29, v[10:13], s[10:11] offset:24 glc
	s_waitcnt vmcnt(0)
	v_cmp_eq_u64_e32 vcc, v[6:7], v[12:13]
	v_mov_b32_e32 v13, v7
	s_or_b64 s[14:15], vcc, s[14:15]
	v_mov_b32_e32 v12, v6
	s_andn2_b64 exec, exec, s[14:15]
	s_cbranch_execnz .LBB1_364
	s_branch .LBB1_282
.LBB1_365:
	s_or_b64 exec, exec, s[12:13]
                                        ; implicit-def: $vgpr35
                                        ; implicit-def: $vgpr34
.LBB1_366:
	s_andn2_saveexec_b64 s[6:7], s[6:7]
	s_cbranch_execz .LBB1_393
; %bb.367:
	v_readfirstlane_b32 s4, v34
	v_mov_b32_e32 v8, 0
	v_mov_b32_e32 v9, 0
	v_cmp_eq_u32_e64 s[4:5], s4, v34
	s_and_saveexec_b64 s[12:13], s[4:5]
	s_cbranch_execz .LBB1_373
; %bb.368:
	v_mov_b32_e32 v2, 0
	global_load_dwordx2 v[5:6], v2, s[10:11] offset:24 glc
	s_waitcnt vmcnt(0)
	buffer_wbinvl1_vol
	global_load_dwordx2 v[3:4], v2, s[10:11] offset:40
	global_load_dwordx2 v[7:8], v2, s[10:11]
	s_waitcnt vmcnt(1)
	v_and_b32_e32 v3, v3, v5
	v_and_b32_e32 v4, v4, v6
	v_mul_lo_u32 v4, v4, 24
	v_mul_hi_u32 v9, v3, 24
	v_mul_lo_u32 v3, v3, 24
	v_add_u32_e32 v4, v9, v4
	s_waitcnt vmcnt(0)
	v_add_co_u32_e32 v3, vcc, v7, v3
	v_addc_co_u32_e32 v4, vcc, v8, v4, vcc
	global_load_dwordx2 v[3:4], v[3:4], off glc
	s_waitcnt vmcnt(0)
	global_atomic_cmpswap_x2 v[8:9], v2, v[3:6], s[10:11] offset:24 glc
	s_waitcnt vmcnt(0)
	buffer_wbinvl1_vol
	v_cmp_ne_u64_e32 vcc, v[8:9], v[5:6]
	s_and_saveexec_b64 s[14:15], vcc
	s_cbranch_execz .LBB1_372
; %bb.369:
	s_mov_b64 s[16:17], 0
.LBB1_370:                              ; =>This Inner Loop Header: Depth=1
	s_sleep 1
	global_load_dwordx2 v[3:4], v2, s[10:11] offset:40
	global_load_dwordx2 v[10:11], v2, s[10:11]
	v_mov_b32_e32 v5, v8
	v_mov_b32_e32 v6, v9
	s_waitcnt vmcnt(1)
	v_and_b32_e32 v3, v3, v5
	s_waitcnt vmcnt(0)
	v_mad_u64_u32 v[7:8], s[18:19], v3, 24, v[10:11]
	v_and_b32_e32 v4, v4, v6
	v_mov_b32_e32 v3, v8
	v_mad_u64_u32 v[3:4], s[18:19], v4, 24, v[3:4]
	v_mov_b32_e32 v8, v3
	global_load_dwordx2 v[3:4], v[7:8], off glc
	s_waitcnt vmcnt(0)
	global_atomic_cmpswap_x2 v[8:9], v2, v[3:6], s[10:11] offset:24 glc
	s_waitcnt vmcnt(0)
	buffer_wbinvl1_vol
	v_cmp_eq_u64_e32 vcc, v[8:9], v[5:6]
	s_or_b64 s[16:17], vcc, s[16:17]
	s_andn2_b64 exec, exec, s[16:17]
	s_cbranch_execnz .LBB1_370
; %bb.371:
	s_or_b64 exec, exec, s[16:17]
.LBB1_372:
	s_or_b64 exec, exec, s[14:15]
.LBB1_373:
	s_or_b64 exec, exec, s[12:13]
	v_mov_b32_e32 v2, 0
	global_load_dwordx2 v[10:11], v2, s[10:11] offset:40
	global_load_dwordx4 v[4:7], v2, s[10:11]
	v_readfirstlane_b32 s13, v9
	v_readfirstlane_b32 s12, v8
	s_mov_b64 s[14:15], exec
	s_waitcnt vmcnt(1)
	v_readfirstlane_b32 s16, v10
	v_readfirstlane_b32 s17, v11
	s_and_b64 s[16:17], s[16:17], s[12:13]
	s_mul_i32 s18, s17, 24
	s_mul_hi_u32 s19, s16, 24
	s_mul_i32 s20, s16, 24
	s_add_i32 s18, s19, s18
	v_mov_b32_e32 v3, s18
	s_waitcnt vmcnt(0)
	v_add_co_u32_e32 v8, vcc, s20, v4
	v_addc_co_u32_e32 v9, vcc, v5, v3, vcc
	s_and_saveexec_b64 s[18:19], s[4:5]
	s_cbranch_execz .LBB1_375
; %bb.374:
	v_mov_b32_e32 v10, s14
	v_mov_b32_e32 v11, s15
	;; [unrolled: 1-line block ×4, first 2 shown]
	global_store_dwordx4 v[8:9], v[10:13], off offset:8
.LBB1_375:
	s_or_b64 exec, exec, s[18:19]
	s_lshl_b64 s[14:15], s[16:17], 12
	v_mov_b32_e32 v3, s15
	v_add_co_u32_e32 v10, vcc, s14, v6
	v_addc_co_u32_e32 v11, vcc, v7, v3, vcc
	s_movk_i32 s14, 0xff1f
	v_and_or_b32 v0, v0, s14, 32
	s_mov_b32 s16, 0
	v_mov_b32_e32 v3, v2
	v_readfirstlane_b32 s14, v10
	v_readfirstlane_b32 s15, v11
	v_add_co_u32_e32 v6, vcc, v10, v35
	s_mov_b32 s17, s16
	s_mov_b32 s18, s16
	s_mov_b32 s19, s16
	s_nop 0
	global_store_dwordx4 v35, v[0:3], s[14:15]
	v_addc_co_u32_e32 v7, vcc, 0, v11, vcc
	v_mov_b32_e32 v0, s16
	v_mov_b32_e32 v1, s17
	;; [unrolled: 1-line block ×4, first 2 shown]
	global_store_dwordx4 v35, v[0:3], s[14:15] offset:16
	global_store_dwordx4 v35, v[0:3], s[14:15] offset:32
	;; [unrolled: 1-line block ×3, first 2 shown]
	s_and_saveexec_b64 s[14:15], s[4:5]
	s_cbranch_execz .LBB1_383
; %bb.376:
	v_mov_b32_e32 v10, 0
	global_load_dwordx2 v[13:14], v10, s[10:11] offset:32 glc
	global_load_dwordx2 v[0:1], v10, s[10:11] offset:40
	v_mov_b32_e32 v11, s12
	v_mov_b32_e32 v12, s13
	s_waitcnt vmcnt(0)
	v_readfirstlane_b32 s16, v0
	v_readfirstlane_b32 s17, v1
	s_and_b64 s[16:17], s[16:17], s[12:13]
	s_mul_i32 s17, s17, 24
	s_mul_hi_u32 s18, s16, 24
	s_mul_i32 s16, s16, 24
	s_add_i32 s17, s18, s17
	v_mov_b32_e32 v0, s17
	v_add_co_u32_e32 v4, vcc, s16, v4
	v_addc_co_u32_e32 v5, vcc, v5, v0, vcc
	global_store_dwordx2 v[4:5], v[13:14], off
	s_waitcnt vmcnt(0)
	global_atomic_cmpswap_x2 v[2:3], v10, v[11:14], s[10:11] offset:32 glc
	s_waitcnt vmcnt(0)
	v_cmp_ne_u64_e32 vcc, v[2:3], v[13:14]
	s_and_saveexec_b64 s[16:17], vcc
	s_cbranch_execz .LBB1_379
; %bb.377:
	s_mov_b64 s[18:19], 0
.LBB1_378:                              ; =>This Inner Loop Header: Depth=1
	s_sleep 1
	global_store_dwordx2 v[4:5], v[2:3], off
	v_mov_b32_e32 v0, s12
	v_mov_b32_e32 v1, s13
	s_waitcnt vmcnt(0)
	global_atomic_cmpswap_x2 v[0:1], v10, v[0:3], s[10:11] offset:32 glc
	s_waitcnt vmcnt(0)
	v_cmp_eq_u64_e32 vcc, v[0:1], v[2:3]
	v_mov_b32_e32 v3, v1
	s_or_b64 s[18:19], vcc, s[18:19]
	v_mov_b32_e32 v2, v0
	s_andn2_b64 exec, exec, s[18:19]
	s_cbranch_execnz .LBB1_378
.LBB1_379:
	s_or_b64 exec, exec, s[16:17]
	v_mov_b32_e32 v3, 0
	global_load_dwordx2 v[0:1], v3, s[10:11] offset:16
	s_mov_b64 s[16:17], exec
	v_mbcnt_lo_u32_b32 v2, s16, 0
	v_mbcnt_hi_u32_b32 v2, s17, v2
	v_cmp_eq_u32_e32 vcc, 0, v2
	s_and_saveexec_b64 s[18:19], vcc
	s_cbranch_execz .LBB1_381
; %bb.380:
	s_bcnt1_i32_b64 s16, s[16:17]
	v_mov_b32_e32 v2, s16
	s_waitcnt vmcnt(0)
	global_atomic_add_x2 v[0:1], v[2:3], off offset:8
.LBB1_381:
	s_or_b64 exec, exec, s[18:19]
	s_waitcnt vmcnt(0)
	global_load_dwordx2 v[2:3], v[0:1], off offset:16
	s_waitcnt vmcnt(0)
	v_cmp_eq_u64_e32 vcc, 0, v[2:3]
	s_cbranch_vccnz .LBB1_383
; %bb.382:
	global_load_dword v0, v[0:1], off offset:24
	v_mov_b32_e32 v1, 0
	s_waitcnt vmcnt(0)
	v_readfirstlane_b32 s16, v0
	s_and_b32 m0, s16, 0xffffff
	global_store_dwordx2 v[2:3], v[0:1], off
	s_sendmsg sendmsg(MSG_INTERRUPT)
.LBB1_383:
	s_or_b64 exec, exec, s[14:15]
	s_branch .LBB1_387
.LBB1_384:                              ;   in Loop: Header=BB1_387 Depth=1
	s_or_b64 exec, exec, s[14:15]
	v_readfirstlane_b32 s14, v0
	s_cmp_eq_u32 s14, 0
	s_cbranch_scc1 .LBB1_386
; %bb.385:                              ;   in Loop: Header=BB1_387 Depth=1
	s_sleep 1
	s_cbranch_execnz .LBB1_387
	s_branch .LBB1_389
.LBB1_386:
	s_branch .LBB1_389
.LBB1_387:                              ; =>This Inner Loop Header: Depth=1
	v_mov_b32_e32 v0, 1
	s_and_saveexec_b64 s[14:15], s[4:5]
	s_cbranch_execz .LBB1_384
; %bb.388:                              ;   in Loop: Header=BB1_387 Depth=1
	global_load_dword v0, v[8:9], off offset:20 glc
	s_waitcnt vmcnt(0)
	buffer_wbinvl1_vol
	v_and_b32_e32 v0, 1, v0
	s_branch .LBB1_384
.LBB1_389:
	global_load_dwordx2 v[0:1], v[6:7], off
	s_and_saveexec_b64 s[14:15], s[4:5]
	s_cbranch_execz .LBB1_392
; %bb.390:
	v_mov_b32_e32 v8, 0
	global_load_dwordx2 v[2:3], v8, s[10:11] offset:40
	global_load_dwordx2 v[11:12], v8, s[10:11] offset:24 glc
	global_load_dwordx2 v[4:5], v8, s[10:11]
	s_waitcnt vmcnt(2)
	v_readfirstlane_b32 s16, v2
	v_readfirstlane_b32 s17, v3
	s_add_u32 s18, s16, 1
	s_addc_u32 s19, s17, 0
	s_add_u32 s4, s18, s12
	s_addc_u32 s5, s19, s13
	s_cmp_eq_u64 s[4:5], 0
	s_cselect_b32 s5, s19, s5
	s_cselect_b32 s4, s18, s4
	s_and_b64 s[12:13], s[4:5], s[16:17]
	s_mul_i32 s13, s13, 24
	s_mul_hi_u32 s16, s12, 24
	s_mul_i32 s12, s12, 24
	s_add_i32 s13, s16, s13
	v_mov_b32_e32 v2, s13
	s_waitcnt vmcnt(0)
	v_add_co_u32_e32 v6, vcc, s12, v4
	v_addc_co_u32_e32 v7, vcc, v5, v2, vcc
	v_mov_b32_e32 v9, s4
	global_store_dwordx2 v[6:7], v[11:12], off
	v_mov_b32_e32 v10, s5
	s_waitcnt vmcnt(0)
	global_atomic_cmpswap_x2 v[4:5], v8, v[9:12], s[10:11] offset:24 glc
	s_mov_b64 s[12:13], 0
	s_waitcnt vmcnt(0)
	v_cmp_ne_u64_e32 vcc, v[4:5], v[11:12]
	s_and_b64 exec, exec, vcc
	s_cbranch_execz .LBB1_392
.LBB1_391:                              ; =>This Inner Loop Header: Depth=1
	s_sleep 1
	global_store_dwordx2 v[6:7], v[4:5], off
	v_mov_b32_e32 v2, s4
	v_mov_b32_e32 v3, s5
	s_waitcnt vmcnt(0)
	global_atomic_cmpswap_x2 v[2:3], v8, v[2:5], s[10:11] offset:24 glc
	s_waitcnt vmcnt(0)
	v_cmp_eq_u64_e32 vcc, v[2:3], v[4:5]
	v_mov_b32_e32 v5, v3
	s_or_b64 s[12:13], vcc, s[12:13]
	v_mov_b32_e32 v4, v2
	s_andn2_b64 exec, exec, s[12:13]
	s_cbranch_execnz .LBB1_391
.LBB1_392:
	s_or_b64 exec, exec, s[14:15]
.LBB1_393:
	s_or_b64 exec, exec, s[6:7]
	s_getpc_b64 s[4:5]
	s_add_u32 s4, s4, .str.3@rel32@lo+4
	s_addc_u32 s5, s5, .str.3@rel32@hi+12
	s_getpc_b64 s[6:7]
	s_add_u32 s6, s6, .str.3@rel32@lo+32
	s_addc_u32 s7, s7, .str.3@rel32@hi+40
	s_sub_i32 s10, s6, s4
	s_ashr_i32 s11, s10, 31
	s_getpc_b64 s[6:7]
	s_add_u32 s6, s6, __ockl_fprintf_append_string_n@rel32@lo+4
	s_addc_u32 s7, s7, __ockl_fprintf_append_string_n@rel32@hi+12
	v_mov_b32_e32 v2, s4
	v_mov_b32_e32 v3, s5
	;; [unrolled: 1-line block ×5, first 2 shown]
	s_swappc_b64 s[30:31], s[6:7]
	s_trap 2
.Lfunc_end1:
	.size	__assert_fail, .Lfunc_end1-__assert_fail
                                        ; -- End function
	.set .L__assert_fail.num_vgpr, max(41, .L__ockl_fprintf_append_string_n.num_vgpr)
	.set .L__assert_fail.num_agpr, max(0, .L__ockl_fprintf_append_string_n.num_agpr)
	.set .L__assert_fail.numbered_sgpr, max(34, .L__ockl_fprintf_append_string_n.numbered_sgpr)
	.set .L__assert_fail.num_named_barrier, max(0, .L__ockl_fprintf_append_string_n.num_named_barrier)
	.set .L__assert_fail.private_seg_size, 64+max(.L__ockl_fprintf_append_string_n.private_seg_size)
	.set .L__assert_fail.uses_vcc, or(1, .L__ockl_fprintf_append_string_n.uses_vcc)
	.set .L__assert_fail.uses_flat_scratch, or(0, .L__ockl_fprintf_append_string_n.uses_flat_scratch)
	.set .L__assert_fail.has_dyn_sized_stack, or(0, .L__ockl_fprintf_append_string_n.has_dyn_sized_stack)
	.set .L__assert_fail.has_recursion, or(0, .L__ockl_fprintf_append_string_n.has_recursion)
	.set .L__assert_fail.has_indirect_call, or(0, .L__ockl_fprintf_append_string_n.has_indirect_call)
	.section	.AMDGPU.csdata,"",@progbits
; Function info:
; codeLenInByte = 13844
; TotalNumSgprs: 38
; NumVgprs: 41
; ScratchSize: 64
; MemoryBound: 0
	.text
	.p2align	2                               ; -- Begin function _ZN12_GLOBAL__N_17runRingI14__hip_fp8_e4m38FuncProdIS1_E11ProtoSimpleILi2ELi2ELi0ELi1ELi0ELi0EELi0ELi0ELi1ELi0EEEviiP15ncclDevWorkColl
	.type	_ZN12_GLOBAL__N_17runRingI14__hip_fp8_e4m38FuncProdIS1_E11ProtoSimpleILi2ELi2ELi0ELi1ELi0ELi0EELi0ELi0ELi1ELi0EEEviiP15ncclDevWorkColl,@function
_ZN12_GLOBAL__N_17runRingI14__hip_fp8_e4m38FuncProdIS1_E11ProtoSimpleILi2ELi2ELi0ELi1ELi0ELi0EELi0ELi0ELi1ELi0EEEviiP15ncclDevWorkColl: ; @_ZN12_GLOBAL__N_17runRingI14__hip_fp8_e4m38FuncProdIS1_E11ProtoSimpleILi2ELi2ELi0ELi1ELi0ELi0EELi0ELi0ELi1ELi0EEEviiP15ncclDevWorkColl
; %bb.0:
	s_waitcnt vmcnt(0) expcnt(0) lgkmcnt(0)
	s_mov_b32 s4, s33
	s_mov_b32 s33, s32
	s_or_saveexec_b64 s[6:7], -1
	buffer_store_dword v63, off, s[0:3], s33 offset:304 ; 4-byte Folded Spill
	buffer_store_dword v62, off, s[0:3], s33 offset:308 ; 4-byte Folded Spill
	s_mov_b64 exec, s[6:7]
	v_writelane_b32 v63, s4, 34
	s_addk_i32 s32, 0x5000
	buffer_store_dword v40, off, s[0:3], s33 offset:52 ; 4-byte Folded Spill
	buffer_store_dword v41, off, s[0:3], s33 offset:48 ; 4-byte Folded Spill
	;; [unrolled: 1-line block ×13, first 2 shown]
	buffer_store_dword v61, off, s[0:3], s33 ; 4-byte Folded Spill
	v_writelane_b32 v63, s34, 0
	v_writelane_b32 v63, s35, 1
	;; [unrolled: 1-line block ×34, first 2 shown]
	v_mov_b32_e32 v16, v1
	s_trap 2
	flat_load_dword v1, v[2:3]
	ds_read_b32 v4, v0
	v_mov_b32_e32 v56, v0
                                        ; implicit-def: $vgpr14_vgpr15
                                        ; implicit-def: $vgpr5_vgpr6
                                        ; kill: killed $vgpr5_vgpr6
                                        ; implicit-def: $vgpr8_vgpr9
	s_waitcnt lgkmcnt(0)
	v_readfirstlane_b32 s66, v4
	s_waitcnt vmcnt(0)
	v_cmp_ne_u32_sdwa s[4:5], v4, v1 src0_sel:DWORD src1_sel:BYTE_0
	s_and_saveexec_b64 s[6:7], s[4:5]
	s_xor_b64 s[4:5], exec, s[6:7]
	s_cbranch_execz .LBB2_6
; %bb.1:
	v_not_b32_sdwa v0, v1 dst_sel:DWORD dst_unused:UNUSED_PAD src0_sel:BYTE_0
	v_cmp_ne_u32_sdwa s[6:7], v4, v1 src0_sel:DWORD src1_sel:BYTE_1
                                        ; implicit-def: $vgpr14_vgpr15
                                        ; implicit-def: $vgpr5_vgpr6
                                        ; kill: killed $vgpr5_vgpr6
                                        ; implicit-def: $vgpr8_vgpr9
	s_and_saveexec_b64 s[10:11], s[6:7]
	s_xor_b64 s[6:7], exec, s[10:11]
	s_cbranch_execz .LBB2_3
; %bb.2:
	flat_load_dwordx4 v[5:8], v[2:3] offset:72
	flat_load_dwordx2 v[9:10], v[2:3] offset:96
	v_add_u32_e32 v0, v4, v0
	v_ashrrev_i32_e32 v1, 31, v0
	s_waitcnt vmcnt(0) lgkmcnt(0)
	v_mul_lo_u32 v1, v7, v1
	v_mad_u64_u32 v[4:5], s[10:11], v7, v0, v[5:6]
	v_mul_lo_u32 v0, v8, v0
	v_lshrrev_b64 v[14:15], 12, v[9:10]
	v_mov_b32_e32 v9, v8
	v_mov_b32_e32 v8, v7
	v_add3_u32 v5, v0, v5, v1
	buffer_store_dword v4, off, s[0:3], s33 offset:248 ; 4-byte Folded Spill
	s_nop 0
	buffer_store_dword v5, off, s[0:3], s33 offset:252 ; 4-byte Folded Spill
                                        ; implicit-def: $vgpr1
                                        ; implicit-def: $vgpr0
.LBB2_3:
	s_andn2_saveexec_b64 s[6:7], s[6:7]
	s_cbranch_execz .LBB2_5
; %bb.4:
	flat_load_dwordx4 v[4:7], v[2:3] offset:72
	flat_load_dwordx4 v[8:11], v[2:3] offset:88
	v_add_u32_sdwa v0, v1, v0 dst_sel:DWORD dst_unused:UNUSED_PAD src0_sel:BYTE_1 src1_sel:DWORD
	v_ashrrev_i32_e32 v1, 31, v0
	s_waitcnt vmcnt(0) lgkmcnt(0)
	v_mul_lo_u32 v1, v6, v1
	v_mad_u64_u32 v[4:5], s[10:11], v6, v0, v[4:5]
	v_mul_lo_u32 v0, v7, v0
	v_lshrrev_b32_e32 v14, 1, v11
	v_add3_u32 v5, v0, v5, v1
	buffer_store_dword v4, off, s[0:3], s33 offset:248 ; 4-byte Folded Spill
	s_nop 0
	buffer_store_dword v5, off, s[0:3], s33 offset:252 ; 4-byte Folded Spill
.LBB2_5:
	s_or_b64 exec, exec, s[6:7]
.LBB2_6:
	s_andn2_saveexec_b64 s[4:5], s[4:5]
	s_cbranch_execz .LBB2_8
; %bb.7:
	flat_load_dwordx2 v[0:1], v[2:3] offset:96
	flat_load_dwordx2 v[8:9], v[2:3] offset:72
	s_waitcnt vmcnt(0) lgkmcnt(0)
	v_lshlrev_b64 v[14:15], 9, v[0:1]
	v_mov_b32_e32 v0, 0
	v_mov_b32_e32 v1, 0
	buffer_store_dword v0, off, s[0:3], s33 offset:248 ; 4-byte Folded Spill
	s_nop 0
	buffer_store_dword v1, off, s[0:3], s33 offset:252 ; 4-byte Folded Spill
.LBB2_8:
	s_or_b64 exec, exec, s[4:5]
	s_trap 2
	ds_read_b64 v[0:1], v0
	s_waitcnt lgkmcnt(0)
	v_cmp_ne_u32_e32 vcc, -1, v0
	v_cndmask_b32_e64 v0, 0, 1, vcc
	v_cmp_ne_u32_e32 vcc, -1, v1
	v_addc_co_u32_e64 v1, s[4:5], 0, v0, vcc
	v_lshlrev_b32_e32 v4, 1, v1
	v_cmp_le_u32_e64 s[4:5], v4, v16
	s_and_saveexec_b64 s[6:7], s[4:5]
	s_xor_b64 s[28:29], exec, s[6:7]
	s_cbranch_execnz .LBB2_9
; %bb.4814:
	s_getpc_b64 s[98:99]
.Lpost_getpc0:
	s_add_u32 s98, s98, (.LBB2_4811-.Lpost_getpc0)&4294967295
	s_addc_u32 s99, s99, (.LBB2_4811-.Lpost_getpc0)>>32
	s_setpc_b64 s[98:99]
.LBB2_9:
	buffer_store_dword v8, off, s[0:3], s33 offset:232 ; 4-byte Folded Spill
	s_nop 0
	buffer_store_dword v9, off, s[0:3], s33 offset:236 ; 4-byte Folded Spill
	buffer_store_dword v10, off, s[0:3], s33 offset:240 ; 4-byte Folded Spill
	buffer_store_dword v11, off, s[0:3], s33 offset:244 ; 4-byte Folded Spill
	flat_load_dwordx4 v[10:13], v[2:3] offset:16
	s_nop 0
	flat_load_dwordx2 v[28:29], v[2:3] offset:104
	flat_load_ushort v7, v[2:3] offset:8
	flat_load_dword v6, v[2:3] offset:4
	s_trap 2
	s_load_dword s4, s[8:9], 0x0
	v_mov_b32_e32 v4, 0
	v_mov_b32_e32 v20, 4
	s_waitcnt lgkmcnt(0)
	s_cmp_lt_u32 s12, s4
	s_cselect_b32 s4, 12, 18
	s_add_u32 s4, s8, s4
	s_addc_u32 s5, s9, 0
	global_load_ushort v15, v4, s[4:5]
	ds_read_b32 v4, v0
	v_cmp_ge_i32_e64 s[4:5], v56, v0
	s_waitcnt lgkmcnt(0)
	v_readfirstlane_b32 s24, v4
	s_and_saveexec_b64 s[6:7], s[4:5]
	s_cbranch_execz .LBB2_19
; %bb.10:
	v_cmp_ge_u32_e64 s[4:5], v56, v1
                                        ; implicit-def: $vgpr20
	s_and_saveexec_b64 s[10:11], s[4:5]
	s_xor_b64 s[4:5], exec, s[10:11]
	s_cbranch_execz .LBB2_16
; %bb.11:
	v_cndmask_b32_e64 v4, 0, 1, vcc
	v_sub_u32_e32 v4, v16, v4
	v_cmp_ge_u32_e32 vcc, v56, v4
	s_and_saveexec_b64 s[10:11], vcc
	s_xor_b64 s[10:11], exec, s[10:11]
; %bb.12:
                                        ; implicit-def: $vgpr1
; %bb.13:
	s_or_saveexec_b64 s[10:11], s[10:11]
	v_mov_b32_e32 v20, 16
	s_xor_b64 exec, exec, s[10:11]
; %bb.14:
	v_sub_u32_e32 v1, v16, v1
	v_cmp_lt_i32_e32 vcc, v56, v1
	v_cndmask_b32_e64 v20, 32, 0, vcc
; %bb.15:
	s_or_b64 exec, exec, s[10:11]
.LBB2_16:
	s_andn2_saveexec_b64 s[4:5], s[4:5]
; %bb.17:
	v_mov_b32_e32 v20, 8
; %bb.18:
	s_or_b64 exec, exec, s[4:5]
.LBB2_19:
	s_or_b64 exec, exec, s[6:7]
	v_and_b32_e32 v1, 36, v20
	v_cmp_ne_u32_e32 vcc, 0, v1
	v_mov_b32_e32 v8, -1
	s_and_saveexec_b64 s[4:5], vcc
	s_cbranch_execz .LBB2_21
; %bb.20:
	s_trap 2
	ds_read_b32 v8, v0
.LBB2_21:
	s_or_b64 exec, exec, s[4:5]
	v_and_b32_e32 v1, 24, v20
	v_cmp_ne_u32_e64 s[4:5], 0, v1
	s_and_saveexec_b64 s[6:7], s[4:5]
	s_cbranch_execz .LBB2_23
; %bb.22:
	s_trap 2
	s_waitcnt lgkmcnt(0)
	ds_read_b32 v8, v0
.LBB2_23:
	s_or_b64 exec, exec, s[6:7]
	s_waitcnt vmcnt(0)
	v_lshrrev_b64 v[4:5], 31, v[6:7]
	v_mov_b32_e32 v5, 0
	v_mov_b32_e32 v6, 0
	buffer_store_dword v5, off, s[0:3], s33 offset:276 ; 4-byte Folded Spill
	s_nop 0
	buffer_store_dword v6, off, s[0:3], s33 offset:280 ; 4-byte Folded Spill
	v_mov_b32_e32 v24, 0
	v_and_b32_e32 v1, 3, v4
	v_mov_b32_e32 v25, 0
	s_waitcnt lgkmcnt(0)
	v_ashrrev_i32_e32 v9, 31, v8
                                        ; implicit-def: $vgpr4_vgpr5
                                        ; kill: killed $vgpr4_vgpr5
                                        ; implicit-def: $vgpr47
                                        ; implicit-def: $vgpr50_vgpr51
                                        ; implicit-def: $vgpr4_vgpr5
                                        ; kill: killed $vgpr4_vgpr5
                                        ; implicit-def: $vgpr32_vgpr33
                                        ; implicit-def: $vgpr22_vgpr23
	s_and_saveexec_b64 s[4:5], vcc
	s_cbranch_execz .LBB2_33
; %bb.24:
	s_trap 2
	ds_read_b64 v[4:5], v0
	v_lshlrev_b64 v[6:7], 3, v[8:9]
	s_movk_i32 s6, 0xa8
	s_waitcnt lgkmcnt(0)
	v_add_co_u32_e32 v4, vcc, v4, v6
	v_addc_co_u32_e32 v5, vcc, v5, v7, vcc
	flat_load_dwordx2 v[4:5], v[4:5]
	v_and_b32_e32 v6, 0xffff, v1
	s_waitcnt vmcnt(0) lgkmcnt(0)
	v_mad_u64_u32 v[26:27], s[6:7], v6, s6, v[4:5]
	flat_load_dword v4, v[26:27] offset:640
	s_waitcnt vmcnt(0) lgkmcnt(0)
	v_cmp_eq_u32_e32 vcc, 1, v4
                                        ; implicit-def: $vgpr4_vgpr5
                                        ; kill: killed $vgpr4_vgpr5
	s_and_saveexec_b64 s[6:7], vcc
	s_cbranch_execz .LBB2_26
; %bb.25:
	flat_load_dwordx2 v[6:7], v[26:27] offset:648
	v_or_b32_e32 v20, 0x2000, v20
	s_waitcnt vmcnt(0) lgkmcnt(0)
	flat_load_dwordx2 v[4:5], v[6:7]
	s_trap 2
	s_waitcnt vmcnt(0) lgkmcnt(0)
	ds_write_b64 v0, v[4:5]
	flat_load_dwordx2 v[4:5], v[6:7] offset:8
	s_waitcnt vmcnt(0) lgkmcnt(0)
	ds_write_b64 v0, v[4:5]
	buffer_store_dword v6, off, s[0:3], s33 offset:296 ; 4-byte Folded Spill
	s_nop 0
	buffer_store_dword v7, off, s[0:3], s33 offset:300 ; 4-byte Folded Spill
	flat_load_dwordx2 v[4:5], v[6:7] offset:16
	s_waitcnt vmcnt(0) lgkmcnt(0)
	ds_write_b64 v0, v[4:5]
.LBB2_26:
	s_or_b64 exec, exec, s[6:7]
	flat_load_dwordx2 v[4:5], v[26:27] offset:608
	v_and_b32_e32 v6, 32, v20
                                        ; implicit-def: $vgpr22_vgpr23
	s_waitcnt vmcnt(0) lgkmcnt(0)
	v_add_co_u32_e32 v4, vcc, 3, v4
	v_addc_co_u32_e32 v51, vcc, 0, v5, vcc
	v_and_b32_e32 v50, -4, v4
	v_cmp_ne_u32_e32 vcc, 0, v6
	s_and_saveexec_b64 s[6:7], vcc
	s_cbranch_execz .LBB2_28
; %bb.27:
	flat_load_dwordx2 v[22:23], v[26:27] offset:560
	s_waitcnt vmcnt(0) lgkmcnt(0)
	flat_store_dwordx2 v[22:23], v[50:51]
.LBB2_28:
	s_or_b64 exec, exec, s[6:7]
	v_add_co_u32_e32 v4, vcc, 0x1f8, v26
	v_addc_co_u32_e32 v5, vcc, 0, v27, vcc
	buffer_store_dword v4, off, s[0:3], s33 offset:276 ; 4-byte Folded Spill
	s_nop 0
	buffer_store_dword v5, off, s[0:3], s33 offset:280 ; 4-byte Folded Spill
	v_and_b32_e32 v4, 4, v20
	v_mov_b32_e32 v24, 0
	v_mov_b32_e32 v25, 0
	v_cmp_ne_u32_e32 vcc, 0, v4
                                        ; implicit-def: $vgpr47
                                        ; implicit-def: $vgpr4_vgpr5
                                        ; kill: killed $vgpr4_vgpr5
                                        ; implicit-def: $vgpr32_vgpr33
	s_and_saveexec_b64 s[6:7], vcc
	s_cbranch_execz .LBB2_32
; %bb.29:
	v_and_b32_e32 v4, 0x800, v20
	v_cmp_eq_u32_e32 vcc, 0, v4
	s_and_saveexec_b64 s[10:11], vcc
	s_cbranch_execz .LBB2_31
; %bb.30:
	s_trap 2
	buffer_load_dword v4, off, s[0:3], s33 offset:276 ; 4-byte Folded Reload
	buffer_load_dword v5, off, s[0:3], s33 offset:280 ; 4-byte Folded Reload
	s_waitcnt vmcnt(0)
	ds_write_b64 v0, v[4:5]
.LBB2_31:
	s_or_b64 exec, exec, s[10:11]
	flat_load_dwordx2 v[22:23], v[26:27] offset:552
	v_or_b32_e32 v4, 0x100, v20
	s_waitcnt vmcnt(0) lgkmcnt(0)
	flat_load_dwordx2 v[32:33], v[22:23] glc
	flat_load_dwordx2 v[5:6], v[26:27] offset:600
	flat_load_dword v47, v[26:27] offset:576
	flat_load_dwordx2 v[17:18], v[26:27] offset:520
	s_waitcnt vmcnt(0) lgkmcnt(0)
	buffer_store_dword v17, off, s[0:3], s33 offset:72 ; 4-byte Folded Spill
	s_nop 0
	buffer_store_dword v18, off, s[0:3], s33 offset:76 ; 4-byte Folded Spill
	v_cmp_eq_u64_e32 vcc, 0, v[5:6]
	v_mov_b32_e32 v25, v6
	v_mov_b32_e32 v24, v5
	v_cndmask_b32_e32 v20, v4, v20, vcc
.LBB2_32:
	s_or_b64 exec, exec, s[6:7]
.LBB2_33:
	s_or_b64 exec, exec, s[4:5]
	v_and_b32_e32 v4, 24, v20
	v_cmp_ne_u32_e32 vcc, 0, v4
                                        ; implicit-def: $vgpr4_vgpr5
                                        ; kill: killed $vgpr4_vgpr5
	s_and_saveexec_b64 s[4:5], vcc
	s_cbranch_execz .LBB2_41
; %bb.34:
	s_trap 2
	ds_read_b64 v[4:5], v0
	v_lshlrev_b64 v[6:7], 3, v[8:9]
	v_and_b32_e32 v1, 0xffff, v1
	s_movk_i32 s6, 0xa8
	s_waitcnt lgkmcnt(0)
	v_add_co_u32_e32 v4, vcc, v4, v6
	v_addc_co_u32_e32 v5, vcc, v5, v7, vcc
	flat_load_dwordx2 v[4:5], v[4:5]
	s_waitcnt vmcnt(0) lgkmcnt(0)
	v_mad_u64_u32 v[4:5], s[6:7], v1, s6, v[4:5]
	buffer_store_dword v4, off, s[0:3], s33 offset:276 ; 4-byte Folded Spill
	s_nop 0
	buffer_store_dword v5, off, s[0:3], s33 offset:280 ; 4-byte Folded Spill
	v_or_b32_e32 v1, 0x100, v20
	flat_load_dwordx4 v[24:27], v[4:5] offset:96
                                        ; implicit-def: $vgpr4_vgpr5
                                        ; kill: killed $vgpr4_vgpr5
	s_waitcnt vmcnt(0) lgkmcnt(0)
	v_cmp_eq_u64_e32 vcc, 0, v[24:25]
	v_cndmask_b32_e32 v20, v1, v20, vcc
	v_and_b32_e32 v1, 16, v20
	v_cmp_ne_u32_e32 vcc, 0, v1
	s_and_saveexec_b64 s[6:7], vcc
	s_cbranch_execz .LBB2_36
; %bb.35:
	buffer_load_dword v4, off, s[0:3], s33 offset:276 ; 4-byte Folded Reload
	buffer_load_dword v5, off, s[0:3], s33 offset:280 ; 4-byte Folded Reload
	s_waitcnt vmcnt(0)
	flat_load_dwordx2 v[22:23], v[4:5] offset:48
	flat_load_dwordx2 v[6:7], v[4:5] offset:120
	s_waitcnt vmcnt(0) lgkmcnt(0)
	buffer_store_dword v6, off, s[0:3], s33 offset:80 ; 4-byte Folded Spill
	s_nop 0
	buffer_store_dword v7, off, s[0:3], s33 offset:84 ; 4-byte Folded Spill
	flat_load_dwordx2 v[4:5], v[4:5] offset:16
	s_waitcnt vmcnt(0) lgkmcnt(0)
	buffer_store_dword v4, off, s[0:3], s33 offset:72 ; 4-byte Folded Spill
	s_nop 0
	buffer_store_dword v5, off, s[0:3], s33 offset:76 ; 4-byte Folded Spill
.LBB2_36:
	s_or_b64 exec, exec, s[6:7]
	v_add_co_u32_e32 v1, vcc, 3, v26
	v_addc_co_u32_e32 v51, vcc, 0, v27, vcc
	v_and_b32_e32 v50, -4, v1
	v_and_b32_e32 v1, 8, v20
	v_cmp_ne_u32_e32 vcc, 0, v1
	s_and_saveexec_b64 s[6:7], vcc
	s_cbranch_execz .LBB2_40
; %bb.37:
	v_and_b32_e32 v1, 0x800, v20
	v_cmp_eq_u32_e32 vcc, 0, v1
	s_and_saveexec_b64 s[10:11], vcc
	s_cbranch_execz .LBB2_39
; %bb.38:
	s_trap 2
	buffer_load_dword v4, off, s[0:3], s33 offset:276 ; 4-byte Folded Reload
	buffer_load_dword v5, off, s[0:3], s33 offset:280 ; 4-byte Folded Reload
	s_waitcnt vmcnt(0)
	ds_write_b64 v0, v[4:5]
.LBB2_39:
	s_or_b64 exec, exec, s[10:11]
	buffer_load_dword v4, off, s[0:3], s33 offset:276 ; 4-byte Folded Reload
	buffer_load_dword v5, off, s[0:3], s33 offset:280 ; 4-byte Folded Reload
	s_waitcnt vmcnt(0)
	flat_load_dwordx2 v[22:23], v[4:5] offset:56
	s_waitcnt vmcnt(0) lgkmcnt(0)
	flat_load_dwordx2 v[32:33], v[22:23] glc
	flat_load_dword v47, v[4:5] offset:72
	s_nop 0
	flat_load_dwordx2 v[4:5], v[4:5] offset:16
	s_waitcnt vmcnt(0) lgkmcnt(0)
	buffer_store_dword v4, off, s[0:3], s33 offset:72 ; 4-byte Folded Spill
	s_nop 0
	buffer_store_dword v5, off, s[0:3], s33 offset:76 ; 4-byte Folded Spill
.LBB2_40:
	s_or_b64 exec, exec, s[6:7]
.LBB2_41:
	s_or_b64 exec, exec, s[4:5]
	v_cmp_eq_u32_e64 s[4:5], 0, v56
	s_and_saveexec_b64 s[6:7], s[4:5]
	s_cbranch_execz .LBB2_43
; %bb.42:
	flat_load_dwordx2 v[4:5], v[2:3] offset:32
	v_mov_b32_e32 v6, v12
	v_mov_b32_e32 v7, v13
	v_mov_b32_e32 v8, v10
	v_mov_b32_e32 v9, v11
	ds_write2_b64 v0, v[6:7], v[8:9] offset1:1
	s_trap 2
	s_waitcnt vmcnt(0) lgkmcnt(0)
	ds_write_b64 v0, v[4:5]
	ds_write_b64 v0, v[28:29]
.LBB2_43:
	s_or_b64 exec, exec, s[6:7]
	buffer_load_dword v4, off, s[0:3], s33 offset:232 ; 4-byte Folded Reload
	buffer_load_dword v5, off, s[0:3], s33 offset:236 ; 4-byte Folded Reload
	buffer_load_dword v6, off, s[0:3], s33 offset:240 ; 4-byte Folded Reload
	buffer_load_dword v7, off, s[0:3], s33 offset:244 ; 4-byte Folded Reload
	v_mov_b32_e32 v28, 0
	v_mov_b32_e32 v29, 0
	s_waitcnt vmcnt(0)
	v_cmp_lt_i64_e32 vcc, 0, v[4:5]
	s_mov_b64 s[6:7], exec
                                        ; implicit-def: $vgpr62 : SGPR spill to VGPR lane
	v_writelane_b32 v62, s6, 0
	v_writelane_b32 v62, s7, 1
	s_and_b64 s[6:7], s[6:7], vcc
	s_mov_b64 exec, s[6:7]
	s_cbranch_execnz .LBB2_44
; %bb.4816:
	s_getpc_b64 s[98:99]
.Lpost_getpc1:
	s_add_u32 s98, s98, (.LBB2_4777-.Lpost_getpc1)&4294967295
	s_addc_u32 s99, s99, (.LBB2_4777-.Lpost_getpc1)>>32
	s_setpc_b64 s[98:99]
.LBB2_44:
	v_ashrrev_i32_e32 v5, 31, v47
	flat_load_dword v1, v[2:3] offset:4
	v_and_b32_e32 v2, 0x3ffffe00, v14
	buffer_store_dword v31, off, s[0:3], s33 offset:288 ; 4-byte Folded Spill
	buffer_store_dword v5, off, s[0:3], s33 offset:104 ; 4-byte Folded Spill
	s_trap 2
	buffer_store_dword v15, off, s[0:3], s33 offset:292 ; 4-byte Folded Spill
	buffer_store_dword v16, off, s[0:3], s33 offset:284 ; 4-byte Folded Spill
	buffer_load_dword v6, off, s[0:3], s33 offset:80 ; 4-byte Folded Reload
	buffer_load_dword v7, off, s[0:3], s33 offset:84 ; 4-byte Folded Reload
	v_and_b32_e32 v4, 63, v31
	v_ashrrev_i32_e32 v5, 31, v56
	v_mad_i64_i32 v[12:13], s[16:17], v2, s66, 0
	v_and_b32_e32 v54, 0x3fc0, v16
	v_cmp_eq_u32_e64 s[16:17], 0, v4
	v_lshrrev_b32_e32 v4, 26, v5
	s_ashr_i32 s67, s66, 31
	v_lshrrev_b32_e32 v17, 6, v16
	s_add_u32 s81, s66, -1
	v_lshlrev_b32_e32 v38, 10, v17
	v_add_u32_e32 v4, v56, v4
	s_movk_i32 s20, 0x400
	s_addc_u32 s82, s67, -1
	s_add_i32 s83, s66, s66
	s_not_b32 s21, s66
	v_ashrrev_i32_e32 v8, 6, v4
	v_and_b32_e32 v4, 0xffffffc0, v4
	s_cmp_gt_i32 s66, 0
	s_cselect_b32 s21, s21, -1
	s_ashr_i32 s22, s24, 31
	v_mov_b32_e32 v3, 0
	s_add_i32 s84, s21, s83
	s_lshr_b32 s25, s22, 25
	s_add_i32 s24, s24, s25
	s_ashr_i32 s85, s84, 31
	s_ashr_i32 s86, s24, 7
	s_cmp_gt_i32 s66, 2
	s_cselect_b64 s[74:75], -1, 0
	s_add_i32 s26, s66, 1
	v_writelane_b32 v62, s28, 2
	s_mov_b32 s56, -1
	v_cmp_ge_i32_e32 vcc, v56, v16
	v_mov_b32_e32 v10, 0
	v_mov_b32_e32 v28, 0
	v_writelane_b32 v62, s29, 3
	s_mov_b32 s57, 0xffffff
	v_cmp_eq_u32_e64 s[6:7], 64, v16
	v_cmp_ne_u32_e64 s[10:11], 64, v16
	v_cmp_ne_u32_sdwa s[58:59], v16, v15 src0_sel:DWORD src1_sel:WORD_0
	s_movk_i32 s68, 0xffc0
	s_mov_b64 s[60:61], 0
	v_mov_b32_e32 v11, 0
	v_mov_b32_e32 v29, 0
	s_movk_i32 s69, 0x108
	s_movk_i32 s70, 0x80
	s_movk_i32 s71, 0x7f
	s_mov_b64 s[62:63], 0x7f800000
	s_mov_b64 s[72:73], 0x43e00001
	s_movk_i32 s80, 0x7a
	v_lshlrev_b32_e32 v39, 9, v17
	s_mov_b64 s[88:89], 0xffffff
	v_bfrev_b32_e32 v49, 60
	v_bfrev_b32_e32 v35, 1
	s_waitcnt vmcnt(0)
	v_cmp_eq_u64_e64 s[12:13], 0, v[6:7]
	v_cmp_ne_u64_e64 s[14:15], 0, v[6:7]
	v_lshlrev_b32_e32 v6, 4, v56
	v_ashrrev_i32_e32 v5, 31, v6
	buffer_store_dword v5, off, s[0:3], s33 offset:192 ; 4-byte Folded Spill
	v_subrev_u32_e32 v5, 64, v54
	v_ashrrev_i32_e32 v7, 31, v5
	buffer_store_dword v5, off, s[0:3], s33 offset:88 ; 4-byte Folded Spill
	v_add_co_u32_e64 v5, s[18:19], 64, v5
	buffer_store_dword v6, off, s[0:3], s33 offset:136 ; 4-byte Folded Spill
	v_add_u32_e32 v6, 0xfffffc00, v38
	buffer_store_dword v5, off, s[0:3], s33 offset:96 ; 4-byte Folded Spill
	buffer_store_dword v7, off, s[0:3], s33 offset:92 ; 4-byte Folded Spill
	v_addc_co_u32_e64 v5, s[18:19], 0, v7, s[18:19]
	v_ashrrev_i32_e32 v9, 31, v6
	buffer_store_dword v5, off, s[0:3], s33 offset:100 ; 4-byte Folded Spill
	v_sub_u32_e32 v5, v56, v4
	v_lshlrev_b32_e32 v4, 11, v8
	v_sub_u32_e32 v7, 0, v8
	v_add_co_u32_e64 v6, s[18:19], s20, v6
	buffer_store_dword v8, off, s[0:3], s33 offset:108 ; 4-byte Folded Spill
	buffer_store_dword v7, off, s[0:3], s33 offset:140 ; 4-byte Folded Spill
	;; [unrolled: 1-line block ×4, first 2 shown]
	v_addc_co_u32_e64 v6, s[18:19], 0, v9, s[18:19]
	v_lshl_add_u32 v4, v5, 4, v4
	v_cmp_gt_i32_e64 s[18:19], 1, v5
	v_cmp_lt_i32_e64 s[20:21], v5, v0
	buffer_store_dword v5, off, s[0:3], s33 offset:152 ; 4-byte Folded Spill
	v_cmp_le_i32_e64 s[22:23], v5, v0
	v_ashrrev_i32_e32 v5, 31, v4
	buffer_store_dword v6, off, s[0:3], s33 offset:68 ; 4-byte Folded Spill
	buffer_store_dword v4, off, s[0:3], s33 offset:208 ; 4-byte Folded Spill
	s_nop 0
	buffer_store_dword v5, off, s[0:3], s33 offset:212 ; 4-byte Folded Spill
	buffer_store_dword v2, off, s[0:3], s33 offset:184 ; 4-byte Folded Spill
	s_nop 0
	buffer_store_dword v3, off, s[0:3], s33 offset:188 ; 4-byte Folded Spill
	buffer_store_dword v56, off, s[0:3], s33 offset:148 ; 4-byte Folded Spill
	buffer_load_dword v6, off, s[0:3], s33 offset:232 ; 4-byte Folded Reload
	buffer_load_dword v7, off, s[0:3], s33 offset:236 ; 4-byte Folded Reload
	;; [unrolled: 1-line block ×4, first 2 shown]
	s_waitcnt lgkmcnt(0)
	v_and_b32_e32 v0, 1, v1
	v_cmp_eq_u32_e64 s[24:25], 1, v0
	s_xor_b64 s[76:77], s[24:25], -1
	s_cmp_ge_i32 s26, s66
	s_cselect_b32 s27, s66, 0
	s_sub_i32 s96, s26, s27
	s_waitcnt vmcnt(0)
	v_mov_b32_e32 v8, v24
	s_add_i32 s87, s66, -2
	s_xor_b64 s[78:79], vcc, -1
	s_ashr_i32 s97, s96, 31
	v_mov_b32_e32 v5, 0x7f800001
	v_mov_b32_e32 v1, 0x78
	;; [unrolled: 1-line block ×4, first 2 shown]
	buffer_store_dword v8, off, s[0:3], s33 offset:112 ; 4-byte Folded Spill
	s_nop 0
	buffer_store_dword v9, off, s[0:3], s33 offset:116 ; 4-byte Folded Spill
	buffer_store_dword v10, off, s[0:3], s33 offset:120 ; 4-byte Folded Spill
	;; [unrolled: 1-line block ×6, first 2 shown]
	s_nop 0
	buffer_store_dword v13, off, s[0:3], s33 offset:260 ; 4-byte Folded Spill
	s_branch .LBB2_47
.LBB2_45:                               ;   in Loop: Header=BB2_47 Depth=1
	s_or_b64 exec, exec, s[40:41]
.LBB2_46:                               ;   in Loop: Header=BB2_47 Depth=1
	s_or_b64 exec, exec, s[28:29]
	buffer_load_dword v10, off, s[0:3], s33 offset:216 ; 4-byte Folded Reload
	buffer_load_dword v11, off, s[0:3], s33 offset:220 ; 4-byte Folded Reload
	;; [unrolled: 1-line block ×8, first 2 shown]
	s_waitcnt vmcnt(0)
	v_add_co_u32_e32 v10, vcc, v10, v12
	v_addc_co_u32_e32 v11, vcc, v11, v13, vcc
	v_cmp_ge_i64_e32 vcc, v[10:11], v[6:7]
	s_or_b64 s[60:61], vcc, s[60:61]
	s_andn2_b64 exec, exec, s[60:61]
	s_cbranch_execnz .LBB2_47
; %bb.4818:
	s_getpc_b64 s[98:99]
.Lpost_getpc2:
	s_add_u32 s98, s98, (.LBB2_4776-.Lpost_getpc2)&4294967295
	s_addc_u32 s99, s99, (.LBB2_4776-.Lpost_getpc2)>>32
	s_setpc_b64 s[98:99]
.LBB2_47:                               ; =>This Loop Header: Depth=1
                                        ;     Child Loop BB2_57 Depth 2
                                        ;       Child Loop BB2_65 Depth 3
                                        ;       Child Loop BB2_89 Depth 3
                                        ;       Child Loop BB2_108 Depth 3
                                        ;       Child Loop BB2_130 Depth 3
                                        ;       Child Loop BB2_135 Depth 3
                                        ;       Child Loop BB2_143 Depth 3
                                        ;       Child Loop BB2_148 Depth 3
                                        ;       Child Loop BB2_157 Depth 3
                                        ;       Child Loop BB2_181 Depth 3
                                        ;     Child Loop BB2_199 Depth 2
                                        ;       Child Loop BB2_205 Depth 3
                                        ;       Child Loop BB2_229 Depth 3
	;; [unrolled: 1-line block ×3, first 2 shown]
                                        ;     Child Loop BB2_271 Depth 2
                                        ;       Child Loop BB2_274 Depth 3
                                        ;         Child Loop BB2_282 Depth 4
                                        ;         Child Loop BB2_310 Depth 4
	;; [unrolled: 1-line block ×9, first 2 shown]
                                        ;       Child Loop BB2_1604 Depth 3
                                        ;         Child Loop BB2_1610 Depth 4
                                        ;         Child Loop BB2_1638 Depth 4
	;; [unrolled: 1-line block ×3, first 2 shown]
                                        ;     Child Loop BB2_1679 Depth 2
                                        ;       Child Loop BB2_1687 Depth 3
                                        ;       Child Loop BB2_1715 Depth 3
	;; [unrolled: 1-line block ×4, first 2 shown]
                                        ;         Child Loop BB2_2186 Depth 4
                                        ;       Child Loop BB2_2212 Depth 3
                                        ;         Child Loop BB2_2641 Depth 4
                                        ;       Child Loop BB2_2671 Depth 3
                                        ;       Child Loop BB2_2931 Depth 3
                                        ;         Child Loop BB2_2964 Depth 4
                                        ;       Child Loop BB2_2977 Depth 3
                                        ;       Child Loop BB2_3430 Depth 3
	;; [unrolled: 1-line block ×6, first 2 shown]
                                        ;     Child Loop BB2_4229 Depth 2
                                        ;       Child Loop BB2_4235 Depth 3
                                        ;       Child Loop BB2_4263 Depth 3
	;; [unrolled: 1-line block ×3, first 2 shown]
                                        ;     Child Loop BB2_4305 Depth 2
                                        ;       Child Loop BB2_4308 Depth 3
                                        ;         Child Loop BB2_4316 Depth 4
                                        ;         Child Loop BB2_4344 Depth 4
	;; [unrolled: 1-line block ×4, first 2 shown]
                                        ;           Child Loop BB2_4388 Depth 5
                                        ;         Child Loop BB2_4394 Depth 4
                                        ;           Child Loop BB2_4395 Depth 5
                                        ;         Child Loop BB2_4404 Depth 4
                                        ;         Child Loop BB2_4409 Depth 4
                                        ;           Child Loop BB2_4410 Depth 5
                                        ;         Child Loop BB2_4422 Depth 4
                                        ;         Child Loop BB2_4427 Depth 4
	;; [unrolled: 1-line block ×6, first 2 shown]
                                        ;       Child Loop BB2_4491 Depth 3
                                        ;         Child Loop BB2_4497 Depth 4
                                        ;         Child Loop BB2_4525 Depth 4
	;; [unrolled: 1-line block ×3, first 2 shown]
                                        ;     Child Loop BB2_4570 Depth 2
                                        ;       Child Loop BB2_4578 Depth 3
                                        ;       Child Loop BB2_4602 Depth 3
	;; [unrolled: 1-line block ×9, first 2 shown]
                                        ;     Child Loop BB2_4710 Depth 2
                                        ;       Child Loop BB2_4716 Depth 3
                                        ;       Child Loop BB2_4740 Depth 3
	;; [unrolled: 1-line block ×3, first 2 shown]
	buffer_store_dword v10, off, s[0:3], s33 offset:216 ; 4-byte Folded Spill
	s_nop 0
	buffer_store_dword v11, off, s[0:3], s33 offset:220 ; 4-byte Folded Spill
	v_sub_co_u32_e32 v6, vcc, v6, v10
	v_subb_co_u32_e32 v7, vcc, v7, v11, vcc
	buffer_store_dword v6, off, s[0:3], s33 offset:168 ; 4-byte Folded Spill
	s_nop 0
	buffer_store_dword v7, off, s[0:3], s33 offset:172 ; 4-byte Folded Spill
	v_cmp_lt_i64_e32 vcc, v[6:7], v[12:13]
	s_and_saveexec_b64 s[28:29], vcc
	s_cbranch_execz .LBB2_53
; %bb.48:                               ;   in Loop: Header=BB2_47 Depth=1
	buffer_load_dword v6, off, s[0:3], s33 offset:168 ; 4-byte Folded Reload
	buffer_load_dword v7, off, s[0:3], s33 offset:172 ; 4-byte Folded Reload
	v_mov_b32_e32 v4, s82
                                        ; implicit-def: $vgpr8_vgpr9
	s_waitcnt vmcnt(0)
	v_add_co_u32_e32 v2, vcc, s81, v6
	s_waitcnt vmcnt(0)
	v_addc_co_u32_e32 v4, vcc, v4, v7, vcc
	v_or_b32_e32 v7, s67, v4
	v_mov_b32_e32 v6, v3
	v_cmp_ne_u64_e32 vcc, 0, v[6:7]
	s_and_saveexec_b64 s[26:27], vcc
	s_xor_b64 s[40:41], exec, s[26:27]
	s_cbranch_execz .LBB2_50
; %bb.49:                               ;   in Loop: Header=BB2_47 Depth=1
	s_ashr_i32 s42, s67, 31
	s_add_u32 s26, s66, s42
	s_mov_b32 s43, s42
	s_addc_u32 s27, s67, s42
	s_xor_b64 s[90:91], s[26:27], s[42:43]
	v_cvt_f32_u32_e32 v6, s90
	v_cvt_f32_u32_e32 v7, s91
	s_sub_u32 s43, 0, s90
	s_subb_u32 s44, 0, s91
	v_ashrrev_i32_e32 v10, 31, v4
	v_mac_f32_e32 v6, 0x4f800000, v7
	v_rcp_f32_e32 v6, v6
	v_add_co_u32_e32 v2, vcc, v2, v10
	v_xor_b32_e32 v2, v2, v10
	v_mul_f32_e32 v6, 0x5f7ffffc, v6
	v_mul_f32_e32 v7, 0x2f800000, v6
	v_trunc_f32_e32 v7, v7
	v_mac_f32_e32 v6, 0xcf800000, v7
	v_cvt_u32_f32_e32 v7, v7
	v_cvt_u32_f32_e32 v6, v6
	v_addc_co_u32_e32 v4, vcc, v4, v10, vcc
	v_readfirstlane_b32 s45, v7
	v_readfirstlane_b32 s26, v6
	s_mul_i32 s27, s43, s45
	s_mul_hi_u32 s47, s43, s26
	s_mul_i32 s46, s44, s26
	s_add_i32 s27, s47, s27
	s_add_i32 s27, s27, s46
	s_mul_i32 s92, s43, s26
	s_mul_i32 s47, s26, s27
	s_mul_hi_u32 s93, s26, s92
	s_mul_hi_u32 s46, s26, s27
	s_add_u32 s47, s93, s47
	s_addc_u32 s46, 0, s46
	s_mul_hi_u32 s94, s45, s92
	s_mul_i32 s92, s45, s92
	s_add_u32 s47, s47, s92
	s_mul_hi_u32 s93, s45, s27
	s_addc_u32 s46, s46, s94
	s_addc_u32 s47, s93, 0
	s_mul_i32 s27, s45, s27
	s_add_u32 s27, s46, s27
	s_addc_u32 s46, 0, s47
	s_add_u32 s47, s26, s27
	s_cselect_b64 s[26:27], -1, 0
	s_cmp_lg_u64 s[26:27], 0
	s_addc_u32 s45, s45, s46
	s_mul_i32 s26, s43, s45
	s_mul_hi_u32 s27, s43, s47
	s_add_i32 s26, s27, s26
	s_mul_i32 s44, s44, s47
	s_add_i32 s26, s26, s44
	s_mul_i32 s43, s43, s47
	s_mul_hi_u32 s44, s45, s43
	s_mul_i32 s46, s45, s43
	s_mul_i32 s93, s47, s26
	s_mul_hi_u32 s43, s47, s43
	s_mul_hi_u32 s92, s47, s26
	s_add_u32 s43, s43, s93
	s_addc_u32 s92, 0, s92
	s_add_u32 s43, s43, s46
	s_mul_hi_u32 s27, s45, s26
	s_addc_u32 s43, s92, s44
	s_addc_u32 s27, s27, 0
	s_mul_i32 s26, s45, s26
	s_add_u32 s26, s43, s26
	s_addc_u32 s43, 0, s27
	s_add_u32 s44, s47, s26
	s_cselect_b64 s[26:27], -1, 0
	s_cmp_lg_u64 s[26:27], 0
	s_addc_u32 s43, s45, s43
	v_mad_u64_u32 v[6:7], s[26:27], v2, s43, 0
	v_mul_hi_u32 v8, v2, s44
	v_xor_b32_e32 v4, v4, v10
	v_add_co_u32_e32 v11, vcc, v8, v6
	v_addc_co_u32_e32 v12, vcc, 0, v7, vcc
	v_mad_u64_u32 v[6:7], s[26:27], v4, s44, 0
	v_mad_u64_u32 v[8:9], s[26:27], v4, s43, 0
	v_add_co_u32_e32 v6, vcc, v11, v6
	v_addc_co_u32_e32 v6, vcc, v12, v7, vcc
	v_addc_co_u32_e32 v7, vcc, 0, v9, vcc
	v_add_co_u32_e32 v8, vcc, v6, v8
	v_addc_co_u32_e32 v9, vcc, 0, v7, vcc
	v_mul_lo_u32 v11, s91, v8
	v_mul_lo_u32 v12, s90, v9
	v_mad_u64_u32 v[6:7], s[26:27], s90, v8, 0
	v_add3_u32 v7, v7, v12, v11
	v_sub_u32_e32 v11, v4, v7
	v_mov_b32_e32 v12, s91
	v_sub_co_u32_e32 v2, vcc, v2, v6
	v_subb_co_u32_e64 v6, s[26:27], v11, v12, vcc
	v_subrev_co_u32_e64 v11, s[26:27], s90, v2
	v_subbrev_co_u32_e64 v6, s[26:27], 0, v6, s[26:27]
	v_cmp_le_u32_e64 s[26:27], s91, v6
	v_cndmask_b32_e64 v12, 0, -1, s[26:27]
	v_cmp_le_u32_e64 s[26:27], s90, v11
	v_cndmask_b32_e64 v11, 0, -1, s[26:27]
	v_cmp_eq_u32_e64 s[26:27], s91, v6
	v_cndmask_b32_e64 v6, v12, v11, s[26:27]
	v_add_co_u32_e64 v11, s[26:27], 2, v8
	v_subb_co_u32_e32 v4, vcc, v4, v7, vcc
	v_addc_co_u32_e64 v12, s[26:27], 0, v9, s[26:27]
	v_cmp_le_u32_e32 vcc, s91, v4
	v_add_co_u32_e64 v13, s[26:27], 1, v8
	v_cndmask_b32_e64 v7, 0, -1, vcc
	v_cmp_le_u32_e32 vcc, s90, v2
	v_addc_co_u32_e64 v14, s[26:27], 0, v9, s[26:27]
	v_cndmask_b32_e64 v2, 0, -1, vcc
	v_cmp_eq_u32_e32 vcc, s91, v4
	v_cmp_ne_u32_e64 s[26:27], 0, v6
	v_cndmask_b32_e32 v2, v7, v2, vcc
	v_cndmask_b32_e64 v6, v14, v12, s[26:27]
	v_cmp_ne_u32_e32 vcc, 0, v2
	v_cndmask_b32_e64 v4, v13, v11, s[26:27]
	v_cndmask_b32_e32 v2, v9, v6, vcc
	v_cndmask_b32_e32 v4, v8, v4, vcc
	v_xor_b32_e32 v6, s42, v10
	v_xor_b32_e32 v4, v4, v6
	;; [unrolled: 1-line block ×3, first 2 shown]
	v_sub_co_u32_e32 v8, vcc, v4, v6
	v_subb_co_u32_e32 v9, vcc, v2, v6, vcc
                                        ; implicit-def: $vgpr2
.LBB2_50:                               ;   in Loop: Header=BB2_47 Depth=1
	s_andn2_saveexec_b64 s[40:41], s[40:41]
	s_cbranch_execz .LBB2_52
; %bb.51:                               ;   in Loop: Header=BB2_47 Depth=1
	v_cvt_f32_u32_e32 v4, s66
	s_sub_i32 s26, 0, s66
	v_rcp_iflag_f32_e32 v4, v4
	v_mul_f32_e32 v4, 0x4f7ffffe, v4
	v_cvt_u32_f32_e32 v4, v4
	v_mul_lo_u32 v6, s26, v4
	v_mul_hi_u32 v6, v4, v6
	v_add_u32_e32 v4, v4, v6
	v_mul_hi_u32 v4, v2, v4
	v_mul_lo_u32 v6, v4, s66
	v_sub_u32_e32 v2, v2, v6
	v_cmp_le_u32_e32 vcc, s66, v2
	v_subrev_u32_e32 v6, s66, v2
	v_cndmask_b32_e32 v2, v2, v6, vcc
	v_cmp_le_u32_e64 s[26:27], s66, v2
	v_add_u32_e32 v2, 1, v4
	v_cndmask_b32_e32 v2, v4, v2, vcc
	v_add_u32_e32 v4, 1, v2
	v_cndmask_b32_e64 v2, v2, v4, s[26:27]
	v_mov_b32_e32 v9, v3
	v_mov_b32_e32 v8, v2
.LBB2_52:                               ;   in Loop: Header=BB2_47 Depth=1
	s_or_b64 exec, exec, s[40:41]
	v_add_co_u32_e32 v2, vcc, 15, v8
	v_addc_co_u32_e32 v7, vcc, 0, v9, vcc
	v_and_b32_e32 v6, -16, v2
	buffer_store_dword v6, off, s[0:3], s33 offset:184 ; 4-byte Folded Spill
	s_nop 0
	buffer_store_dword v7, off, s[0:3], s33 offset:188 ; 4-byte Folded Spill
.LBB2_53:                               ;   in Loop: Header=BB2_47 Depth=1
	s_or_b64 exec, exec, s[28:29]
	buffer_load_dword v12, off, s[0:3], s33 offset:184 ; 4-byte Folded Reload
	buffer_load_dword v13, off, s[0:3], s33 offset:188 ; 4-byte Folded Reload
	;; [unrolled: 1-line block ×6, first 2 shown]
	s_waitcnt vmcnt(0)
	v_mul_lo_u32 v4, v12, s85
	s_waitcnt vmcnt(4)
	v_mul_lo_u32 v2, v13, s84
	v_mad_u64_u32 v[10:11], s[26:27], v12, s84, 0
	v_add3_u32 v11, v11, v4, v2
	s_waitcnt vmcnt(1)
	v_add_co_u32_e32 v2, vcc, v8, v6
	buffer_store_dword v2, off, s[0:3], s33 offset:128 ; 4-byte Folded Spill
	s_waitcnt vmcnt(1)
	v_addc_co_u32_e32 v2, vcc, v9, v7, vcc
	buffer_store_dword v2, off, s[0:3], s33 offset:132 ; 4-byte Folded Spill
	buffer_load_dword v6, off, s[0:3], s33 offset:168 ; 4-byte Folded Reload
	buffer_load_dword v7, off, s[0:3], s33 offset:172 ; 4-byte Folded Reload
	v_mov_b32_e32 v2, 0
	s_waitcnt vmcnt(0)
	v_sub_co_u32_e32 v6, vcc, v6, v10
	s_waitcnt vmcnt(0)
	v_subb_co_u32_e32 v7, vcc, v7, v11, vcc
	v_cmp_lt_i64_e32 vcc, v[12:13], v[6:7]
	v_cndmask_b32_e32 v6, v6, v12, vcc
	v_max_i32_e32 v4, 0, v6
	v_add_u32_e32 v7, 31, v4
	v_lshrrev_b32_e32 v7, 1, v7
	v_and_b32_e32 v7, 0x3ffffff0, v7
	v_cmp_lt_i32_e32 vcc, 0, v6
	v_max_i32_e32 v8, s86, v7
	s_and_b64 s[26:27], s[78:79], vcc
	v_mov_b32_e32 v6, 0
	s_and_saveexec_b64 s[28:29], s[26:27]
	s_cbranch_execz .LBB2_195
; %bb.54:                               ;   in Loop: Header=BB2_47 Depth=1
	s_mov_b32 s46, 1
	s_mov_b64 s[42:43], -1
	v_mov_b32_e32 v6, 0
	s_mov_b64 s[40:41], 0
	s_branch .LBB2_57
.LBB2_55:                               ;   in Loop: Header=BB2_57 Depth=2
	s_or_b64 exec, exec, s[90:91]
	v_add_co_u32_e32 v50, vcc, 2, v50
	v_addc_co_u32_e32 v51, vcc, 0, v51, vcc
	flat_store_dwordx2 v[22:23], v[50:51]
.LBB2_56:                               ;   in Loop: Header=BB2_57 Depth=2
	s_or_b64 exec, exec, s[26:27]
	v_add_u32_e32 v6, v8, v6
	v_cmp_ge_i32_e32 vcc, v6, v4
	s_xor_b64 s[26:27], s[42:43], -1
	s_or_b64 s[26:27], s[26:27], vcc
	s_and_b64 s[26:27], exec, s[26:27]
	s_or_b64 s[40:41], s[26:27], s[40:41]
	s_mov_b64 s[42:43], 0
	v_mov_b32_e32 v2, s46
	s_mov_b32 s46, 2
	s_andn2_b64 exec, exec, s[40:41]
	s_cbranch_execz .LBB2_194
.LBB2_57:                               ;   Parent Loop BB2_47 Depth=1
                                        ; =>  This Loop Header: Depth=2
                                        ;       Child Loop BB2_65 Depth 3
                                        ;       Child Loop BB2_89 Depth 3
                                        ;       Child Loop BB2_108 Depth 3
                                        ;       Child Loop BB2_130 Depth 3
                                        ;       Child Loop BB2_135 Depth 3
                                        ;       Child Loop BB2_143 Depth 3
                                        ;       Child Loop BB2_148 Depth 3
                                        ;       Child Loop BB2_157 Depth 3
                                        ;       Child Loop BB2_181 Depth 3
	s_and_saveexec_b64 s[26:27], s[4:5]
	s_cbranch_execz .LBB2_59
; %bb.58:                               ;   in Loop: Header=BB2_57 Depth=2
	s_trap 2
	buffer_load_dword v2, off, s[0:3], s33 offset:128 ; 4-byte Folded Reload
	buffer_load_dword v7, off, s[0:3], s33 offset:132 ; 4-byte Folded Reload
	ds_read_b64 v[12:13], v0
	v_ashrrev_i32_e32 v9, 31, v6
	s_waitcnt vmcnt(0) lgkmcnt(0)
	v_add_co_u32_e32 v2, vcc, v12, v2
	s_waitcnt vmcnt(0)
	v_addc_co_u32_e32 v7, vcc, v13, v7, vcc
	v_add_co_u32_e32 v2, vcc, v2, v10
	v_addc_co_u32_e32 v7, vcc, v7, v11, vcc
	v_add_co_u32_e32 v12, vcc, v2, v6
	v_addc_co_u32_e32 v13, vcc, v7, v9, vcc
	v_mov_b32_e32 v2, v3
	ds_write_b64 v0, v[12:13]
	ds_write_b64 v0, v[2:3]
.LBB2_59:                               ;   in Loop: Header=BB2_57 Depth=2
	s_or_b64 exec, exec, s[26:27]
	v_sub_u32_e32 v2, v4, v6
	v_min_i32_e32 v8, v8, v2
	v_and_b32_e32 v2, 8, v20
	v_cmp_ne_u32_e32 vcc, 0, v2
	s_and_saveexec_b64 s[90:91], vcc
	s_cbranch_execz .LBB2_81
; %bb.60:                               ;   in Loop: Header=BB2_57 Depth=2
	s_waitcnt lgkmcnt(0)
	v_add_co_u32_e32 v14, vcc, 8, v32
	v_addc_co_u32_e32 v15, vcc, 0, v33, vcc
	v_add_co_u32_e32 v12, vcc, 2, v50
	v_addc_co_u32_e32 v13, vcc, 0, v51, vcc
	v_cmp_lt_u64_e32 vcc, v[14:15], v[12:13]
	s_and_saveexec_b64 s[92:93], vcc
	s_cbranch_execz .LBB2_72
; %bb.61:                               ;   in Loop: Header=BB2_57 Depth=2
	v_and_b32_e32 v2, 64, v20
	s_mov_b32 s47, 0
	v_cmp_eq_u32_e32 vcc, 0, v2
	s_mov_b64 s[94:95], 0
                                        ; implicit-def: $sgpr30_sgpr31
                                        ; implicit-def: $sgpr34_sgpr35
                                        ; implicit-def: $sgpr36_sgpr37
	s_branch .LBB2_65
.LBB2_62:                               ;   in Loop: Header=BB2_65 Depth=3
	s_waitcnt vmcnt(0) lgkmcnt(0)
	v_add_co_u32_e64 v14, s[26:27], 8, v32
	v_addc_co_u32_e64 v15, s[26:27], 0, v33, s[26:27]
	v_cmp_ge_u64_e64 s[26:27], v[14:15], v[12:13]
	s_or_b64 s[50:51], s[50:51], exec
	s_orn2_b64 s[48:49], s[26:27], exec
.LBB2_63:                               ;   in Loop: Header=BB2_65 Depth=3
	s_or_b64 exec, exec, s[54:55]
	s_andn2_b64 s[26:27], s[36:37], exec
	s_and_b64 s[44:45], s[50:51], exec
	s_or_b64 s[36:37], s[26:27], s[44:45]
	s_andn2_b64 s[26:27], s[34:35], exec
	s_and_b64 s[44:45], s[48:49], exec
	s_or_b64 s[34:35], s[26:27], s[44:45]
.LBB2_64:                               ;   in Loop: Header=BB2_65 Depth=3
	s_or_b64 exec, exec, s[38:39]
	s_and_b64 s[26:27], exec, s[34:35]
	s_or_b64 s[94:95], s[26:27], s[94:95]
	s_andn2_b64 s[26:27], s[30:31], exec
	s_and_b64 s[44:45], s[36:37], exec
	s_or_b64 s[30:31], s[26:27], s[44:45]
	s_andn2_b64 exec, exec, s[94:95]
	s_cbranch_execz .LBB2_69
.LBB2_65:                               ;   Parent Loop BB2_47 Depth=1
                                        ;     Parent Loop BB2_57 Depth=2
                                        ; =>    This Inner Loop Header: Depth=3
	s_sleep 1
	s_waitcnt vmcnt(0) lgkmcnt(0)
	flat_load_dwordx2 v[32:33], v[22:23] glc
	s_or_b64 s[36:37], s[36:37], exec
	s_or_b64 s[34:35], s[34:35], exec
                                        ; implicit-def: $vgpr2
	s_and_saveexec_b64 s[38:39], vcc
	s_cbranch_execz .LBB2_64
; %bb.66:                               ;   in Loop: Header=BB2_65 Depth=3
	s_cmpk_lt_i32 s47, 0x270f
	s_cselect_b64 s[52:53], -1, 0
	s_cmpk_gt_i32 s47, 0x270e
	s_mov_b64 s[48:49], -1
	s_cbranch_scc0 .LBB2_68
; %bb.67:                               ;   in Loop: Header=BB2_65 Depth=3
	s_trap 2
	ds_read_b64 v[14:15], v0
	s_andn2_b64 s[44:45], s[52:53], exec
	s_mov_b32 s47, 0
	s_mov_b64 s[50:51], 0
	s_waitcnt vmcnt(0) lgkmcnt(0)
	flat_load_dword v2, v[14:15] glc
	s_waitcnt vmcnt(0) lgkmcnt(0)
	buffer_wbinvl1_vol
	v_cmp_eq_u32_e64 s[26:27], 0, v2
	s_and_b64 s[26:27], s[26:27], exec
	s_or_b64 s[52:53], s[44:45], s[26:27]
	s_and_saveexec_b64 s[54:55], s[52:53]
	s_cbranch_execz .LBB2_63
	s_branch .LBB2_62
.LBB2_68:                               ;   in Loop: Header=BB2_65 Depth=3
	s_add_i32 s47, s47, 1
	s_mov_b64 s[50:51], -1
                                        ; implicit-def: $vgpr2
	s_and_saveexec_b64 s[54:55], s[52:53]
	s_cbranch_execz .LBB2_63
	s_branch .LBB2_62
.LBB2_69:                               ;   in Loop: Header=BB2_57 Depth=2
	s_or_b64 exec, exec, s[94:95]
	s_xor_b64 s[26:27], s[30:31], -1
	s_and_saveexec_b64 s[44:45], s[26:27]
	s_xor_b64 s[26:27], exec, s[44:45]
	s_cbranch_execz .LBB2_71
; %bb.70:                               ;   in Loop: Header=BB2_57 Depth=2
	v_or_b32_e32 v20, 64, v20
	s_waitcnt lgkmcnt(0)
	ds_write_b32 v0, v2
	s_trap 2
.LBB2_71:                               ;   in Loop: Header=BB2_57 Depth=2
	s_or_b64 exec, exec, s[26:27]
.LBB2_72:                               ;   in Loop: Header=BB2_57 Depth=2
	s_or_b64 exec, exec, s[92:93]
	v_and_b32_e32 v2, 0x100, v20
	v_cmp_ne_u32_e32 vcc, 0, v2
	v_and_b32_e32 v2, 7, v50
	s_mov_b64 s[26:27], -1
	;;#ASMSTART
	s_wakeup
	;;#ASMEND
                                        ; implicit-def: $vgpr14_vgpr15
	s_and_saveexec_b64 s[92:93], vcc
	s_cbranch_execz .LBB2_76
; %bb.73:                               ;   in Loop: Header=BB2_57 Depth=2
	s_waitcnt vmcnt(0)
	v_mad_u64_u32 v[18:19], s[26:27], v2, 24, v[24:25]
	v_ashrrev_i32_e32 v9, 31, v8
                                        ; implicit-def: $vgpr14_vgpr15
	flat_load_dword v7, v[18:19]
	s_nop 0
	flat_store_dwordx2 v[18:19], v[8:9] offset:8
	s_waitcnt vmcnt(0) lgkmcnt(0)
	v_cmp_ne_u32_e32 vcc, 1, v7
	v_cmp_eq_u32_e64 s[26:27], 1, v7
	s_and_saveexec_b64 s[94:95], s[26:27]
	s_cbranch_execz .LBB2_75
; %bb.74:                               ;   in Loop: Header=BB2_57 Depth=2
	flat_load_dword v14, v[18:19] offset:4 glc
	s_waitcnt vmcnt(0) lgkmcnt(0)
	v_ashrrev_i32_e32 v15, 31, v14
.LBB2_75:                               ;   in Loop: Header=BB2_57 Depth=2
	s_or_b64 exec, exec, s[94:95]
	s_orn2_b64 s[26:27], vcc, exec
.LBB2_76:                               ;   in Loop: Header=BB2_57 Depth=2
	s_or_b64 exec, exec, s[92:93]
	s_and_saveexec_b64 s[92:93], s[26:27]
; %bb.77:                               ;   in Loop: Header=BB2_57 Depth=2
	v_mad_i64_i32 v[14:15], s[26:27], v2, v47, 0
; %bb.78:                               ;   in Loop: Header=BB2_57 Depth=2
	s_or_b64 exec, exec, s[92:93]
	buffer_load_dword v18, off, s[0:3], s33 offset:72 ; 4-byte Folded Reload
	buffer_load_dword v19, off, s[0:3], s33 offset:76 ; 4-byte Folded Reload
	v_and_b32_e32 v2, 0x2000, v20
	s_waitcnt vmcnt(0)
	v_add_co_u32_e32 v14, vcc, v18, v14
	v_addc_co_u32_e32 v15, vcc, v19, v15, vcc
	v_cmp_ne_u32_e32 vcc, 0, v2
	ds_write_b64 v0, v[14:15] offset:784
	s_and_saveexec_b64 s[26:27], vcc
	s_cbranch_execz .LBB2_80
; %bb.79:                               ;   in Loop: Header=BB2_57 Depth=2
	ds_read_b64 v[14:15], v0 offset:872
	s_waitcnt lgkmcnt(0)
	v_add_co_u32_e32 v14, vcc, 1, v14
	v_addc_co_u32_e32 v15, vcc, 0, v15, vcc
	ds_write_b64 v0, v[14:15] offset:872
.LBB2_80:                               ;   in Loop: Header=BB2_57 Depth=2
	s_or_b64 exec, exec, s[26:27]
	v_mov_b32_e32 v51, v13
	v_mov_b32_e32 v50, v12
.LBB2_81:                               ;   in Loop: Header=BB2_57 Depth=2
	s_or_b64 exec, exec, s[90:91]
	s_and_saveexec_b64 s[26:27], s[10:11]
	s_cbranch_execz .LBB2_100
; %bb.82:                               ;   in Loop: Header=BB2_57 Depth=2
	s_and_saveexec_b64 s[44:45], s[58:59]
	s_xor_b64 s[90:91], exec, s[44:45]
	s_cbranch_execz .LBB2_97
; %bb.83:                               ;   in Loop: Header=BB2_57 Depth=2
	s_and_saveexec_b64 s[92:93], s[16:17]
	s_cbranch_execz .LBB2_96
; %bb.84:                               ;   in Loop: Header=BB2_57 Depth=2
	s_mov_b64 s[30:31], exec
	v_mbcnt_lo_u32_b32 v2, s30, 0
	v_mbcnt_hi_u32_b32 v2, s31, v2
	v_cmp_eq_u32_e32 vcc, 0, v2
	s_waitcnt vmcnt(0) lgkmcnt(0)
	buffer_wbinvl1_vol
	s_and_saveexec_b64 s[94:95], vcc
	s_cbranch_execz .LBB2_86
; %bb.85:                               ;   in Loop: Header=BB2_57 Depth=2
	s_bcnt1_i32_b64 s44, s[30:31]
	v_mov_b32_e32 v2, s44
	ds_add_u64 v0, v[2:3]
	s_trap 2
.LBB2_86:                               ;   in Loop: Header=BB2_57 Depth=2
	s_or_b64 exec, exec, s[94:95]
	s_trap 2
	ds_read_b64 v[12:13], v0
	s_waitcnt lgkmcnt(0)
	v_add_co_u32_e32 v28, vcc, v28, v17
	v_addc_co_u32_e32 v29, vcc, 0, v29, vcc
	v_cmp_lt_u64_e32 vcc, v[12:13], v[28:29]
	s_and_saveexec_b64 s[94:95], vcc
	s_cbranch_execz .LBB2_95
; %bb.87:                               ;   in Loop: Header=BB2_57 Depth=2
	s_mov_b32 s44, 0
	s_mov_b64 s[30:31], 0
                                        ; implicit-def: $sgpr34_sgpr35
                                        ; implicit-def: $sgpr36_sgpr37
	s_branch .LBB2_89
.LBB2_88:                               ;   in Loop: Header=BB2_89 Depth=3
	s_or_b64 exec, exec, s[48:49]
	s_and_b64 vcc, exec, vcc
	s_or_b64 s[30:31], vcc, s[30:31]
	s_andn2_b64 vcc, s[34:35], exec
	s_and_b64 s[34:35], s[36:37], exec
	s_or_b64 s[34:35], vcc, s[34:35]
	s_andn2_b64 exec, exec, s[30:31]
	s_cbranch_execz .LBB2_93
.LBB2_89:                               ;   Parent Loop BB2_47 Depth=1
                                        ;     Parent Loop BB2_57 Depth=2
                                        ; =>    This Inner Loop Header: Depth=3
	s_add_i32 s44, s44, 1
	s_cmpk_lg_i32 s44, 0x2710
	s_cselect_b64 s[38:39], -1, 0
	s_and_b64 vcc, exec, s[38:39]
	s_cbranch_vccz .LBB2_91
; %bb.90:                               ;   in Loop: Header=BB2_89 Depth=3
	s_mov_b64 vcc, -1
	s_or_b64 s[36:37], s[36:37], exec
	s_and_saveexec_b64 s[48:49], s[38:39]
	s_cbranch_execz .LBB2_88
	s_branch .LBB2_92
.LBB2_91:                               ;   in Loop: Header=BB2_89 Depth=3
	s_trap 2
	ds_read_b64 v[12:13], v0
	s_andn2_b64 s[38:39], s[38:39], exec
	s_mov_b32 s44, 0
	s_waitcnt lgkmcnt(0)
	flat_load_dword v2, v[12:13] glc
	s_waitcnt vmcnt(0) lgkmcnt(0)
	buffer_wbinvl1_vol
	v_cmp_eq_u32_e32 vcc, 0, v2
	s_and_b64 vcc, vcc, exec
	s_or_b64 s[38:39], s[38:39], vcc
	s_mov_b64 vcc, -1
	s_or_b64 s[36:37], s[36:37], exec
	s_and_saveexec_b64 s[48:49], s[38:39]
	s_cbranch_execz .LBB2_88
.LBB2_92:                               ;   in Loop: Header=BB2_89 Depth=3
	s_sleep 1
	s_trap 2
	ds_read_b64 v[12:13], v0
	s_waitcnt lgkmcnt(0)
	s_andn2_b64 s[36:37], s[36:37], exec
	v_cmp_ge_u64_e32 vcc, v[12:13], v[28:29]
	s_orn2_b64 vcc, vcc, exec
	s_branch .LBB2_88
.LBB2_93:                               ;   in Loop: Header=BB2_57 Depth=2
	s_or_b64 exec, exec, s[30:31]
	s_and_saveexec_b64 s[44:45], s[34:35]
	s_xor_b64 s[44:45], exec, s[44:45]
	s_cbranch_execz .LBB2_95
; %bb.94:                               ;   in Loop: Header=BB2_57 Depth=2
	v_mov_b32_e32 v2, 1
	ds_write_b32 v0, v2
	s_trap 2
.LBB2_95:                               ;   in Loop: Header=BB2_57 Depth=2
	s_or_b64 exec, exec, s[94:95]
	;;#ASMSTART
	s_wakeup
	;;#ASMEND
.LBB2_96:                               ;   in Loop: Header=BB2_57 Depth=2
	s_or_b64 exec, exec, s[92:93]
.LBB2_97:                               ;   in Loop: Header=BB2_57 Depth=2
	s_andn2_saveexec_b64 s[90:91], s[90:91]
	s_cbranch_execz .LBB2_99
; %bb.98:                               ;   in Loop: Header=BB2_57 Depth=2
	s_waitcnt vmcnt(0) lgkmcnt(0)
	buffer_wbinvl1_vol
	s_barrier
.LBB2_99:                               ;   in Loop: Header=BB2_57 Depth=2
	s_or_b64 exec, exec, s[90:91]
.LBB2_100:                              ;   in Loop: Header=BB2_57 Depth=2
	s_or_b64 exec, exec, s[26:27]
	s_trap 2
	ds_read_b32 v7, v0
	v_and_b32_e32 v2, 0x4000, v20
	v_cmp_ne_u32_e32 vcc, 0, v2
	s_xor_b64 s[26:27], s[6:7], -1
	s_and_b64 s[44:45], s[26:27], vcc
	s_and_saveexec_b64 s[26:27], s[44:45]
	s_cbranch_execz .LBB2_119
; %bb.101:                              ;   in Loop: Header=BB2_57 Depth=2
	s_and_saveexec_b64 s[44:45], s[58:59]
	s_xor_b64 s[90:91], exec, s[44:45]
	s_cbranch_execz .LBB2_116
; %bb.102:                              ;   in Loop: Header=BB2_57 Depth=2
	s_and_saveexec_b64 s[92:93], s[16:17]
	s_cbranch_execz .LBB2_115
; %bb.103:                              ;   in Loop: Header=BB2_57 Depth=2
	s_mov_b64 s[30:31], exec
	v_mbcnt_lo_u32_b32 v2, s30, 0
	v_mbcnt_hi_u32_b32 v2, s31, v2
	v_cmp_eq_u32_e32 vcc, 0, v2
	s_waitcnt vmcnt(0) lgkmcnt(0)
	buffer_wbinvl1_vol
	s_and_saveexec_b64 s[94:95], vcc
	s_cbranch_execz .LBB2_105
; %bb.104:                              ;   in Loop: Header=BB2_57 Depth=2
	s_bcnt1_i32_b64 s44, s[30:31]
	v_mov_b32_e32 v2, s44
	ds_add_u64 v0, v[2:3]
	s_trap 2
.LBB2_105:                              ;   in Loop: Header=BB2_57 Depth=2
	s_or_b64 exec, exec, s[94:95]
	s_trap 2
	ds_read_b64 v[12:13], v0
	s_waitcnt lgkmcnt(0)
	v_add_co_u32_e32 v28, vcc, v28, v17
	v_addc_co_u32_e32 v29, vcc, 0, v29, vcc
	v_cmp_lt_u64_e32 vcc, v[12:13], v[28:29]
	s_and_saveexec_b64 s[94:95], vcc
	s_cbranch_execz .LBB2_114
; %bb.106:                              ;   in Loop: Header=BB2_57 Depth=2
	s_mov_b32 s44, 0
	s_mov_b64 s[30:31], 0
                                        ; implicit-def: $sgpr34_sgpr35
                                        ; implicit-def: $sgpr36_sgpr37
	s_branch .LBB2_108
.LBB2_107:                              ;   in Loop: Header=BB2_108 Depth=3
	s_or_b64 exec, exec, s[48:49]
	s_and_b64 vcc, exec, vcc
	s_or_b64 s[30:31], vcc, s[30:31]
	s_andn2_b64 vcc, s[34:35], exec
	s_and_b64 s[34:35], s[36:37], exec
	s_or_b64 s[34:35], vcc, s[34:35]
	s_andn2_b64 exec, exec, s[30:31]
	s_cbranch_execz .LBB2_112
.LBB2_108:                              ;   Parent Loop BB2_47 Depth=1
                                        ;     Parent Loop BB2_57 Depth=2
                                        ; =>    This Inner Loop Header: Depth=3
	s_add_i32 s44, s44, 1
	s_cmpk_lg_i32 s44, 0x2710
	s_cselect_b64 s[38:39], -1, 0
	s_and_b64 vcc, exec, s[38:39]
	s_cbranch_vccz .LBB2_110
; %bb.109:                              ;   in Loop: Header=BB2_108 Depth=3
	s_mov_b64 vcc, -1
	s_or_b64 s[36:37], s[36:37], exec
	s_and_saveexec_b64 s[48:49], s[38:39]
	s_cbranch_execz .LBB2_107
	s_branch .LBB2_111
.LBB2_110:                              ;   in Loop: Header=BB2_108 Depth=3
	s_trap 2
	ds_read_b64 v[12:13], v0
	s_andn2_b64 s[38:39], s[38:39], exec
	s_mov_b32 s44, 0
	s_waitcnt lgkmcnt(0)
	flat_load_dword v2, v[12:13] glc
	s_waitcnt vmcnt(0) lgkmcnt(0)
	buffer_wbinvl1_vol
	v_cmp_eq_u32_e32 vcc, 0, v2
	s_and_b64 vcc, vcc, exec
	s_or_b64 s[38:39], s[38:39], vcc
	s_mov_b64 vcc, -1
	s_or_b64 s[36:37], s[36:37], exec
	s_and_saveexec_b64 s[48:49], s[38:39]
	s_cbranch_execz .LBB2_107
.LBB2_111:                              ;   in Loop: Header=BB2_108 Depth=3
	s_sleep 1
	s_trap 2
	ds_read_b64 v[12:13], v0
	s_waitcnt lgkmcnt(0)
	s_andn2_b64 s[36:37], s[36:37], exec
	v_cmp_ge_u64_e32 vcc, v[12:13], v[28:29]
	s_orn2_b64 vcc, vcc, exec
	s_branch .LBB2_107
.LBB2_112:                              ;   in Loop: Header=BB2_57 Depth=2
	s_or_b64 exec, exec, s[30:31]
	s_and_saveexec_b64 s[44:45], s[34:35]
	s_xor_b64 s[44:45], exec, s[44:45]
	s_cbranch_execz .LBB2_114
; %bb.113:                              ;   in Loop: Header=BB2_57 Depth=2
	v_mov_b32_e32 v2, 1
	ds_write_b32 v0, v2
	s_trap 2
.LBB2_114:                              ;   in Loop: Header=BB2_57 Depth=2
	s_or_b64 exec, exec, s[94:95]
	;;#ASMSTART
	s_wakeup
	;;#ASMEND
.LBB2_115:                              ;   in Loop: Header=BB2_57 Depth=2
	s_or_b64 exec, exec, s[92:93]
.LBB2_116:                              ;   in Loop: Header=BB2_57 Depth=2
	s_andn2_saveexec_b64 s[90:91], s[90:91]
	s_cbranch_execz .LBB2_118
; %bb.117:                              ;   in Loop: Header=BB2_57 Depth=2
	s_waitcnt vmcnt(0) lgkmcnt(0)
	buffer_wbinvl1_vol
	s_barrier
.LBB2_118:                              ;   in Loop: Header=BB2_57 Depth=2
	s_or_b64 exec, exec, s[90:91]
.LBB2_119:                              ;   in Loop: Header=BB2_57 Depth=2
	s_or_b64 exec, exec, s[26:27]
	s_trap 2
	ds_read_b64 v[12:13], v0
	s_waitcnt lgkmcnt(0)
	v_cmp_eq_u64_e32 vcc, 0, v[12:13]
	s_cbranch_vccnz .LBB2_127
; %bb.120:                              ;   in Loop: Header=BB2_57 Depth=2
	s_trap 2
	ds_read_b64 v[14:15], v0
	s_waitcnt lgkmcnt(0)
	v_cmp_eq_u64_e32 vcc, 0, v[14:15]
	s_cbranch_vccnz .LBB2_127
; %bb.121:                              ;   in Loop: Header=BB2_57 Depth=2
	s_mov_b64 s[26:27], -1
	s_and_saveexec_b64 s[90:91], s[18:19]
	s_cbranch_execz .LBB2_123
; %bb.122:                              ;   in Loop: Header=BB2_57 Depth=2
	ds_read_b32 v2, v0 offset:720
	s_waitcnt lgkmcnt(0)
	v_and_b32_e32 v2, 15, v2
	v_cmp_eq_u32_e32 vcc, 0, v2
	s_orn2_b64 s[26:27], vcc, exec
.LBB2_123:                              ;   in Loop: Header=BB2_57 Depth=2
	s_or_b64 exec, exec, s[90:91]
	s_and_saveexec_b64 s[90:91], s[20:21]
	s_cbranch_execz .LBB2_125
; %bb.124:                              ;   in Loop: Header=BB2_57 Depth=2
	ds_read_b32 v2, v0 offset:784
	s_waitcnt lgkmcnt(0)
	v_and_b32_e32 v2, 15, v2
	v_cmp_eq_u32_e32 vcc, 0, v2
	s_and_b64 s[44:45], s[26:27], vcc
	s_andn2_b64 s[26:27], s[26:27], exec
	s_and_b64 s[44:45], s[44:45], exec
	s_or_b64 s[26:27], s[26:27], s[44:45]
.LBB2_125:                              ;   in Loop: Header=BB2_57 Depth=2
	s_or_b64 exec, exec, s[90:91]
	buffer_load_dword v19, off, s[0:3], s33 offset:108 ; 4-byte Folded Reload
	v_cmp_eq_u32_e32 vcc, 0, v7
	s_xor_b64 s[26:27], s[26:27], -1
	v_cndmask_b32_e32 v2, 0, v8, vcc
	v_cndmask_b32_e64 v7, 0, 1, s[26:27]
	s_mov_b64 s[92:93], -1
	v_cmp_ne_u32_e32 vcc, 0, v7
	v_mov_b32_e32 v7, 0
	v_mov_b32_e32 v9, v2
	;; [unrolled: 1-line block ×3, first 2 shown]
	s_cbranch_vccz .LBB2_128
; %bb.126:                              ;   in Loop: Header=BB2_57 Depth=2
	s_and_saveexec_b64 s[26:27], s[92:93]
	s_cbranch_execnz .LBB2_141
	s_branch .LBB2_149
.LBB2_127:                              ;   in Loop: Header=BB2_57 Depth=2
	s_mov_b64 s[26:27], 0
	s_and_saveexec_b64 s[90:91], s[10:11]
	s_cbranch_execnz .LBB2_150
	s_branch .LBB2_168
.LBB2_128:                              ;   in Loop: Header=BB2_57 Depth=2
	buffer_load_dword v9, off, s[0:3], s33 offset:108 ; 4-byte Folded Reload
	v_ashrrev_i32_e32 v7, 31, v2
	v_lshrrev_b32_e32 v7, 21, v7
	v_add_u32_e32 v7, v2, v7
	v_ashrrev_i32_e32 v7, 11, v7
	s_waitcnt vmcnt(0)
	v_sub_u32_e32 v21, v7, v9
	v_cmp_lt_i32_e32 vcc, 0, v21
	s_and_saveexec_b64 s[26:27], vcc
	s_cbranch_execz .LBB2_132
; %bb.129:                              ;   in Loop: Header=BB2_57 Depth=2
	buffer_load_dword v54, off, s[0:3], s33 offset:208 ; 4-byte Folded Reload
	buffer_load_dword v55, off, s[0:3], s33 offset:212 ; 4-byte Folded Reload
	s_mov_b64 s[90:91], 0
	v_lshlrev_b32_e32 v9, 11, v17
.LBB2_130:                              ;   Parent Loop BB2_47 Depth=1
                                        ;     Parent Loop BB2_57 Depth=2
                                        ; =>    This Inner Loop Header: Depth=3
	s_waitcnt vmcnt(1)
	v_add_co_u32_e32 v18, vcc, v12, v54
	s_waitcnt vmcnt(0)
	v_addc_co_u32_e32 v19, vcc, v13, v55, vcc
	global_load_dwordx4 v[24:27], v[18:19], off glc slc
	global_load_dwordx4 v[40:43], v[18:19], off offset:1024 glc slc
	v_add_co_u32_e32 v18, vcc, v14, v54
	v_addc_co_u32_e32 v19, vcc, v15, v55, vcc
	v_add_co_u32_e32 v54, vcc, v54, v9
	v_sub_u32_e32 v21, v21, v17
	v_addc_co_u32_e32 v55, vcc, 0, v55, vcc
	v_cmp_gt_i32_e32 vcc, 1, v21
	s_or_b64 s[90:91], vcc, s[90:91]
	s_waitcnt vmcnt(1)
	global_store_dwordx4 v[18:19], v[24:27], off glc slc
	s_waitcnt vmcnt(1)
	global_store_dwordx4 v[18:19], v[40:43], off offset:1024 glc slc
	s_andn2_b64 exec, exec, s[90:91]
	s_cbranch_execnz .LBB2_130
; %bb.131:                              ;   in Loop: Header=BB2_57 Depth=2
	s_or_b64 exec, exec, s[90:91]
	buffer_load_dword v24, off, s[0:3], s33 offset:112 ; 4-byte Folded Reload
	buffer_load_dword v25, off, s[0:3], s33 offset:116 ; 4-byte Folded Reload
	;; [unrolled: 1-line block ×5, first 2 shown]
.LBB2_132:                              ;   in Loop: Header=BB2_57 Depth=2
	s_or_b64 exec, exec, s[26:27]
	v_lshlrev_b32_e32 v18, 11, v7
	v_cmp_ne_u32_e32 vcc, v2, v18
	s_mov_b64 s[92:93], 0
	v_mov_b32_e32 v7, 0
                                        ; implicit-def: $vgpr9
                                        ; implicit-def: $vgpr16
                                        ; implicit-def: $vgpr19
	s_and_saveexec_b64 s[90:91], vcc
	s_cbranch_execz .LBB2_140
; %bb.133:                              ;   in Loop: Header=BB2_57 Depth=2
	buffer_load_dword v9, off, s[0:3], s33 offset:152 ; 4-byte Folded Reload
	v_lshlrev_b32_e32 v7, 6, v21
	v_sub_u32_e32 v16, v2, v18
	s_waitcnt vmcnt(5)
	v_ashrrev_i32_e32 v24, 31, v16
	v_lshrrev_b32_e32 v24, 22, v24
	v_add_u32_e32 v24, v16, v24
	s_waitcnt vmcnt(4)
	v_ashrrev_i32_e32 v25, 10, v24
	v_and_b32_e32 v24, 0xfffffc00, v24
	s_waitcnt vmcnt(3)
	v_sub_u32_e32 v26, v16, v24
	v_cmp_lt_i32_e32 vcc, 15, v26
	s_waitcnt vmcnt(0)
	v_sub_u32_e32 v7, v9, v7
	v_ashrrev_i32_e32 v9, 31, v7
	v_lshrrev_b32_e32 v9, 26, v9
	v_add_u32_e32 v9, v7, v9
	v_ashrrev_i32_e32 v19, 6, v9
	v_and_b32_e32 v9, 0xffffffc0, v9
	v_sub_u32_e32 v21, v7, v9
	v_lshlrev_b32_e32 v7, 4, v21
	v_lshl_add_u32 v9, v19, 10, v7
	v_sub_u32_e32 v7, v16, v9
	v_addc_co_u32_e64 v16, s[26:27], 0, v25, vcc
	v_sub_u32_e32 v25, v16, v19
	v_cmp_lt_i32_e64 s[26:27], 15, v7
	s_and_saveexec_b64 s[92:93], s[26:27]
	s_cbranch_execz .LBB2_137
; %bb.134:                              ;   in Loop: Header=BB2_57 Depth=2
	v_add_u32_e32 v9, v9, v18
	v_ashrrev_i32_e32 v16, 31, v9
	s_mov_b64 s[94:95], 0
.LBB2_135:                              ;   Parent Loop BB2_47 Depth=1
                                        ;     Parent Loop BB2_57 Depth=2
                                        ; =>    This Inner Loop Header: Depth=3
	v_add_co_u32_e64 v30, s[26:27], v12, v9
	v_addc_co_u32_e64 v31, s[26:27], v13, v16, s[26:27]
	global_load_dwordx4 v[52:55], v[30:31], off glc slc
	v_add_co_u32_e64 v30, s[26:27], v14, v9
	v_addc_co_u32_e64 v31, s[26:27], v15, v16, s[26:27]
	v_add_co_u32_e64 v9, s[26:27], v9, v38
	v_sub_u32_e32 v7, v7, v38
	v_addc_co_u32_e64 v16, s[26:27], 0, v16, s[26:27]
	v_cmp_gt_i32_e64 s[26:27], 16, v7
	v_sub_u32_e32 v25, v25, v17
	s_or_b64 s[94:95], s[26:27], s[94:95]
	s_waitcnt vmcnt(0)
	global_store_dwordx4 v[30:31], v[52:55], off glc slc
	s_andn2_b64 exec, exec, s[94:95]
	s_cbranch_execnz .LBB2_135
; %bb.136:                              ;   in Loop: Header=BB2_57 Depth=2
	s_or_b64 exec, exec, s[94:95]
	buffer_load_dword v54, off, s[0:3], s33 offset:56 ; 4-byte Folded Reload
.LBB2_137:                              ;   in Loop: Header=BB2_57 Depth=2
	s_or_b64 exec, exec, s[92:93]
	v_and_b32_e32 v27, 15, v2
	v_cndmask_b32_e32 v9, v26, v27, vcc
	v_mov_b32_e32 v7, 0
	v_cmp_ne_u32_e64 s[26:27], 0, v9
	s_mov_b64 s[94:95], 0
                                        ; implicit-def: $vgpr16
                                        ; implicit-def: $vgpr19
	s_and_saveexec_b64 s[92:93], s[26:27]
	s_cbranch_execz .LBB2_139
; %bb.138:                              ;   in Loop: Header=BB2_57 Depth=2
	v_sub_u32_e32 v7, v26, v27
	v_cndmask_b32_e32 v7, 0, v7, vcc
	v_cmp_lt_i32_e32 vcc, 0, v25
	v_cndmask_b32_e32 v16, 0, v17, vcc
	v_sub_u32_e32 v16, v16, v25
	v_lshl_add_u32 v16, v16, 6, v21
	v_add3_u32 v7, v24, v18, v7
	v_ashrrev_i32_e32 v18, 31, v16
	v_lshrrev_b32_e32 v18, 26, v18
	v_add_u32_e32 v18, v16, v18
	v_ashrrev_i32_e32 v19, 6, v18
	s_mov_b64 s[94:95], exec
.LBB2_139:                              ;   in Loop: Header=BB2_57 Depth=2
	s_or_b64 exec, exec, s[92:93]
	buffer_load_dword v24, off, s[0:3], s33 offset:112 ; 4-byte Folded Reload
	buffer_load_dword v25, off, s[0:3], s33 offset:116 ; 4-byte Folded Reload
	buffer_load_dword v26, off, s[0:3], s33 offset:120 ; 4-byte Folded Reload
	buffer_load_dword v27, off, s[0:3], s33 offset:124 ; 4-byte Folded Reload
	s_and_b64 s[92:93], s[94:95], exec
.LBB2_140:                              ;   in Loop: Header=BB2_57 Depth=2
	s_or_b64 exec, exec, s[90:91]
	s_and_saveexec_b64 s[26:27], s[92:93]
	s_cbranch_execz .LBB2_149
.LBB2_141:                              ;   in Loop: Header=BB2_57 Depth=2
	v_ashrrev_i32_e32 v18, 31, v9
	v_lshrrev_b32_e32 v18, 23, v18
	v_add_u32_e32 v18, v9, v18
	s_waitcnt vmcnt(0)
	v_ashrrev_i32_e32 v24, 9, v18
	s_waitcnt vmcnt(0)
	v_sub_u32_e32 v18, v24, v19
	v_ashrrev_i32_e32 v21, 31, v16
	v_cmp_lt_i32_e32 vcc, 0, v18
	v_lshrrev_b32_e32 v21, 26, v21
	s_and_saveexec_b64 s[90:91], vcc
	s_cbranch_execz .LBB2_145
; %bb.142:                              ;   in Loop: Header=BB2_57 Depth=2
	v_add_u32_e32 v25, v16, v21
	v_and_b32_e32 v25, 0xffffffc0, v25
	v_sub_u32_e32 v25, v16, v25
	v_lshlrev_b32_e32 v19, 9, v19
	v_add3_u32 v19, v7, v25, v19
	v_ashrrev_i32_e32 v25, 31, v19
	s_mov_b64 s[92:93], 0
.LBB2_143:                              ;   Parent Loop BB2_47 Depth=1
                                        ;     Parent Loop BB2_57 Depth=2
                                        ; =>    This Inner Loop Header: Depth=3
	v_add_co_u32_e32 v26, vcc, v19, v12
	v_addc_co_u32_e32 v27, vcc, v25, v13, vcc
	flat_load_ubyte v30, v[26:27] glc slc
	flat_load_ubyte v31, v[26:27] offset:64 glc slc
	flat_load_ubyte v34, v[26:27] offset:128 glc slc
	;; [unrolled: 1-line block ×7, first 2 shown]
	v_add_co_u32_e32 v26, vcc, v19, v14
	v_addc_co_u32_e32 v27, vcc, v25, v15, vcc
	v_add_co_u32_e32 v12, vcc, v12, v39
	v_addc_co_u32_e32 v13, vcc, 0, v13, vcc
	v_add_co_u32_e32 v14, vcc, v14, v39
	v_sub_u32_e32 v18, v18, v17
	v_addc_co_u32_e32 v15, vcc, 0, v15, vcc
	v_cmp_gt_i32_e32 vcc, 1, v18
	s_or_b64 s[92:93], vcc, s[92:93]
	s_waitcnt vmcnt(0) lgkmcnt(0)
	flat_store_byte v[26:27], v30 glc slc
	flat_store_byte v[26:27], v31 offset:64 glc slc
	flat_store_byte v[26:27], v34 offset:128 glc slc
	;; [unrolled: 1-line block ×7, first 2 shown]
	s_andn2_b64 exec, exec, s[92:93]
	s_cbranch_execnz .LBB2_143
; %bb.144:                              ;   in Loop: Header=BB2_57 Depth=2
	s_or_b64 exec, exec, s[92:93]
.LBB2_145:                              ;   in Loop: Header=BB2_57 Depth=2
	s_or_b64 exec, exec, s[90:91]
	v_lshlrev_b32_e32 v12, 9, v24
	buffer_load_dword v24, off, s[0:3], s33 offset:112 ; 4-byte Folded Reload
	buffer_load_dword v25, off, s[0:3], s33 offset:116 ; 4-byte Folded Reload
	;; [unrolled: 1-line block ×4, first 2 shown]
	v_cmp_ne_u32_e32 vcc, v9, v12
	s_and_b64 s[44:45], exec, vcc
	s_mov_b64 exec, s[44:45]
	s_cbranch_execz .LBB2_149
; %bb.146:                              ;   in Loop: Header=BB2_57 Depth=2
	v_add_u32_e32 v13, v16, v21
	v_and_b32_e32 v13, 0xffffffc0, v13
	v_sub_u32_e32 v13, v16, v13
	v_lshlrev_b32_e32 v14, 6, v18
	v_sub_u32_e32 v13, v13, v14
	v_add_u32_e32 v12, v12, v13
	v_sub_u32_e32 v9, v9, v12
	v_cmp_lt_i32_e32 vcc, 0, v9
	s_and_b64 exec, exec, vcc
	s_cbranch_execz .LBB2_149
; %bb.147:                              ;   in Loop: Header=BB2_57 Depth=2
	v_add_u32_e32 v7, v12, v7
	s_trap 2
	ds_read_b64 v[12:13], v0
	v_ashrrev_i32_e32 v14, 31, v7
	s_mov_b64 s[90:91], 0
.LBB2_148:                              ;   Parent Loop BB2_47 Depth=1
                                        ;     Parent Loop BB2_57 Depth=2
                                        ; =>    This Inner Loop Header: Depth=3
	s_waitcnt lgkmcnt(0)
	v_add_co_u32_e32 v15, vcc, v12, v7
	v_addc_co_u32_e32 v16, vcc, v13, v14, vcc
	flat_load_ubyte v18, v[15:16] glc slc
	v_add_co_u32_e32 v7, vcc, v7, v54
	v_sub_u32_e32 v9, v9, v54
	v_addc_co_u32_e32 v14, vcc, 0, v14, vcc
	v_cmp_gt_i32_e32 vcc, 1, v9
	s_or_b64 s[90:91], vcc, s[90:91]
	s_waitcnt vmcnt(0) lgkmcnt(0)
	flat_store_byte v[15:16], v18 glc slc
	s_andn2_b64 exec, exec, s[90:91]
	s_cbranch_execnz .LBB2_148
.LBB2_149:                              ;   in Loop: Header=BB2_57 Depth=2
	s_or_b64 exec, exec, s[26:27]
	v_cmp_lt_i32_e64 s[26:27], 0, v2
	s_and_saveexec_b64 s[90:91], s[10:11]
	s_cbranch_execz .LBB2_168
.LBB2_150:                              ;   in Loop: Header=BB2_57 Depth=2
	s_and_saveexec_b64 s[44:45], s[58:59]
	s_xor_b64 s[92:93], exec, s[44:45]
	s_cbranch_execz .LBB2_165
; %bb.151:                              ;   in Loop: Header=BB2_57 Depth=2
	s_and_saveexec_b64 s[94:95], s[16:17]
	s_cbranch_execz .LBB2_164
; %bb.152:                              ;   in Loop: Header=BB2_57 Depth=2
	s_mov_b64 s[34:35], exec
	v_mbcnt_lo_u32_b32 v2, s34, 0
	v_mbcnt_hi_u32_b32 v2, s35, v2
	v_cmp_eq_u32_e32 vcc, 0, v2
	s_waitcnt vmcnt(0) lgkmcnt(0)
	buffer_wbinvl1_vol
	s_and_saveexec_b64 s[30:31], vcc
	s_cbranch_execz .LBB2_154
; %bb.153:                              ;   in Loop: Header=BB2_57 Depth=2
	s_bcnt1_i32_b64 s44, s[34:35]
	v_mov_b32_e32 v2, s44
	ds_add_u64 v0, v[2:3]
	s_trap 2
.LBB2_154:                              ;   in Loop: Header=BB2_57 Depth=2
	s_or_b64 exec, exec, s[30:31]
	s_trap 2
	ds_read_b64 v[12:13], v0
	s_waitcnt lgkmcnt(0)
	v_add_co_u32_e32 v28, vcc, v28, v17
	v_addc_co_u32_e32 v29, vcc, 0, v29, vcc
	v_cmp_lt_u64_e32 vcc, v[12:13], v[28:29]
	s_and_saveexec_b64 s[30:31], vcc
	s_cbranch_execz .LBB2_163
; %bb.155:                              ;   in Loop: Header=BB2_57 Depth=2
	s_mov_b32 s44, 0
	s_mov_b64 s[34:35], 0
                                        ; implicit-def: $sgpr36_sgpr37
                                        ; implicit-def: $sgpr38_sgpr39
	s_branch .LBB2_157
.LBB2_156:                              ;   in Loop: Header=BB2_157 Depth=3
	s_or_b64 exec, exec, s[50:51]
	s_and_b64 vcc, exec, vcc
	s_or_b64 s[34:35], vcc, s[34:35]
	s_andn2_b64 vcc, s[36:37], exec
	s_and_b64 s[36:37], s[38:39], exec
	s_or_b64 s[36:37], vcc, s[36:37]
	s_andn2_b64 exec, exec, s[34:35]
	s_cbranch_execz .LBB2_161
.LBB2_157:                              ;   Parent Loop BB2_47 Depth=1
                                        ;     Parent Loop BB2_57 Depth=2
                                        ; =>    This Inner Loop Header: Depth=3
	s_add_i32 s44, s44, 1
	s_cmpk_lg_i32 s44, 0x2710
	s_cselect_b64 s[48:49], -1, 0
	s_and_b64 vcc, exec, s[48:49]
	s_cbranch_vccz .LBB2_159
; %bb.158:                              ;   in Loop: Header=BB2_157 Depth=3
	s_mov_b64 vcc, -1
	s_or_b64 s[38:39], s[38:39], exec
	s_and_saveexec_b64 s[50:51], s[48:49]
	s_cbranch_execz .LBB2_156
	s_branch .LBB2_160
.LBB2_159:                              ;   in Loop: Header=BB2_157 Depth=3
	s_trap 2
	ds_read_b64 v[12:13], v0
	s_andn2_b64 s[48:49], s[48:49], exec
	s_mov_b32 s44, 0
	s_waitcnt lgkmcnt(0)
	flat_load_dword v2, v[12:13] glc
	s_waitcnt vmcnt(0) lgkmcnt(0)
	buffer_wbinvl1_vol
	v_cmp_eq_u32_e32 vcc, 0, v2
	s_and_b64 vcc, vcc, exec
	s_or_b64 s[48:49], s[48:49], vcc
	s_mov_b64 vcc, -1
	s_or_b64 s[38:39], s[38:39], exec
	s_and_saveexec_b64 s[50:51], s[48:49]
	s_cbranch_execz .LBB2_156
.LBB2_160:                              ;   in Loop: Header=BB2_157 Depth=3
	s_sleep 1
	s_trap 2
	ds_read_b64 v[12:13], v0
	s_waitcnt lgkmcnt(0)
	s_andn2_b64 s[38:39], s[38:39], exec
	v_cmp_ge_u64_e32 vcc, v[12:13], v[28:29]
	s_orn2_b64 vcc, vcc, exec
	s_branch .LBB2_156
.LBB2_161:                              ;   in Loop: Header=BB2_57 Depth=2
	s_or_b64 exec, exec, s[34:35]
	s_and_saveexec_b64 s[44:45], s[36:37]
	s_xor_b64 s[44:45], exec, s[44:45]
	s_cbranch_execz .LBB2_163
; %bb.162:                              ;   in Loop: Header=BB2_57 Depth=2
	v_mov_b32_e32 v2, 1
	ds_write_b32 v0, v2
	s_trap 2
.LBB2_163:                              ;   in Loop: Header=BB2_57 Depth=2
	s_or_b64 exec, exec, s[30:31]
	;;#ASMSTART
	s_wakeup
	;;#ASMEND
.LBB2_164:                              ;   in Loop: Header=BB2_57 Depth=2
	s_or_b64 exec, exec, s[94:95]
.LBB2_165:                              ;   in Loop: Header=BB2_57 Depth=2
	s_andn2_saveexec_b64 s[92:93], s[92:93]
	s_cbranch_execz .LBB2_167
; %bb.166:                              ;   in Loop: Header=BB2_57 Depth=2
	s_waitcnt vmcnt(0) lgkmcnt(0)
	buffer_wbinvl1_vol
	s_barrier
.LBB2_167:                              ;   in Loop: Header=BB2_57 Depth=2
	s_or_b64 exec, exec, s[92:93]
.LBB2_168:                              ;   in Loop: Header=BB2_57 Depth=2
	s_or_b64 exec, exec, s[90:91]
	v_and_b32_e32 v7, 16, v20
	s_and_saveexec_b64 s[44:45], s[24:25]
	s_xor_b64 s[90:91], exec, s[44:45]
	s_cbranch_execz .LBB2_173
; %bb.169:                              ;   in Loop: Header=BB2_57 Depth=2
	v_and_b32_e32 v2, 16, v20
	v_cmp_ne_u32_e32 vcc, 0, v2
	v_and_b32_e32 v7, 16, v20
	s_and_b64 s[44:45], vcc, s[26:27]
	s_and_saveexec_b64 s[26:27], s[44:45]
	s_cbranch_execz .LBB2_171
; %bb.170:                              ;   in Loop: Header=BB2_57 Depth=2
	v_mov_b32_e32 v7, 1
	s_waitcnt vmcnt(0) lgkmcnt(0)
	buffer_wbinvl1_vol
.LBB2_171:                              ;   in Loop: Header=BB2_57 Depth=2
	s_or_b64 exec, exec, s[26:27]
	s_andn2_saveexec_b64 s[26:27], s[90:91]
	s_cbranch_execnz .LBB2_174
.LBB2_172:                              ;   in Loop: Header=BB2_57 Depth=2
	s_or_b64 exec, exec, s[26:27]
	v_cmp_ne_u32_e32 vcc, 0, v7
	s_and_saveexec_b64 s[26:27], vcc
	s_cbranch_execz .LBB2_56
	s_branch .LBB2_192
.LBB2_173:                              ;   in Loop: Header=BB2_57 Depth=2
	s_andn2_saveexec_b64 s[26:27], s[90:91]
	s_cbranch_execz .LBB2_172
.LBB2_174:                              ;   in Loop: Header=BB2_57 Depth=2
	s_and_saveexec_b64 s[44:45], s[58:59]
	s_xor_b64 s[90:91], exec, s[44:45]
	s_cbranch_execz .LBB2_189
; %bb.175:                              ;   in Loop: Header=BB2_57 Depth=2
	s_and_saveexec_b64 s[92:93], s[16:17]
	s_cbranch_execz .LBB2_188
; %bb.176:                              ;   in Loop: Header=BB2_57 Depth=2
	s_mov_b64 s[30:31], exec
	v_mbcnt_lo_u32_b32 v2, s30, 0
	v_mbcnt_hi_u32_b32 v2, s31, v2
	v_cmp_eq_u32_e32 vcc, 0, v2
	;;#ASMSTART
	s_waitcnt lgkmcnt(0) vmcnt(0)
	;;#ASMEND
	s_and_saveexec_b64 s[94:95], vcc
	s_cbranch_execz .LBB2_178
; %bb.177:                              ;   in Loop: Header=BB2_57 Depth=2
	s_bcnt1_i32_b64 s44, s[30:31]
	v_mov_b32_e32 v2, s44
	s_waitcnt lgkmcnt(0)
	ds_add_u64 v0, v[2:3]
	s_trap 2
.LBB2_178:                              ;   in Loop: Header=BB2_57 Depth=2
	s_or_b64 exec, exec, s[94:95]
	s_trap 2
	ds_read_b64 v[12:13], v0
	s_waitcnt lgkmcnt(0)
	v_add_co_u32_e32 v28, vcc, v28, v17
	v_addc_co_u32_e32 v29, vcc, 0, v29, vcc
	v_cmp_lt_u64_e32 vcc, v[12:13], v[28:29]
	s_and_saveexec_b64 s[94:95], vcc
	s_cbranch_execz .LBB2_187
; %bb.179:                              ;   in Loop: Header=BB2_57 Depth=2
	s_mov_b32 s44, 0
	s_mov_b64 s[30:31], 0
                                        ; implicit-def: $sgpr34_sgpr35
                                        ; implicit-def: $sgpr36_sgpr37
	s_branch .LBB2_181
.LBB2_180:                              ;   in Loop: Header=BB2_181 Depth=3
	s_or_b64 exec, exec, s[48:49]
	s_and_b64 vcc, exec, vcc
	s_or_b64 s[30:31], vcc, s[30:31]
	s_andn2_b64 vcc, s[34:35], exec
	s_and_b64 s[34:35], s[36:37], exec
	s_or_b64 s[34:35], vcc, s[34:35]
	s_andn2_b64 exec, exec, s[30:31]
	s_cbranch_execz .LBB2_185
.LBB2_181:                              ;   Parent Loop BB2_47 Depth=1
                                        ;     Parent Loop BB2_57 Depth=2
                                        ; =>    This Inner Loop Header: Depth=3
	s_add_i32 s44, s44, 1
	s_cmpk_lg_i32 s44, 0x2710
	s_cselect_b64 s[38:39], -1, 0
	s_and_b64 vcc, exec, s[38:39]
	s_cbranch_vccz .LBB2_183
; %bb.182:                              ;   in Loop: Header=BB2_181 Depth=3
	s_mov_b64 vcc, -1
	s_or_b64 s[36:37], s[36:37], exec
	s_and_saveexec_b64 s[48:49], s[38:39]
	s_cbranch_execz .LBB2_180
	s_branch .LBB2_184
.LBB2_183:                              ;   in Loop: Header=BB2_181 Depth=3
	s_trap 2
	ds_read_b64 v[12:13], v0
	s_andn2_b64 s[38:39], s[38:39], exec
	s_mov_b32 s44, 0
	s_waitcnt vmcnt(0) lgkmcnt(0)
	flat_load_dword v2, v[12:13] glc
	s_waitcnt vmcnt(0) lgkmcnt(0)
	buffer_wbinvl1_vol
	v_cmp_eq_u32_e32 vcc, 0, v2
	s_and_b64 vcc, vcc, exec
	s_or_b64 s[38:39], s[38:39], vcc
	s_mov_b64 vcc, -1
	s_or_b64 s[36:37], s[36:37], exec
	s_and_saveexec_b64 s[48:49], s[38:39]
	s_cbranch_execz .LBB2_180
.LBB2_184:                              ;   in Loop: Header=BB2_181 Depth=3
	s_sleep 1
	s_trap 2
	ds_read_b64 v[12:13], v0
	s_waitcnt lgkmcnt(0)
	s_andn2_b64 s[36:37], s[36:37], exec
	v_cmp_ge_u64_e32 vcc, v[12:13], v[28:29]
	s_orn2_b64 vcc, vcc, exec
	s_branch .LBB2_180
.LBB2_185:                              ;   in Loop: Header=BB2_57 Depth=2
	s_or_b64 exec, exec, s[30:31]
	s_and_saveexec_b64 s[44:45], s[34:35]
	s_xor_b64 s[44:45], exec, s[44:45]
	s_cbranch_execz .LBB2_187
; %bb.186:                              ;   in Loop: Header=BB2_57 Depth=2
	v_mov_b32_e32 v2, 1
	ds_write_b32 v0, v2
	s_trap 2
.LBB2_187:                              ;   in Loop: Header=BB2_57 Depth=2
	s_or_b64 exec, exec, s[94:95]
	;;#ASMSTART
	s_wakeup
	;;#ASMEND
.LBB2_188:                              ;   in Loop: Header=BB2_57 Depth=2
	s_or_b64 exec, exec, s[92:93]
.LBB2_189:                              ;   in Loop: Header=BB2_57 Depth=2
	s_andn2_saveexec_b64 s[90:91], s[90:91]
	s_cbranch_execz .LBB2_191
; %bb.190:                              ;   in Loop: Header=BB2_57 Depth=2
	;;#ASMSTART
	s_waitcnt lgkmcnt(0) vmcnt(0)
	;;#ASMEND
	s_waitcnt vmcnt(0) lgkmcnt(0)
	s_barrier
.LBB2_191:                              ;   in Loop: Header=BB2_57 Depth=2
	s_or_b64 exec, exec, s[90:91]
	s_or_b64 exec, exec, s[26:27]
	v_cmp_ne_u32_e32 vcc, 0, v7
	s_and_saveexec_b64 s[26:27], vcc
	s_cbranch_execz .LBB2_56
.LBB2_192:                              ;   in Loop: Header=BB2_57 Depth=2
	s_and_saveexec_b64 s[90:91], s[14:15]
	s_cbranch_execz .LBB2_55
; %bb.193:                              ;   in Loop: Header=BB2_57 Depth=2
	buffer_load_dword v12, off, s[0:3], s33 offset:80 ; 4-byte Folded Reload
	buffer_load_dword v13, off, s[0:3], s33 offset:84 ; 4-byte Folded Reload
	v_mov_b32_e32 v2, 1
	s_waitcnt vmcnt(0)
	flat_store_dword v[12:13], v2
	s_branch .LBB2_55
.LBB2_194:                              ;   in Loop: Header=BB2_47 Depth=1
	s_or_b64 exec, exec, s[40:41]
.LBB2_195:                              ;   in Loop: Header=BB2_47 Depth=1
	s_or_b64 exec, exec, s[28:29]
	v_cmp_gt_i32_e32 vcc, 2, v2
	s_and_saveexec_b64 s[28:29], vcc
	s_cbranch_execz .LBB2_267
; %bb.196:                              ;   in Loop: Header=BB2_47 Depth=1
	v_cmp_eq_u32_e64 s[42:43], 0, v2
	s_mov_b64 s[40:41], 0
	s_branch .LBB2_199
.LBB2_197:                              ;   in Loop: Header=BB2_199 Depth=2
	s_or_b64 exec, exec, s[42:43]
	v_add_co_u32_e32 v50, vcc, 2, v50
	v_addc_co_u32_e32 v51, vcc, 0, v51, vcc
	flat_store_dwordx2 v[22:23], v[50:51]
.LBB2_198:                              ;   in Loop: Header=BB2_199 Depth=2
	s_or_b64 exec, exec, s[26:27]
	v_add_u32_e32 v6, v8, v6
	s_mov_b64 s[42:43], 0
	s_andn2_b64 exec, exec, s[40:41]
	s_cbranch_execz .LBB2_266
.LBB2_199:                              ;   Parent Loop BB2_47 Depth=1
                                        ; =>  This Loop Header: Depth=2
                                        ;       Child Loop BB2_205 Depth 3
                                        ;       Child Loop BB2_229 Depth 3
	;; [unrolled: 1-line block ×3, first 2 shown]
	v_sub_u32_e32 v2, v4, v6
	v_min_i32_e32 v8, v8, v2
	v_and_b32_e32 v2, 8, v20
	v_cmp_ne_u32_e32 vcc, 0, v2
	s_and_saveexec_b64 s[90:91], vcc
	s_cbranch_execz .LBB2_221
; %bb.200:                              ;   in Loop: Header=BB2_199 Depth=2
	s_waitcnt lgkmcnt(0)
	v_add_co_u32_e32 v12, vcc, 8, v32
	v_addc_co_u32_e32 v13, vcc, 0, v33, vcc
	v_add_co_u32_e32 v10, vcc, 2, v50
	v_addc_co_u32_e32 v11, vcc, 0, v51, vcc
	v_cmp_lt_u64_e32 vcc, v[12:13], v[10:11]
	s_and_saveexec_b64 s[92:93], vcc
	s_cbranch_execz .LBB2_212
; %bb.201:                              ;   in Loop: Header=BB2_199 Depth=2
	v_and_b32_e32 v2, 64, v20
	s_mov_b32 s46, 0
	v_cmp_eq_u32_e32 vcc, 0, v2
	s_mov_b64 s[94:95], 0
                                        ; implicit-def: $sgpr30_sgpr31
                                        ; implicit-def: $sgpr34_sgpr35
                                        ; implicit-def: $sgpr36_sgpr37
	s_branch .LBB2_205
.LBB2_202:                              ;   in Loop: Header=BB2_205 Depth=3
	s_waitcnt vmcnt(0) lgkmcnt(0)
	v_add_co_u32_e64 v12, s[26:27], 8, v32
	v_addc_co_u32_e64 v13, s[26:27], 0, v33, s[26:27]
	v_cmp_ge_u64_e64 s[26:27], v[12:13], v[10:11]
	s_or_b64 s[50:51], s[50:51], exec
	s_orn2_b64 s[48:49], s[26:27], exec
.LBB2_203:                              ;   in Loop: Header=BB2_205 Depth=3
	s_or_b64 exec, exec, s[54:55]
	s_andn2_b64 s[26:27], s[36:37], exec
	s_and_b64 s[44:45], s[50:51], exec
	s_or_b64 s[36:37], s[26:27], s[44:45]
	s_andn2_b64 s[26:27], s[34:35], exec
	s_and_b64 s[44:45], s[48:49], exec
	s_or_b64 s[34:35], s[26:27], s[44:45]
.LBB2_204:                              ;   in Loop: Header=BB2_205 Depth=3
	s_or_b64 exec, exec, s[38:39]
	s_and_b64 s[26:27], exec, s[34:35]
	s_or_b64 s[94:95], s[26:27], s[94:95]
	s_andn2_b64 s[26:27], s[30:31], exec
	s_and_b64 s[44:45], s[36:37], exec
	s_or_b64 s[30:31], s[26:27], s[44:45]
	s_andn2_b64 exec, exec, s[94:95]
	s_cbranch_execz .LBB2_209
.LBB2_205:                              ;   Parent Loop BB2_47 Depth=1
                                        ;     Parent Loop BB2_199 Depth=2
                                        ; =>    This Inner Loop Header: Depth=3
	s_sleep 1
	s_waitcnt vmcnt(0) lgkmcnt(0)
	flat_load_dwordx2 v[32:33], v[22:23] glc
	s_or_b64 s[36:37], s[36:37], exec
	s_or_b64 s[34:35], s[34:35], exec
                                        ; implicit-def: $vgpr2
	s_and_saveexec_b64 s[38:39], vcc
	s_cbranch_execz .LBB2_204
; %bb.206:                              ;   in Loop: Header=BB2_205 Depth=3
	s_cmpk_lt_i32 s46, 0x270f
	s_cselect_b64 s[52:53], -1, 0
	s_cmpk_gt_i32 s46, 0x270e
	s_mov_b64 s[48:49], -1
	s_cbranch_scc0 .LBB2_208
; %bb.207:                              ;   in Loop: Header=BB2_205 Depth=3
	s_trap 2
	ds_read_b64 v[12:13], v0
	s_andn2_b64 s[44:45], s[52:53], exec
	s_mov_b32 s46, 0
	s_mov_b64 s[50:51], 0
	s_waitcnt vmcnt(0) lgkmcnt(0)
	flat_load_dword v2, v[12:13] glc
	s_waitcnt vmcnt(0) lgkmcnt(0)
	buffer_wbinvl1_vol
	v_cmp_eq_u32_e64 s[26:27], 0, v2
	s_and_b64 s[26:27], s[26:27], exec
	s_or_b64 s[52:53], s[44:45], s[26:27]
	s_and_saveexec_b64 s[54:55], s[52:53]
	s_cbranch_execz .LBB2_203
	s_branch .LBB2_202
.LBB2_208:                              ;   in Loop: Header=BB2_205 Depth=3
	s_add_i32 s46, s46, 1
	s_mov_b64 s[50:51], -1
                                        ; implicit-def: $vgpr2
	s_and_saveexec_b64 s[54:55], s[52:53]
	s_cbranch_execz .LBB2_203
	s_branch .LBB2_202
.LBB2_209:                              ;   in Loop: Header=BB2_199 Depth=2
	s_or_b64 exec, exec, s[94:95]
	s_xor_b64 s[26:27], s[30:31], -1
	s_and_saveexec_b64 s[44:45], s[26:27]
	s_xor_b64 s[26:27], exec, s[44:45]
	s_cbranch_execz .LBB2_211
; %bb.210:                              ;   in Loop: Header=BB2_199 Depth=2
	v_or_b32_e32 v20, 64, v20
	s_waitcnt lgkmcnt(0)
	ds_write_b32 v0, v2
	s_trap 2
.LBB2_211:                              ;   in Loop: Header=BB2_199 Depth=2
	s_or_b64 exec, exec, s[26:27]
.LBB2_212:                              ;   in Loop: Header=BB2_199 Depth=2
	s_or_b64 exec, exec, s[92:93]
	v_and_b32_e32 v2, 0x100, v20
	v_cmp_ne_u32_e32 vcc, 0, v2
	v_and_b32_e32 v2, 7, v50
	s_mov_b64 s[26:27], -1
	;;#ASMSTART
	s_wakeup
	;;#ASMEND
                                        ; implicit-def: $vgpr12_vgpr13
	s_and_saveexec_b64 s[92:93], vcc
	s_cbranch_execz .LBB2_216
; %bb.213:                              ;   in Loop: Header=BB2_199 Depth=2
	s_waitcnt vmcnt(0)
	v_mad_u64_u32 v[14:15], s[26:27], v2, 24, v[24:25]
	v_ashrrev_i32_e32 v9, 31, v8
                                        ; implicit-def: $vgpr12_vgpr13
	flat_load_dword v7, v[14:15]
	s_nop 0
	flat_store_dwordx2 v[14:15], v[8:9] offset:8
	s_waitcnt vmcnt(0) lgkmcnt(0)
	v_cmp_ne_u32_e32 vcc, 1, v7
	v_cmp_eq_u32_e64 s[26:27], 1, v7
	s_and_saveexec_b64 s[94:95], s[26:27]
	s_cbranch_execz .LBB2_215
; %bb.214:                              ;   in Loop: Header=BB2_199 Depth=2
	flat_load_dword v12, v[14:15] offset:4 glc
	s_waitcnt vmcnt(0) lgkmcnt(0)
	v_ashrrev_i32_e32 v13, 31, v12
.LBB2_215:                              ;   in Loop: Header=BB2_199 Depth=2
	s_or_b64 exec, exec, s[94:95]
	s_orn2_b64 s[26:27], vcc, exec
.LBB2_216:                              ;   in Loop: Header=BB2_199 Depth=2
	s_or_b64 exec, exec, s[92:93]
	s_and_saveexec_b64 s[92:93], s[26:27]
; %bb.217:                              ;   in Loop: Header=BB2_199 Depth=2
	v_mad_i64_i32 v[12:13], s[26:27], v2, v47, 0
; %bb.218:                              ;   in Loop: Header=BB2_199 Depth=2
	s_or_b64 exec, exec, s[92:93]
	buffer_load_dword v14, off, s[0:3], s33 offset:72 ; 4-byte Folded Reload
	buffer_load_dword v15, off, s[0:3], s33 offset:76 ; 4-byte Folded Reload
	v_and_b32_e32 v2, 0x2000, v20
	s_waitcnt vmcnt(0)
	v_add_co_u32_e32 v12, vcc, v14, v12
	v_addc_co_u32_e32 v13, vcc, v15, v13, vcc
	v_cmp_ne_u32_e32 vcc, 0, v2
	ds_write_b64 v0, v[12:13] offset:784
	s_and_saveexec_b64 s[26:27], vcc
	s_cbranch_execz .LBB2_220
; %bb.219:                              ;   in Loop: Header=BB2_199 Depth=2
	ds_read_b64 v[12:13], v0 offset:872
	s_waitcnt lgkmcnt(0)
	v_add_co_u32_e32 v12, vcc, 1, v12
	v_addc_co_u32_e32 v13, vcc, 0, v13, vcc
	ds_write_b64 v0, v[12:13] offset:872
.LBB2_220:                              ;   in Loop: Header=BB2_199 Depth=2
	s_or_b64 exec, exec, s[26:27]
	v_mov_b32_e32 v51, v11
	v_mov_b32_e32 v50, v10
.LBB2_221:                              ;   in Loop: Header=BB2_199 Depth=2
	s_or_b64 exec, exec, s[90:91]
	s_xor_b64 s[26:27], s[42:43], -1
	s_and_b64 s[26:27], exec, s[26:27]
	s_or_b64 s[40:41], s[26:27], s[40:41]
	s_and_saveexec_b64 s[26:27], s[10:11]
	s_cbranch_execz .LBB2_240
; %bb.222:                              ;   in Loop: Header=BB2_199 Depth=2
	s_and_saveexec_b64 s[42:43], s[58:59]
	s_xor_b64 s[42:43], exec, s[42:43]
	s_cbranch_execz .LBB2_237
; %bb.223:                              ;   in Loop: Header=BB2_199 Depth=2
	s_and_saveexec_b64 s[90:91], s[16:17]
	s_cbranch_execz .LBB2_236
; %bb.224:                              ;   in Loop: Header=BB2_199 Depth=2
	s_mov_b64 s[94:95], exec
	v_mbcnt_lo_u32_b32 v2, s94, 0
	v_mbcnt_hi_u32_b32 v2, s95, v2
	v_cmp_eq_u32_e32 vcc, 0, v2
	s_waitcnt vmcnt(0) lgkmcnt(0)
	buffer_wbinvl1_vol
	s_and_saveexec_b64 s[92:93], vcc
	s_cbranch_execz .LBB2_226
; %bb.225:                              ;   in Loop: Header=BB2_199 Depth=2
	s_bcnt1_i32_b64 s44, s[94:95]
	v_mov_b32_e32 v2, s44
	ds_add_u64 v0, v[2:3]
	s_trap 2
.LBB2_226:                              ;   in Loop: Header=BB2_199 Depth=2
	s_or_b64 exec, exec, s[92:93]
	s_trap 2
	ds_read_b64 v[9:10], v0
	s_waitcnt lgkmcnt(0)
	v_add_co_u32_e32 v28, vcc, v28, v17
	v_addc_co_u32_e32 v29, vcc, 0, v29, vcc
	v_cmp_lt_u64_e32 vcc, v[9:10], v[28:29]
	s_and_saveexec_b64 s[92:93], vcc
	s_cbranch_execz .LBB2_235
; %bb.227:                              ;   in Loop: Header=BB2_199 Depth=2
	s_mov_b32 s44, 0
	s_mov_b64 s[94:95], 0
                                        ; implicit-def: $sgpr30_sgpr31
                                        ; implicit-def: $sgpr34_sgpr35
	s_branch .LBB2_229
.LBB2_228:                              ;   in Loop: Header=BB2_229 Depth=3
	s_or_b64 exec, exec, s[38:39]
	s_and_b64 s[46:47], exec, vcc
	s_or_b64 s[94:95], s[46:47], s[94:95]
	s_andn2_b64 s[46:47], s[30:31], exec
	s_and_b64 vcc, s[34:35], exec
	s_or_b64 s[30:31], s[46:47], vcc
	s_andn2_b64 exec, exec, s[94:95]
	s_cbranch_execz .LBB2_233
.LBB2_229:                              ;   Parent Loop BB2_47 Depth=1
                                        ;     Parent Loop BB2_199 Depth=2
                                        ; =>    This Inner Loop Header: Depth=3
	s_add_i32 s44, s44, 1
	s_cmpk_lg_i32 s44, 0x2710
	s_cselect_b64 s[36:37], -1, 0
	s_and_b64 vcc, exec, s[36:37]
	s_cbranch_vccz .LBB2_231
; %bb.230:                              ;   in Loop: Header=BB2_229 Depth=3
	s_mov_b64 vcc, -1
	s_or_b64 s[34:35], s[34:35], exec
	s_and_saveexec_b64 s[38:39], s[36:37]
	s_cbranch_execz .LBB2_228
	s_branch .LBB2_232
.LBB2_231:                              ;   in Loop: Header=BB2_229 Depth=3
	s_trap 2
	ds_read_b64 v[9:10], v0
	s_andn2_b64 s[46:47], s[36:37], exec
	s_mov_b32 s44, 0
	s_waitcnt lgkmcnt(0)
	flat_load_dword v2, v[9:10] glc
	s_waitcnt vmcnt(0) lgkmcnt(0)
	buffer_wbinvl1_vol
	v_cmp_eq_u32_e32 vcc, 0, v2
	s_and_b64 vcc, vcc, exec
	s_or_b64 s[36:37], s[46:47], vcc
	s_mov_b64 vcc, -1
	s_or_b64 s[34:35], s[34:35], exec
	s_and_saveexec_b64 s[38:39], s[36:37]
	s_cbranch_execz .LBB2_228
.LBB2_232:                              ;   in Loop: Header=BB2_229 Depth=3
	s_sleep 1
	s_trap 2
	ds_read_b64 v[9:10], v0
	s_waitcnt lgkmcnt(0)
	s_andn2_b64 s[34:35], s[34:35], exec
	v_cmp_ge_u64_e32 vcc, v[9:10], v[28:29]
	s_orn2_b64 vcc, vcc, exec
	s_branch .LBB2_228
.LBB2_233:                              ;   in Loop: Header=BB2_199 Depth=2
	s_or_b64 exec, exec, s[94:95]
	s_and_saveexec_b64 s[44:45], s[30:31]
	s_xor_b64 s[44:45], exec, s[44:45]
	s_cbranch_execz .LBB2_235
; %bb.234:                              ;   in Loop: Header=BB2_199 Depth=2
	v_mov_b32_e32 v2, 1
	ds_write_b32 v0, v2
	s_trap 2
.LBB2_235:                              ;   in Loop: Header=BB2_199 Depth=2
	s_or_b64 exec, exec, s[92:93]
	;;#ASMSTART
	s_wakeup
	;;#ASMEND
.LBB2_236:                              ;   in Loop: Header=BB2_199 Depth=2
	s_or_b64 exec, exec, s[90:91]
.LBB2_237:                              ;   in Loop: Header=BB2_199 Depth=2
	s_andn2_saveexec_b64 s[42:43], s[42:43]
	s_cbranch_execz .LBB2_239
; %bb.238:                              ;   in Loop: Header=BB2_199 Depth=2
	s_waitcnt vmcnt(0) lgkmcnt(0)
	buffer_wbinvl1_vol
	s_barrier
.LBB2_239:                              ;   in Loop: Header=BB2_199 Depth=2
	s_or_b64 exec, exec, s[42:43]
.LBB2_240:                              ;   in Loop: Header=BB2_199 Depth=2
	s_or_b64 exec, exec, s[26:27]
	v_and_b32_e32 v7, 16, v20
	s_and_saveexec_b64 s[26:27], s[24:25]
	s_xor_b64 s[26:27], exec, s[26:27]
	s_cbranch_execz .LBB2_245
; %bb.241:                              ;   in Loop: Header=BB2_199 Depth=2
	s_trap 2
	ds_read_b32 v2, v0
	v_cmp_lt_i32_e32 vcc, 0, v8
	v_and_b32_e32 v7, 16, v20
	s_waitcnt lgkmcnt(0)
	v_readfirstlane_b32 s42, v2
	s_cmp_eq_u32 s42, 0
	s_cselect_b64 s[42:43], -1, 0
	v_and_b32_e32 v2, 16, v20
	s_and_b64 s[42:43], vcc, s[42:43]
	v_cmp_ne_u32_e32 vcc, 0, v2
	s_and_b64 s[44:45], vcc, s[42:43]
	s_and_saveexec_b64 s[42:43], s[44:45]
	s_cbranch_execz .LBB2_243
; %bb.242:                              ;   in Loop: Header=BB2_199 Depth=2
	v_mov_b32_e32 v7, 1
	s_waitcnt vmcnt(0)
	buffer_wbinvl1_vol
.LBB2_243:                              ;   in Loop: Header=BB2_199 Depth=2
	s_or_b64 exec, exec, s[42:43]
	s_andn2_saveexec_b64 s[26:27], s[26:27]
	s_cbranch_execnz .LBB2_246
.LBB2_244:                              ;   in Loop: Header=BB2_199 Depth=2
	s_or_b64 exec, exec, s[26:27]
	v_cmp_ne_u32_e32 vcc, 0, v7
	s_and_saveexec_b64 s[26:27], vcc
	s_cbranch_execz .LBB2_198
	s_branch .LBB2_264
.LBB2_245:                              ;   in Loop: Header=BB2_199 Depth=2
	s_andn2_saveexec_b64 s[26:27], s[26:27]
	s_cbranch_execz .LBB2_244
.LBB2_246:                              ;   in Loop: Header=BB2_199 Depth=2
	s_and_saveexec_b64 s[42:43], s[58:59]
	s_xor_b64 s[42:43], exec, s[42:43]
	s_cbranch_execz .LBB2_261
; %bb.247:                              ;   in Loop: Header=BB2_199 Depth=2
	s_and_saveexec_b64 s[90:91], s[16:17]
	s_cbranch_execz .LBB2_260
; %bb.248:                              ;   in Loop: Header=BB2_199 Depth=2
	s_mov_b64 s[94:95], exec
	v_mbcnt_lo_u32_b32 v2, s94, 0
	v_mbcnt_hi_u32_b32 v2, s95, v2
	v_cmp_eq_u32_e32 vcc, 0, v2
	;;#ASMSTART
	s_waitcnt lgkmcnt(0) vmcnt(0)
	;;#ASMEND
	s_and_saveexec_b64 s[92:93], vcc
	s_cbranch_execz .LBB2_250
; %bb.249:                              ;   in Loop: Header=BB2_199 Depth=2
	s_bcnt1_i32_b64 s44, s[94:95]
	v_mov_b32_e32 v2, s44
	s_waitcnt lgkmcnt(0)
	ds_add_u64 v0, v[2:3]
	s_trap 2
.LBB2_250:                              ;   in Loop: Header=BB2_199 Depth=2
	s_or_b64 exec, exec, s[92:93]
	s_trap 2
	ds_read_b64 v[9:10], v0
	s_waitcnt lgkmcnt(0)
	v_add_co_u32_e32 v28, vcc, v28, v17
	v_addc_co_u32_e32 v29, vcc, 0, v29, vcc
	v_cmp_lt_u64_e32 vcc, v[9:10], v[28:29]
	s_and_saveexec_b64 s[92:93], vcc
	s_cbranch_execz .LBB2_259
; %bb.251:                              ;   in Loop: Header=BB2_199 Depth=2
	s_mov_b32 s44, 0
	s_mov_b64 s[94:95], 0
                                        ; implicit-def: $sgpr30_sgpr31
                                        ; implicit-def: $sgpr34_sgpr35
	s_branch .LBB2_253
.LBB2_252:                              ;   in Loop: Header=BB2_253 Depth=3
	s_or_b64 exec, exec, s[38:39]
	s_and_b64 s[46:47], exec, vcc
	s_or_b64 s[94:95], s[46:47], s[94:95]
	s_andn2_b64 s[46:47], s[30:31], exec
	s_and_b64 vcc, s[34:35], exec
	s_or_b64 s[30:31], s[46:47], vcc
	s_andn2_b64 exec, exec, s[94:95]
	s_cbranch_execz .LBB2_257
.LBB2_253:                              ;   Parent Loop BB2_47 Depth=1
                                        ;     Parent Loop BB2_199 Depth=2
                                        ; =>    This Inner Loop Header: Depth=3
	s_add_i32 s44, s44, 1
	s_cmpk_lg_i32 s44, 0x2710
	s_cselect_b64 s[36:37], -1, 0
	s_and_b64 vcc, exec, s[36:37]
	s_cbranch_vccz .LBB2_255
; %bb.254:                              ;   in Loop: Header=BB2_253 Depth=3
	s_mov_b64 vcc, -1
	s_or_b64 s[34:35], s[34:35], exec
	s_and_saveexec_b64 s[38:39], s[36:37]
	s_cbranch_execz .LBB2_252
	s_branch .LBB2_256
.LBB2_255:                              ;   in Loop: Header=BB2_253 Depth=3
	s_trap 2
	ds_read_b64 v[9:10], v0
	s_andn2_b64 s[46:47], s[36:37], exec
	s_mov_b32 s44, 0
	s_waitcnt vmcnt(0) lgkmcnt(0)
	flat_load_dword v2, v[9:10] glc
	s_waitcnt vmcnt(0) lgkmcnt(0)
	buffer_wbinvl1_vol
	v_cmp_eq_u32_e32 vcc, 0, v2
	s_and_b64 vcc, vcc, exec
	s_or_b64 s[36:37], s[46:47], vcc
	s_mov_b64 vcc, -1
	s_or_b64 s[34:35], s[34:35], exec
	s_and_saveexec_b64 s[38:39], s[36:37]
	s_cbranch_execz .LBB2_252
.LBB2_256:                              ;   in Loop: Header=BB2_253 Depth=3
	s_sleep 1
	s_trap 2
	ds_read_b64 v[9:10], v0
	s_waitcnt lgkmcnt(0)
	s_andn2_b64 s[34:35], s[34:35], exec
	v_cmp_ge_u64_e32 vcc, v[9:10], v[28:29]
	s_orn2_b64 vcc, vcc, exec
	s_branch .LBB2_252
.LBB2_257:                              ;   in Loop: Header=BB2_199 Depth=2
	s_or_b64 exec, exec, s[94:95]
	s_and_saveexec_b64 s[44:45], s[30:31]
	s_xor_b64 s[44:45], exec, s[44:45]
	s_cbranch_execz .LBB2_259
; %bb.258:                              ;   in Loop: Header=BB2_199 Depth=2
	v_mov_b32_e32 v2, 1
	ds_write_b32 v0, v2
	s_trap 2
.LBB2_259:                              ;   in Loop: Header=BB2_199 Depth=2
	s_or_b64 exec, exec, s[92:93]
	;;#ASMSTART
	s_wakeup
	;;#ASMEND
.LBB2_260:                              ;   in Loop: Header=BB2_199 Depth=2
	s_or_b64 exec, exec, s[90:91]
.LBB2_261:                              ;   in Loop: Header=BB2_199 Depth=2
	s_andn2_saveexec_b64 s[42:43], s[42:43]
	s_cbranch_execz .LBB2_263
; %bb.262:                              ;   in Loop: Header=BB2_199 Depth=2
	;;#ASMSTART
	s_waitcnt lgkmcnt(0) vmcnt(0)
	;;#ASMEND
	s_waitcnt vmcnt(0) lgkmcnt(0)
	s_barrier
.LBB2_263:                              ;   in Loop: Header=BB2_199 Depth=2
	s_or_b64 exec, exec, s[42:43]
	s_or_b64 exec, exec, s[26:27]
	v_cmp_ne_u32_e32 vcc, 0, v7
	s_and_saveexec_b64 s[26:27], vcc
	s_cbranch_execz .LBB2_198
.LBB2_264:                              ;   in Loop: Header=BB2_199 Depth=2
	s_and_saveexec_b64 s[42:43], s[14:15]
	s_cbranch_execz .LBB2_197
; %bb.265:                              ;   in Loop: Header=BB2_199 Depth=2
	buffer_load_dword v9, off, s[0:3], s33 offset:80 ; 4-byte Folded Reload
	buffer_load_dword v10, off, s[0:3], s33 offset:84 ; 4-byte Folded Reload
	v_mov_b32_e32 v2, 1
	s_waitcnt vmcnt(0)
	flat_store_dword v[9:10], v2
	s_branch .LBB2_197
.LBB2_266:                              ;   in Loop: Header=BB2_47 Depth=1
	s_or_b64 exec, exec, s[40:41]
.LBB2_267:                              ;   in Loop: Header=BB2_47 Depth=1
	s_or_b64 exec, exec, s[28:29]
	v_cndmask_b32_e64 v2, 0, 1, s[74:75]
	v_cmp_ne_u32_e64 s[26:27], 1, v2
	s_andn2_b64 vcc, exec, s[74:75]
	s_cbranch_vccnz .LBB2_1676
; %bb.268:                              ;   in Loop: Header=BB2_47 Depth=1
	s_mov_b32 s46, 2
	s_branch .LBB2_271
.LBB2_269:                              ;   in Loop: Header=BB2_271 Depth=2
	s_or_b64 exec, exec, s[42:43]
.LBB2_270:                              ;   in Loop: Header=BB2_271 Depth=2
	s_or_b64 exec, exec, s[40:41]
	s_add_i32 s46, s46, 1
	s_cmp_eq_u32 s46, s66
	s_cbranch_scc1 .LBB2_1676
.LBB2_271:                              ;   Parent Loop BB2_47 Depth=1
                                        ; =>  This Loop Header: Depth=2
                                        ;       Child Loop BB2_274 Depth 3
                                        ;         Child Loop BB2_282 Depth 4
                                        ;         Child Loop BB2_310 Depth 4
	;; [unrolled: 1-line block ×9, first 2 shown]
                                        ;       Child Loop BB2_1604 Depth 3
                                        ;         Child Loop BB2_1610 Depth 4
                                        ;         Child Loop BB2_1638 Depth 4
	;; [unrolled: 1-line block ×3, first 2 shown]
	buffer_load_dword v8, off, s[0:3], s33 offset:184 ; 4-byte Folded Reload
	buffer_load_dword v9, off, s[0:3], s33 offset:188 ; 4-byte Folded Reload
	;; [unrolled: 1-line block ×4, first 2 shown]
	s_sub_i32 s28, s83, s46
	s_cmp_ge_i32 s28, s66
	s_cselect_b32 s29, s66, 0
	s_sub_i32 s28, s28, s29
	s_ashr_i32 s40, s28, 31
	v_mov_b32_e32 v53, 0
	s_waitcnt vmcnt(0)
	v_mul_lo_u32 v4, v8, s40
	v_mul_lo_u32 v2, v9, s28
	v_mad_u64_u32 v[58:59], s[28:29], v8, s28, 0
	v_add3_u32 v59, v59, v4, v2
	v_sub_co_u32_e32 v6, vcc, v6, v58
	v_subb_co_u32_e32 v7, vcc, v7, v59, vcc
	v_cmp_lt_i64_e32 vcc, v[8:9], v[6:7]
	v_cndmask_b32_e32 v2, v6, v8, vcc
	v_max_i32_e32 v31, 0, v2
	v_add_u32_e32 v4, 31, v31
	v_lshrrev_b32_e32 v4, 1, v4
	v_and_b32_e32 v4, 0x3ffffff0, v4
	v_cmp_lt_i32_e32 vcc, 0, v2
	v_max_i32_e32 v54, s86, v4
	s_and_b64 s[28:29], s[78:79], vcc
	v_mov_b32_e32 v2, 0
	s_and_saveexec_b64 s[42:43], s[28:29]
	s_cbranch_execz .LBB2_1601
; %bb.272:                              ;   in Loop: Header=BB2_271 Depth=2
	s_mov_b32 s47, 1
	s_mov_b64 s[92:93], -1
	v_mov_b32_e32 v53, 0
	s_mov_b64 s[90:91], 0
	buffer_store_dword v58, off, s[0:3], s33 offset:176 ; 4-byte Folded Spill
	s_nop 0
	buffer_store_dword v59, off, s[0:3], s33 offset:180 ; 4-byte Folded Spill
	s_branch .LBB2_274
.LBB2_273:                              ;   in Loop: Header=BB2_274 Depth=3
	s_or_b64 exec, exec, s[28:29]
	v_add_u32_e32 v53, v54, v53
	v_cmp_ge_i32_e32 vcc, v53, v31
	s_xor_b64 s[28:29], s[92:93], -1
	s_or_b64 s[28:29], s[28:29], vcc
	s_and_b64 s[28:29], exec, s[28:29]
	s_or_b64 s[90:91], s[28:29], s[90:91]
	s_mov_b64 s[92:93], 0
	v_mov_b32_e32 v2, s47
	s_mov_b32 s47, 2
	s_andn2_b64 exec, exec, s[90:91]
	s_cbranch_execz .LBB2_1600
.LBB2_274:                              ;   Parent Loop BB2_47 Depth=1
                                        ;     Parent Loop BB2_271 Depth=2
                                        ; =>    This Loop Header: Depth=3
                                        ;         Child Loop BB2_282 Depth 4
                                        ;         Child Loop BB2_310 Depth 4
	;; [unrolled: 1-line block ×9, first 2 shown]
	s_and_saveexec_b64 s[28:29], s[4:5]
	s_cbranch_execz .LBB2_276
; %bb.275:                              ;   in Loop: Header=BB2_274 Depth=3
	s_trap 2
	buffer_load_dword v2, off, s[0:3], s33 offset:128 ; 4-byte Folded Reload
	buffer_load_dword v4, off, s[0:3], s33 offset:132 ; 4-byte Folded Reload
	ds_read_b64 v[6:7], v0
	s_waitcnt vmcnt(0) lgkmcnt(0)
	v_add_co_u32_e32 v2, vcc, v6, v2
	v_addc_co_u32_e32 v4, vcc, v7, v4, vcc
	v_add_co_u32_e32 v2, vcc, v2, v58
	v_addc_co_u32_e32 v4, vcc, v4, v59, vcc
	v_ashrrev_i32_e32 v7, 31, v53
	v_add_co_u32_e32 v6, vcc, v2, v53
	v_addc_co_u32_e32 v7, vcc, v4, v7, vcc
	v_mov_b32_e32 v2, v3
	ds_write_b64 v0, v[6:7]
	ds_write_b64 v0, v[2:3]
.LBB2_276:                              ;   in Loop: Header=BB2_274 Depth=3
	s_or_b64 exec, exec, s[28:29]
	v_sub_u32_e32 v2, v31, v53
	v_min_i32_e32 v54, v54, v2
	v_and_b32_e32 v2, 12, v20
	v_cmp_ne_u32_e32 vcc, 0, v2
	s_and_saveexec_b64 s[40:41], vcc
	s_cbranch_execz .LBB2_302
; %bb.277:                              ;   in Loop: Header=BB2_274 Depth=3
	v_and_b32_e32 v2, 8, v20
	s_waitcnt lgkmcnt(0)
	v_add_co_u32_e32 v6, vcc, v32, v2
	v_addc_co_u32_e32 v7, vcc, 0, v33, vcc
	v_add_co_u32_e32 v8, vcc, 2, v50
	v_addc_co_u32_e32 v9, vcc, 0, v51, vcc
	v_cmp_lt_u64_e32 vcc, v[6:7], v[8:9]
	s_and_saveexec_b64 s[94:95], vcc
	s_cbranch_execz .LBB2_289
; %bb.278:                              ;   in Loop: Header=BB2_274 Depth=3
	v_and_b32_e32 v4, 64, v20
	s_mov_b32 s44, 0
	v_cmp_eq_u32_e32 vcc, 0, v4
	s_mov_b64 s[30:31], 0
                                        ; implicit-def: $sgpr34_sgpr35
                                        ; implicit-def: $sgpr36_sgpr37
                                        ; implicit-def: $sgpr38_sgpr39
	s_branch .LBB2_282
.LBB2_279:                              ;   in Loop: Header=BB2_282 Depth=4
	s_waitcnt vmcnt(0) lgkmcnt(0)
	v_add_co_u32_e64 v6, s[28:29], v32, v2
	v_addc_co_u32_e64 v7, s[28:29], 0, v33, s[28:29]
	v_cmp_ge_u64_e64 s[28:29], v[6:7], v[8:9]
	s_or_b64 s[52:53], s[52:53], exec
	s_orn2_b64 s[50:51], s[28:29], exec
.LBB2_280:                              ;   in Loop: Header=BB2_282 Depth=4
	s_or_b64 exec, exec, s[64:65]
	s_andn2_b64 s[28:29], s[38:39], exec
	s_and_b64 s[38:39], s[52:53], exec
	s_or_b64 s[38:39], s[28:29], s[38:39]
	s_andn2_b64 s[28:29], s[36:37], exec
	s_and_b64 s[36:37], s[50:51], exec
	s_or_b64 s[36:37], s[28:29], s[36:37]
.LBB2_281:                              ;   in Loop: Header=BB2_282 Depth=4
	s_or_b64 exec, exec, s[48:49]
	s_and_b64 s[28:29], exec, s[36:37]
	s_or_b64 s[30:31], s[28:29], s[30:31]
	s_andn2_b64 s[28:29], s[34:35], exec
	s_and_b64 s[34:35], s[38:39], exec
	s_or_b64 s[34:35], s[28:29], s[34:35]
	s_andn2_b64 exec, exec, s[30:31]
	s_cbranch_execz .LBB2_286
.LBB2_282:                              ;   Parent Loop BB2_47 Depth=1
                                        ;     Parent Loop BB2_271 Depth=2
                                        ;       Parent Loop BB2_274 Depth=3
                                        ; =>      This Inner Loop Header: Depth=4
	s_sleep 1
	s_waitcnt vmcnt(0) lgkmcnt(0)
	flat_load_dwordx2 v[32:33], v[22:23] glc
	s_or_b64 s[38:39], s[38:39], exec
	s_or_b64 s[36:37], s[36:37], exec
                                        ; implicit-def: $vgpr4
	s_and_saveexec_b64 s[48:49], vcc
	s_cbranch_execz .LBB2_281
; %bb.283:                              ;   in Loop: Header=BB2_282 Depth=4
	s_cmpk_lt_i32 s44, 0x270f
	s_cselect_b64 s[54:55], -1, 0
	s_cmpk_gt_i32 s44, 0x270e
	s_mov_b64 s[50:51], -1
	s_cbranch_scc0 .LBB2_285
; %bb.284:                              ;   in Loop: Header=BB2_282 Depth=4
	s_trap 2
	ds_read_b64 v[6:7], v0
	s_andn2_b64 s[54:55], s[54:55], exec
	s_mov_b32 s44, 0
	s_mov_b64 s[52:53], 0
	s_waitcnt vmcnt(0) lgkmcnt(0)
	flat_load_dword v4, v[6:7] glc
	s_waitcnt vmcnt(0) lgkmcnt(0)
	buffer_wbinvl1_vol
	v_cmp_eq_u32_e64 s[28:29], 0, v4
	s_and_b64 s[28:29], s[28:29], exec
	s_or_b64 s[54:55], s[54:55], s[28:29]
	s_and_saveexec_b64 s[64:65], s[54:55]
	s_cbranch_execz .LBB2_280
	s_branch .LBB2_279
.LBB2_285:                              ;   in Loop: Header=BB2_282 Depth=4
	s_add_i32 s44, s44, 1
	s_mov_b64 s[52:53], -1
                                        ; implicit-def: $vgpr4
	s_and_saveexec_b64 s[64:65], s[54:55]
	s_cbranch_execz .LBB2_280
	s_branch .LBB2_279
.LBB2_286:                              ;   in Loop: Header=BB2_274 Depth=3
	s_or_b64 exec, exec, s[30:31]
	s_xor_b64 s[28:29], s[34:35], -1
	s_and_saveexec_b64 s[44:45], s[28:29]
	s_xor_b64 s[28:29], exec, s[44:45]
	s_cbranch_execz .LBB2_288
; %bb.287:                              ;   in Loop: Header=BB2_274 Depth=3
	v_or_b32_e32 v20, 64, v20
	s_waitcnt lgkmcnt(0)
	ds_write_b32 v0, v4
	s_trap 2
.LBB2_288:                              ;   in Loop: Header=BB2_274 Depth=3
	s_or_b64 exec, exec, s[28:29]
.LBB2_289:                              ;   in Loop: Header=BB2_274 Depth=3
	s_or_b64 exec, exec, s[94:95]
	v_and_b32_e32 v4, 0x108, v20
	v_cmp_ne_u32_e32 vcc, s69, v4
	;;#ASMSTART
	s_wakeup
	;;#ASMEND
	s_and_saveexec_b64 s[28:29], vcc
	s_xor_b64 s[28:29], exec, s[28:29]
                                        ; implicit-def: $vgpr4
; %bb.290:                              ;   in Loop: Header=BB2_274 Depth=3
	v_and_b32_e32 v4, 7, v50
                                        ; implicit-def: $vgpr50_vgpr51
; %bb.291:                              ;   in Loop: Header=BB2_274 Depth=3
	s_andn2_saveexec_b64 s[28:29], s[28:29]
	s_cbranch_execz .LBB2_293
; %bb.292:                              ;   in Loop: Header=BB2_274 Depth=3
	v_and_b32_e32 v4, 7, v50
	v_mad_u64_u32 v[6:7], s[44:45], v4, 24, v[24:25]
	v_ashrrev_i32_e32 v55, 31, v54
	flat_store_dwordx2 v[6:7], v[54:55] offset:8
.LBB2_293:                              ;   in Loop: Header=BB2_274 Depth=3
	s_or_b64 exec, exec, s[28:29]
	v_and_b32_e32 v6, 0x100, v20
	v_cmp_ne_u32_e32 vcc, 0, v6
	s_mov_b64 s[28:29], -1
                                        ; implicit-def: $vgpr10_vgpr11
	s_and_saveexec_b64 s[94:95], vcc
	s_cbranch_execz .LBB2_297
; %bb.294:                              ;   in Loop: Header=BB2_274 Depth=3
	v_mad_u64_u32 v[12:13], s[28:29], v4, 24, v[24:25]
                                        ; implicit-def: $vgpr10_vgpr11
	v_mov_b32_e32 v6, v13
	v_mad_u64_u32 v[6:7], s[28:29], v3, 24, v[6:7]
	v_mov_b32_e32 v13, v6
	flat_load_dword v6, v[12:13]
	s_waitcnt vmcnt(0) lgkmcnt(0)
	v_cmp_ne_u32_e32 vcc, 1, v6
	v_cmp_eq_u32_e64 s[28:29], 1, v6
	s_and_saveexec_b64 s[30:31], s[28:29]
	s_cbranch_execz .LBB2_296
; %bb.295:                              ;   in Loop: Header=BB2_274 Depth=3
	flat_load_dword v10, v[12:13] offset:4 glc
	s_waitcnt vmcnt(0) lgkmcnt(0)
	v_ashrrev_i32_e32 v11, 31, v10
.LBB2_296:                              ;   in Loop: Header=BB2_274 Depth=3
	s_or_b64 exec, exec, s[30:31]
	s_orn2_b64 s[28:29], vcc, exec
.LBB2_297:                              ;   in Loop: Header=BB2_274 Depth=3
	s_or_b64 exec, exec, s[94:95]
	s_and_saveexec_b64 s[94:95], s[28:29]
	s_cbranch_execz .LBB2_299
; %bb.298:                              ;   in Loop: Header=BB2_274 Depth=3
	buffer_load_dword v7, off, s[0:3], s33 offset:104 ; 4-byte Folded Reload
	v_mul_lo_u32 v6, v3, v47
	v_mad_u64_u32 v[10:11], s[28:29], v4, v47, 0
	s_waitcnt vmcnt(0)
	v_mul_lo_u32 v7, v4, v7
	v_add3_u32 v11, v11, v7, v6
.LBB2_299:                              ;   in Loop: Header=BB2_274 Depth=3
	s_or_b64 exec, exec, s[94:95]
	buffer_load_dword v6, off, s[0:3], s33 offset:72 ; 4-byte Folded Reload
	buffer_load_dword v7, off, s[0:3], s33 offset:76 ; 4-byte Folded Reload
	v_cmp_eq_u32_e32 vcc, 0, v2
	v_mov_b32_e32 v2, 0xc8
	v_mov_b32_e32 v4, 0x90
	v_cndmask_b32_e32 v2, v2, v4, vcc
	v_add_u32_e32 v2, v0, v2
	s_waitcnt vmcnt(0)
	v_add_co_u32_e32 v6, vcc, v6, v10
	v_addc_co_u32_e32 v7, vcc, v7, v11, vcc
	ds_write_b64 v2, v[6:7] offset:584
	v_and_b32_e32 v2, 0x2000, v20
	v_cmp_ne_u32_e32 vcc, 0, v2
	s_and_saveexec_b64 s[28:29], vcc
	s_cbranch_execz .LBB2_301
; %bb.300:                              ;   in Loop: Header=BB2_274 Depth=3
	ds_read_b64 v[6:7], v0 offset:872
	s_waitcnt lgkmcnt(0)
	v_add_co_u32_e32 v6, vcc, 1, v6
	v_addc_co_u32_e32 v7, vcc, 0, v7, vcc
	ds_write_b64 v0, v[6:7] offset:872
.LBB2_301:                              ;   in Loop: Header=BB2_274 Depth=3
	s_or_b64 exec, exec, s[28:29]
	v_mov_b32_e32 v51, v9
	v_mov_b32_e32 v50, v8
.LBB2_302:                              ;   in Loop: Header=BB2_274 Depth=3
	s_or_b64 exec, exec, s[40:41]
	s_and_saveexec_b64 s[28:29], s[10:11]
	s_cbranch_execz .LBB2_321
; %bb.303:                              ;   in Loop: Header=BB2_274 Depth=3
	s_and_saveexec_b64 s[40:41], s[58:59]
	s_xor_b64 s[40:41], exec, s[40:41]
	s_cbranch_execz .LBB2_318
; %bb.304:                              ;   in Loop: Header=BB2_274 Depth=3
	s_and_saveexec_b64 s[94:95], s[16:17]
	s_cbranch_execz .LBB2_317
; %bb.305:                              ;   in Loop: Header=BB2_274 Depth=3
	s_mov_b64 s[34:35], exec
	v_mbcnt_lo_u32_b32 v2, s34, 0
	v_mbcnt_hi_u32_b32 v2, s35, v2
	v_cmp_eq_u32_e32 vcc, 0, v2
	s_waitcnt vmcnt(0) lgkmcnt(0)
	buffer_wbinvl1_vol
	s_and_saveexec_b64 s[30:31], vcc
	s_cbranch_execz .LBB2_307
; %bb.306:                              ;   in Loop: Header=BB2_274 Depth=3
	s_bcnt1_i32_b64 s44, s[34:35]
	v_mov_b32_e32 v2, s44
	ds_add_u64 v0, v[2:3]
	s_trap 2
.LBB2_307:                              ;   in Loop: Header=BB2_274 Depth=3
	s_or_b64 exec, exec, s[30:31]
	s_trap 2
	ds_read_b64 v[6:7], v0
	s_waitcnt lgkmcnt(0)
	v_add_co_u32_e32 v28, vcc, v28, v17
	v_addc_co_u32_e32 v29, vcc, 0, v29, vcc
	v_cmp_lt_u64_e32 vcc, v[6:7], v[28:29]
	s_and_saveexec_b64 s[30:31], vcc
	s_cbranch_execz .LBB2_316
; %bb.308:                              ;   in Loop: Header=BB2_274 Depth=3
	s_mov_b32 s44, 0
	s_mov_b64 s[34:35], 0
                                        ; implicit-def: $sgpr36_sgpr37
                                        ; implicit-def: $sgpr38_sgpr39
	s_branch .LBB2_310
.LBB2_309:                              ;   in Loop: Header=BB2_310 Depth=4
	s_or_b64 exec, exec, s[50:51]
	s_and_b64 vcc, exec, vcc
	s_or_b64 s[34:35], vcc, s[34:35]
	s_andn2_b64 vcc, s[36:37], exec
	s_and_b64 s[36:37], s[38:39], exec
	s_or_b64 s[36:37], vcc, s[36:37]
	s_andn2_b64 exec, exec, s[34:35]
	s_cbranch_execz .LBB2_314
.LBB2_310:                              ;   Parent Loop BB2_47 Depth=1
                                        ;     Parent Loop BB2_271 Depth=2
                                        ;       Parent Loop BB2_274 Depth=3
                                        ; =>      This Inner Loop Header: Depth=4
	s_add_i32 s44, s44, 1
	s_cmpk_lg_i32 s44, 0x2710
	s_cselect_b64 s[48:49], -1, 0
	s_and_b64 vcc, exec, s[48:49]
	s_cbranch_vccz .LBB2_312
; %bb.311:                              ;   in Loop: Header=BB2_310 Depth=4
	s_mov_b64 vcc, -1
	s_or_b64 s[38:39], s[38:39], exec
	s_and_saveexec_b64 s[50:51], s[48:49]
	s_cbranch_execz .LBB2_309
	s_branch .LBB2_313
.LBB2_312:                              ;   in Loop: Header=BB2_310 Depth=4
	s_trap 2
	ds_read_b64 v[6:7], v0
	s_andn2_b64 s[48:49], s[48:49], exec
	s_mov_b32 s44, 0
	s_waitcnt lgkmcnt(0)
	flat_load_dword v2, v[6:7] glc
	s_waitcnt vmcnt(0) lgkmcnt(0)
	buffer_wbinvl1_vol
	v_cmp_eq_u32_e32 vcc, 0, v2
	s_and_b64 vcc, vcc, exec
	s_or_b64 s[48:49], s[48:49], vcc
	s_mov_b64 vcc, -1
	s_or_b64 s[38:39], s[38:39], exec
	s_and_saveexec_b64 s[50:51], s[48:49]
	s_cbranch_execz .LBB2_309
.LBB2_313:                              ;   in Loop: Header=BB2_310 Depth=4
	s_sleep 1
	s_trap 2
	ds_read_b64 v[6:7], v0
	s_waitcnt lgkmcnt(0)
	s_andn2_b64 s[38:39], s[38:39], exec
	v_cmp_ge_u64_e32 vcc, v[6:7], v[28:29]
	s_orn2_b64 vcc, vcc, exec
	s_branch .LBB2_309
.LBB2_314:                              ;   in Loop: Header=BB2_274 Depth=3
	s_or_b64 exec, exec, s[34:35]
	s_and_saveexec_b64 s[44:45], s[36:37]
	s_xor_b64 s[44:45], exec, s[44:45]
	s_cbranch_execz .LBB2_316
; %bb.315:                              ;   in Loop: Header=BB2_274 Depth=3
	v_mov_b32_e32 v2, 1
	ds_write_b32 v0, v2
	s_trap 2
.LBB2_316:                              ;   in Loop: Header=BB2_274 Depth=3
	s_or_b64 exec, exec, s[30:31]
	;;#ASMSTART
	s_wakeup
	;;#ASMEND
.LBB2_317:                              ;   in Loop: Header=BB2_274 Depth=3
	s_or_b64 exec, exec, s[94:95]
.LBB2_318:                              ;   in Loop: Header=BB2_274 Depth=3
	s_andn2_saveexec_b64 s[40:41], s[40:41]
	s_cbranch_execz .LBB2_320
; %bb.319:                              ;   in Loop: Header=BB2_274 Depth=3
	s_waitcnt vmcnt(0) lgkmcnt(0)
	buffer_wbinvl1_vol
	s_barrier
.LBB2_320:                              ;   in Loop: Header=BB2_274 Depth=3
	s_or_b64 exec, exec, s[40:41]
.LBB2_321:                              ;   in Loop: Header=BB2_274 Depth=3
	s_or_b64 exec, exec, s[28:29]
	s_trap 2
	ds_read_b32 v4, v0
	v_and_b32_e32 v2, 0x4000, v20
	v_cmp_ne_u32_e32 vcc, 0, v2
	s_xor_b64 s[28:29], s[6:7], -1
	s_and_b64 s[40:41], s[28:29], vcc
	s_and_saveexec_b64 s[28:29], s[40:41]
	s_cbranch_execz .LBB2_340
; %bb.322:                              ;   in Loop: Header=BB2_274 Depth=3
	s_and_saveexec_b64 s[40:41], s[58:59]
	s_xor_b64 s[40:41], exec, s[40:41]
	s_cbranch_execz .LBB2_337
; %bb.323:                              ;   in Loop: Header=BB2_274 Depth=3
	s_and_saveexec_b64 s[94:95], s[16:17]
	s_cbranch_execz .LBB2_336
; %bb.324:                              ;   in Loop: Header=BB2_274 Depth=3
	s_mov_b64 s[34:35], exec
	v_mbcnt_lo_u32_b32 v2, s34, 0
	v_mbcnt_hi_u32_b32 v2, s35, v2
	v_cmp_eq_u32_e32 vcc, 0, v2
	s_waitcnt vmcnt(0) lgkmcnt(0)
	buffer_wbinvl1_vol
	s_and_saveexec_b64 s[30:31], vcc
	s_cbranch_execz .LBB2_326
; %bb.325:                              ;   in Loop: Header=BB2_274 Depth=3
	s_bcnt1_i32_b64 s44, s[34:35]
	v_mov_b32_e32 v2, s44
	ds_add_u64 v0, v[2:3]
	s_trap 2
.LBB2_326:                              ;   in Loop: Header=BB2_274 Depth=3
	s_or_b64 exec, exec, s[30:31]
	s_trap 2
	ds_read_b64 v[6:7], v0
	s_waitcnt lgkmcnt(0)
	v_add_co_u32_e32 v28, vcc, v28, v17
	v_addc_co_u32_e32 v29, vcc, 0, v29, vcc
	v_cmp_lt_u64_e32 vcc, v[6:7], v[28:29]
	s_and_saveexec_b64 s[30:31], vcc
	s_cbranch_execz .LBB2_335
; %bb.327:                              ;   in Loop: Header=BB2_274 Depth=3
	s_mov_b32 s44, 0
	s_mov_b64 s[34:35], 0
                                        ; implicit-def: $sgpr36_sgpr37
                                        ; implicit-def: $sgpr38_sgpr39
	s_branch .LBB2_329
.LBB2_328:                              ;   in Loop: Header=BB2_329 Depth=4
	s_or_b64 exec, exec, s[50:51]
	s_and_b64 vcc, exec, vcc
	s_or_b64 s[34:35], vcc, s[34:35]
	s_andn2_b64 vcc, s[36:37], exec
	s_and_b64 s[36:37], s[38:39], exec
	s_or_b64 s[36:37], vcc, s[36:37]
	s_andn2_b64 exec, exec, s[34:35]
	s_cbranch_execz .LBB2_333
.LBB2_329:                              ;   Parent Loop BB2_47 Depth=1
                                        ;     Parent Loop BB2_271 Depth=2
                                        ;       Parent Loop BB2_274 Depth=3
                                        ; =>      This Inner Loop Header: Depth=4
	s_add_i32 s44, s44, 1
	s_cmpk_lg_i32 s44, 0x2710
	s_cselect_b64 s[48:49], -1, 0
	s_and_b64 vcc, exec, s[48:49]
	s_cbranch_vccz .LBB2_331
; %bb.330:                              ;   in Loop: Header=BB2_329 Depth=4
	s_mov_b64 vcc, -1
	s_or_b64 s[38:39], s[38:39], exec
	s_and_saveexec_b64 s[50:51], s[48:49]
	s_cbranch_execz .LBB2_328
	s_branch .LBB2_332
.LBB2_331:                              ;   in Loop: Header=BB2_329 Depth=4
	s_trap 2
	ds_read_b64 v[6:7], v0
	s_andn2_b64 s[48:49], s[48:49], exec
	s_mov_b32 s44, 0
	s_waitcnt lgkmcnt(0)
	flat_load_dword v2, v[6:7] glc
	s_waitcnt vmcnt(0) lgkmcnt(0)
	buffer_wbinvl1_vol
	v_cmp_eq_u32_e32 vcc, 0, v2
	s_and_b64 vcc, vcc, exec
	s_or_b64 s[48:49], s[48:49], vcc
	s_mov_b64 vcc, -1
	s_or_b64 s[38:39], s[38:39], exec
	s_and_saveexec_b64 s[50:51], s[48:49]
	s_cbranch_execz .LBB2_328
.LBB2_332:                              ;   in Loop: Header=BB2_329 Depth=4
	s_sleep 1
	s_trap 2
	ds_read_b64 v[6:7], v0
	s_waitcnt lgkmcnt(0)
	s_andn2_b64 s[38:39], s[38:39], exec
	v_cmp_ge_u64_e32 vcc, v[6:7], v[28:29]
	s_orn2_b64 vcc, vcc, exec
	s_branch .LBB2_328
.LBB2_333:                              ;   in Loop: Header=BB2_274 Depth=3
	s_or_b64 exec, exec, s[34:35]
	s_and_saveexec_b64 s[44:45], s[36:37]
	s_xor_b64 s[44:45], exec, s[44:45]
	s_cbranch_execz .LBB2_335
; %bb.334:                              ;   in Loop: Header=BB2_274 Depth=3
	v_mov_b32_e32 v2, 1
	ds_write_b32 v0, v2
	s_trap 2
.LBB2_335:                              ;   in Loop: Header=BB2_274 Depth=3
	s_or_b64 exec, exec, s[30:31]
	;;#ASMSTART
	s_wakeup
	;;#ASMEND
.LBB2_336:                              ;   in Loop: Header=BB2_274 Depth=3
	s_or_b64 exec, exec, s[94:95]
.LBB2_337:                              ;   in Loop: Header=BB2_274 Depth=3
	s_andn2_saveexec_b64 s[40:41], s[40:41]
	s_cbranch_execz .LBB2_339
; %bb.338:                              ;   in Loop: Header=BB2_274 Depth=3
	s_waitcnt vmcnt(0) lgkmcnt(0)
	buffer_wbinvl1_vol
	s_barrier
.LBB2_339:                              ;   in Loop: Header=BB2_274 Depth=3
	s_or_b64 exec, exec, s[40:41]
.LBB2_340:                              ;   in Loop: Header=BB2_274 Depth=3
	s_or_b64 exec, exec, s[28:29]
	s_trap 2
	ds_read_b64 v[44:45], v0
	s_waitcnt lgkmcnt(0)
	v_cmp_eq_u64_e32 vcc, 0, v[44:45]
	s_cbranch_vccnz .LBB2_348
; %bb.341:                              ;   in Loop: Header=BB2_274 Depth=3
	s_trap 2
	ds_read_b64 v[42:43], v0
	s_waitcnt lgkmcnt(0)
	v_cmp_eq_u64_e32 vcc, 0, v[42:43]
	s_cbranch_vccnz .LBB2_348
; %bb.342:                              ;   in Loop: Header=BB2_274 Depth=3
	s_mov_b64 s[28:29], -1
	s_and_saveexec_b64 s[40:41], s[22:23]
	s_cbranch_execz .LBB2_344
; %bb.343:                              ;   in Loop: Header=BB2_274 Depth=3
	ds_read_b32 v2, v0 offset:720
	s_waitcnt lgkmcnt(0)
	v_and_b32_e32 v2, 15, v2
	v_cmp_eq_u32_e32 vcc, 0, v2
	s_orn2_b64 s[28:29], vcc, exec
.LBB2_344:                              ;   in Loop: Header=BB2_274 Depth=3
	s_or_b64 exec, exec, s[40:41]
	s_and_saveexec_b64 s[40:41], s[20:21]
	s_cbranch_execz .LBB2_346
; %bb.345:                              ;   in Loop: Header=BB2_274 Depth=3
	ds_read_b32 v2, v0 offset:784
	s_waitcnt lgkmcnt(0)
	v_and_b32_e32 v2, 15, v2
	v_cmp_eq_u32_e32 vcc, 0, v2
	s_and_b64 s[44:45], s[28:29], vcc
	s_andn2_b64 s[28:29], s[28:29], exec
	s_and_b64 s[44:45], s[44:45], exec
	s_or_b64 s[28:29], s[28:29], s[44:45]
.LBB2_346:                              ;   in Loop: Header=BB2_274 Depth=3
	s_or_b64 exec, exec, s[40:41]
	s_xor_b64 s[28:29], s[28:29], -1
	v_cmp_eq_u32_e32 vcc, 0, v4
	v_cndmask_b32_e64 v2, 0, 1, s[28:29]
	v_cndmask_b32_e32 v37, 0, v54, vcc
	v_cmp_ne_u32_e32 vcc, 0, v2
	buffer_load_dword v2, off, s[0:3], s33 offset:108 ; 4-byte Folded Reload
	s_mov_b64 s[30:31], -1
	v_mov_b32_e32 v7, 0
	v_mov_b32_e32 v21, v37
	;; [unrolled: 1-line block ×3, first 2 shown]
	s_cbranch_vccz .LBB2_349
; %bb.347:                              ;   in Loop: Header=BB2_274 Depth=3
	s_and_saveexec_b64 s[40:41], s[30:31]
	s_cbranch_execnz .LBB2_1258
	s_branch .LBB2_1554
.LBB2_348:                              ;   in Loop: Header=BB2_274 Depth=3
	s_mov_b64 s[28:29], 0
	s_and_saveexec_b64 s[40:41], s[10:11]
	s_cbranch_execnz .LBB2_1555
	s_branch .LBB2_1573
.LBB2_349:                              ;   in Loop: Header=BB2_274 Depth=3
	buffer_load_dword v2, off, s[0:3], s33 offset:136 ; 4-byte Folded Reload
	s_waitcnt vmcnt(0)
	v_sub_u32_e32 v4, v37, v2
	v_ashrrev_i32_e32 v2, 31, v37
	v_lshrrev_b32_e32 v2, 22, v2
	v_add_u32_e32 v2, v37, v2
	v_ashrrev_i32_e32 v6, 10, v2
	v_and_b32_e32 v8, 0xfffffc00, v2
	buffer_load_dword v2, off, s[0:3], s33 offset:140 ; 4-byte Folded Reload
	v_sub_u32_e32 v9, v37, v8
	v_cmp_lt_i32_e32 vcc, 15, v9
	s_waitcnt vmcnt(0)
	v_addc_co_u32_e64 v27, s[28:29], v6, v2, vcc
	v_cmp_lt_i32_e64 s[28:29], 15, v4
	s_and_saveexec_b64 s[94:95], s[28:29]
	s_cbranch_execz .LBB2_801
; %bb.350:                              ;   in Loop: Header=BB2_274 Depth=3
	buffer_store_dword v9, off, s[0:3], s33 offset:164 ; 4-byte Folded Spill
	buffer_store_dword v8, off, s[0:3], s33 offset:156 ; 4-byte Folded Spill
	s_trap 2
	buffer_load_dword v2, off, s[0:3], s33 offset:136 ; 4-byte Folded Reload
	buffer_load_dword v8, off, s[0:3], s33 offset:192 ; 4-byte Folded Reload
	ds_read_b64 v[6:7], v0
	s_mov_b64 s[30:31], 0
	s_waitcnt vmcnt(1)
	v_add_co_u32_e64 v46, s[28:29], v44, v2
	s_waitcnt vmcnt(0)
	v_addc_co_u32_e64 v47, s[28:29], v45, v8, s[28:29]
	s_waitcnt lgkmcnt(0)
	v_add_co_u32_e64 v55, s[28:29], v6, v2
	v_addc_co_u32_e64 v56, s[28:29], v7, v8, s[28:29]
	v_add_co_u32_e64 v57, s[28:29], v42, v2
	v_addc_co_u32_e64 v58, s[28:29], v43, v8, s[28:29]
	s_branch .LBB2_352
.LBB2_351:                              ;   in Loop: Header=BB2_352 Depth=4
	s_or_b64 exec, exec, s[28:29]
	v_lshl_or_b32 v8, v30, 8, v61
	v_lshlrev_b32_e32 v9, 16, v59
	v_lshlrev_b32_e32 v10, 24, v60
	v_or3_b32 v8, v8, v9, v10
	v_lshl_or_b32 v7, v21, 8, v7
	v_lshlrev_b32_e32 v9, 16, v34
	v_lshlrev_b32_e32 v10, 24, v52
	v_add_co_u32_e64 v46, s[28:29], v46, v38
	v_or3_b32 v7, v7, v9, v10
	v_lshl_or_b32 v9, v48, 8, v16
	v_lshlrev_b32_e32 v6, 16, v6
	v_lshlrev_b32_e32 v10, 24, v26
	v_addc_co_u32_e64 v47, s[28:29], 0, v47, s[28:29]
	v_or3_b32 v9, v9, v6, v10
	v_lshlrev_b32_e32 v2, 24, v2
	v_lshlrev_b32_e32 v6, 16, v12
	v_lshl_or_b32 v10, v19, 8, v18
	v_add_co_u32_e64 v55, s[28:29], v55, v38
	v_or3_b32 v10, v10, v6, v2
	v_addc_co_u32_e64 v56, s[28:29], 0, v56, s[28:29]
	global_store_dwordx4 v[57:58], v[7:10], off glc slc
	v_add_co_u32_e64 v57, s[28:29], v57, v38
	v_addc_co_u32_e64 v58, s[28:29], 0, v58, s[28:29]
	v_sub_u32_e32 v4, v4, v38
	v_cmp_gt_i32_e64 s[28:29], 16, v4
	s_or_b64 s[30:31], s[28:29], s[30:31]
	v_sub_u32_e32 v27, v27, v17
	s_andn2_b64 exec, exec, s[30:31]
	s_cbranch_execz .LBB2_800
.LBB2_352:                              ;   Parent Loop BB2_47 Depth=1
                                        ;     Parent Loop BB2_271 Depth=2
                                        ;       Parent Loop BB2_274 Depth=3
                                        ; =>      This Inner Loop Header: Depth=4
	global_load_dwordx4 v[12:15], v[46:47], off glc slc
	global_load_dwordx4 v[8:11], v[55:56], off glc slc
	v_mov_b32_e32 v2, 0
	s_waitcnt vmcnt(1)
	v_cmp_ne_u16_sdwa s[28:29], v12, v3 src0_sel:BYTE_0 src1_sel:DWORD
	s_and_saveexec_b64 s[40:41], s[28:29]
	s_cbranch_execz .LBB2_358
; %bb.353:                              ;   in Loop: Header=BB2_352 Depth=4
	v_cmp_ne_u16_sdwa s[28:29], v12, s70 src0_sel:BYTE_0 src1_sel:DWORD
	v_bfrev_b32_e32 v2, 1
	s_and_saveexec_b64 s[34:35], s[28:29]
	s_cbranch_execz .LBB2_357
; %bb.354:                              ;   in Loop: Header=BB2_352 Depth=4
	v_and_b32_e32 v6, 0x7f, v12
	v_cmp_ne_u32_e64 s[28:29], s71, v6
	v_mov_b32_e32 v2, 0x7f800001
	s_and_saveexec_b64 s[36:37], s[28:29]
	s_cbranch_execz .LBB2_356
; %bb.355:                              ;   in Loop: Header=BB2_352 Depth=4
	v_and_b32_e32 v2, 7, v12
	v_ffbh_u32_e32 v2, v2
	v_min_u32_e32 v2, 32, v2
	v_lshrrev_b32_e32 v7, 3, v6
	v_cmp_gt_u32_e64 s[28:29], 8, v6
	v_subrev_u32_e32 v6, 28, v2
	v_sub_u32_e32 v2, 29, v2
	v_cndmask_b32_e64 v6, 0, v6, s[28:29]
	v_cndmask_b32_e64 v2, v7, v2, s[28:29]
	v_lshlrev_b64 v[6:7], v6, v[12:13]
	v_lshlrev_b32_e32 v7, 24, v12
	v_lshlrev_b32_e32 v6, 20, v6
	v_and_b32_e32 v6, 0x700000, v6
	v_and_b32_e32 v7, 0x80000000, v7
	v_lshl_add_u32 v2, v2, 23, v49
	v_or3_b32 v2, v7, v2, v6
.LBB2_356:                              ;   in Loop: Header=BB2_352 Depth=4
	s_or_b64 exec, exec, s[36:37]
.LBB2_357:                              ;   in Loop: Header=BB2_352 Depth=4
	s_or_b64 exec, exec, s[34:35]
.LBB2_358:                              ;   in Loop: Header=BB2_352 Depth=4
	s_or_b64 exec, exec, s[40:41]
	s_waitcnt vmcnt(0)
	v_cmp_gt_i16_sdwa s[40:41], v8, s71 src0_sel:BYTE_0 src1_sel:DWORD
	s_mov_b64 s[28:29], 0
	s_and_saveexec_b64 s[44:45], s[40:41]
	s_xor_b64 s[40:41], exec, s[44:45]
	s_cbranch_execz .LBB2_780
; %bb.359:                              ;   in Loop: Header=BB2_352 Depth=4
	v_cmp_eq_u16_sdwa s[44:45], v8, s70 src0_sel:BYTE_0 src1_sel:DWORD
	s_mov_b64 s[28:29], -1
	s_and_saveexec_b64 s[34:35], s[44:45]
; %bb.360:                              ;   in Loop: Header=BB2_352 Depth=4
	s_xor_b64 s[28:29], exec, -1
; %bb.361:                              ;   in Loop: Header=BB2_352 Depth=4
	s_or_b64 exec, exec, s[34:35]
	s_and_b64 s[28:29], s[28:29], exec
	s_or_saveexec_b64 s[40:41], s[40:41]
	v_bfrev_b32_e32 v6, 1
	s_xor_b64 exec, exec, s[40:41]
	s_cbranch_execnz .LBB2_781
.LBB2_362:                              ;   in Loop: Header=BB2_352 Depth=4
	s_or_b64 exec, exec, s[40:41]
	s_and_saveexec_b64 s[40:41], s[28:29]
	s_cbranch_execz .LBB2_364
.LBB2_363:                              ;   in Loop: Header=BB2_352 Depth=4
	v_and_b32_e32 v6, 7, v8
	v_ffbh_u32_e32 v6, v6
	v_and_b32_e32 v16, 0x7f, v8
	v_min_u32_e32 v6, 32, v6
	v_bfe_u32 v7, v8, 3, 4
	v_subrev_u32_e32 v18, 28, v6
	v_sub_u32_e32 v6, 29, v6
	v_cmp_gt_u32_e64 s[28:29], 8, v16
	v_cndmask_b32_e64 v19, v7, v6, s[28:29]
	v_cndmask_b32_e64 v6, 0, v18, s[28:29]
	v_lshlrev_b64 v[6:7], v6, v[8:9]
	v_lshlrev_b32_e32 v7, 24, v8
	v_lshlrev_b32_e32 v6, 20, v6
	v_and_b32_e32 v6, 0x700000, v6
	v_and_b32_e32 v7, 0x80000000, v7
	v_lshl_add_u32 v18, v19, 23, v49
	v_or3_b32 v6, v7, v18, v6
	v_cmp_ne_u32_e64 s[28:29], s71, v16
	v_cndmask_b32_e64 v6, v5, v6, s[28:29]
.LBB2_364:                              ;   in Loop: Header=BB2_352 Depth=4
	s_or_b64 exec, exec, s[40:41]
	v_mul_f32_e32 v16, v2, v6
	v_and_b32_e32 v2, 0x7f800000, v16
	v_cmp_ne_u64_e64 s[28:29], s[62:63], v[2:3]
                                        ; implicit-def: $vgpr7
	s_and_saveexec_b64 s[40:41], s[28:29]
	s_xor_b64 s[34:35], exec, s[40:41]
	s_cbranch_execz .LBB2_378
; %bb.365:                              ;   in Loop: Header=BB2_352 Depth=4
	v_and_b32_e32 v2, 0x7fffffff, v16
	v_cmp_gt_u64_e64 s[28:29], s[72:73], v[2:3]
	v_and_b32_sdwa v6, v16, s70 dst_sel:DWORD dst_unused:UNUSED_PAD src0_sel:BYTE_3 src1_sel:DWORD
                                        ; implicit-def: $vgpr7
	s_and_saveexec_b64 s[40:41], s[28:29]
	s_xor_b64 s[36:37], exec, s[40:41]
	s_cbranch_execz .LBB2_375
; %bb.366:                              ;   in Loop: Header=BB2_352 Depth=4
	v_mov_b32_e32 v7, 0
	v_cmp_ne_u32_e64 s[28:29], 0, v16
	s_and_saveexec_b64 s[38:39], s[28:29]
	s_cbranch_execz .LBB2_374
; %bb.367:                              ;   in Loop: Header=BB2_352 Depth=4
	v_bfe_u32 v7, v16, 23, 8
	v_and_b32_e32 v2, 0x7fffff, v16
	v_cmp_gt_u32_e64 s[40:41], s80, v7
	v_sub_u32_e32 v16, 0x79, v7
	v_cmp_eq_u32_e64 s[28:29], 0, v7
	v_cndmask_b32_e64 v16, 0, v16, s[40:41]
	v_or_b32_e32 v18, 0x800000, v2
	v_cndmask_b32_e64 v16, v16, v1, s[28:29]
	v_cndmask_b32_e64 v2, v18, v2, s[28:29]
	v_add_u32_e32 v18, 20, v16
	v_lshlrev_b64 v[18:19], v18, -1
	v_add_u32_e32 v21, 19, v16
	v_lshlrev_b64 v[24:25], v21, 1
	v_lshrrev_b64 v[59:60], v16, v[2:3]
	v_bfi_b32 v19, v19, 0, 0
	v_bfi_b32 v18, v18, 0, v2
	v_cmp_eq_u64_e64 s[40:41], v[18:19], v[24:25]
	v_mov_b32_e32 v61, v60
	v_mov_b32_e32 v60, v59
	s_and_saveexec_b64 s[48:49], s[40:41]
; %bb.368:                              ;   in Loop: Header=BB2_352 Depth=4
	v_bfe_u32 v2, v59, 20, 1
	v_add_co_u32_e64 v2, s[40:41], v59, v2
	v_add_co_u32_e64 v60, s[40:41], -1, v2
; %bb.369:                              ;   in Loop: Header=BB2_352 Depth=4
	s_or_b64 exec, exec, s[48:49]
	v_add_u32_e32 v2, 0xffffff81, v7
	v_cndmask_b32_e64 v2, v2, v0, s[28:29]
	v_lshrrev_b32_e32 v7, 23, v59
	v_add3_u32 v18, v16, v2, v7
	v_add_u32_e32 v16, 6, v18
	v_and_b32_e32 v2, 0xfffff, v60
	v_add_u32_e32 v2, v2, v59
	v_cmp_ne_u32_e64 s[28:29], 0, v16
                                        ; implicit-def: $vgpr59_vgpr60
                                        ; implicit-def: $vgpr7
	s_and_saveexec_b64 s[40:41], s[28:29]
	s_xor_b64 s[40:41], exec, s[40:41]
; %bb.370:                              ;   in Loop: Header=BB2_352 Depth=4
	v_cmp_lt_u64_e64 s[28:29], s[88:89], v[2:3]
	v_add_u32_e32 v7, 7, v18
	v_cndmask_b32_e64 v7, v16, v7, s[28:29]
	v_cndmask_b32_e64 v16, 0, 1, s[28:29]
	v_lshrrev_b64 v[59:60], v16, v[2:3]
; %bb.371:                              ;   in Loop: Header=BB2_352 Depth=4
	s_andn2_saveexec_b64 s[28:29], s[40:41]
; %bb.372:                              ;   in Loop: Header=BB2_352 Depth=4
	v_mov_b32_e32 v60, v3
	v_bfe_u32 v7, v2, 23, 1
	v_mov_b32_e32 v59, v2
; %bb.373:                              ;   in Loop: Header=BB2_352 Depth=4
	s_or_b64 exec, exec, s[28:29]
	v_lshrrev_b64 v[18:19], 20, v[59:60]
	v_cmp_gt_i32_e64 s[28:29], 16, v7
	v_cndmask_b32_e64 v19, 0, v19, s[28:29]
	v_cndmask_b32_e64 v18, 7, v18, s[28:29]
	v_min_i32_e32 v2, 15, v7
	v_cmp_eq_u64_e64 s[40:41], 0, v[18:19]
	v_lshlrev_b32_e32 v2, 3, v2
	v_cmp_eq_u32_e64 s[28:29], 0, v7
	v_and_b32_e32 v2, 0xf8, v2
	v_and_or_b32 v2, v18, 7, v2
	s_and_b64 s[28:29], s[28:29], s[40:41]
	v_cndmask_b32_e64 v2, v2, 0, s[28:29]
	v_or_b32_e32 v7, v2, v6
.LBB2_374:                              ;   in Loop: Header=BB2_352 Depth=4
	s_or_b64 exec, exec, s[38:39]
                                        ; implicit-def: $vgpr6
.LBB2_375:                              ;   in Loop: Header=BB2_352 Depth=4
	s_andn2_saveexec_b64 s[28:29], s[36:37]
; %bb.376:                              ;   in Loop: Header=BB2_352 Depth=4
	v_or_b32_e32 v7, 0x7e, v6
; %bb.377:                              ;   in Loop: Header=BB2_352 Depth=4
	s_or_b64 exec, exec, s[28:29]
                                        ; implicit-def: $vgpr16
.LBB2_378:                              ;   in Loop: Header=BB2_352 Depth=4
	s_andn2_saveexec_b64 s[28:29], s[34:35]
; %bb.379:                              ;   in Loop: Header=BB2_352 Depth=4
	v_or_b32_sdwa v7, v16, s71 dst_sel:DWORD dst_unused:UNUSED_PAD src0_sel:BYTE_3 src1_sel:DWORD
; %bb.380:                              ;   in Loop: Header=BB2_352 Depth=4
	s_or_b64 exec, exec, s[28:29]
	v_lshrrev_b16_e32 v2, 8, v12
	v_cmp_ne_u16_e64 s[28:29], 0, v2
	v_mov_b32_e32 v6, 0
	s_and_saveexec_b64 s[40:41], s[28:29]
	s_cbranch_execz .LBB2_386
; %bb.381:                              ;   in Loop: Header=BB2_352 Depth=4
	v_cmp_ne_u16_e64 s[28:29], s70, v2
	v_bfrev_b32_e32 v6, 1
	s_and_saveexec_b64 s[34:35], s[28:29]
	s_cbranch_execz .LBB2_385
; %bb.382:                              ;   in Loop: Header=BB2_352 Depth=4
	v_and_b32_e32 v16, 0x7f, v2
	v_cmp_ne_u32_e64 s[28:29], s71, v16
	v_mov_b32_e32 v6, 0x7f800001
	s_and_saveexec_b64 s[36:37], s[28:29]
	s_cbranch_execz .LBB2_384
; %bb.383:                              ;   in Loop: Header=BB2_352 Depth=4
	v_and_b32_e32 v6, 7, v2
	v_lshrrev_b32_e32 v21, 3, v16
	v_cmp_gt_u32_e64 s[28:29], 8, v16
	v_ffbh_u32_e32 v16, v6
	v_min_u32_e32 v16, 32, v16
	v_subrev_u32_e32 v18, 28, v16
	v_lshlrev_b64 v[18:19], v18, v[2:3]
	v_sub_u32_e32 v2, 29, v16
	v_and_b32_e32 v16, 7, v18
	v_cndmask_b32_e64 v2, v21, v2, s[28:29]
	v_cndmask_b32_e64 v6, v6, v16, s[28:29]
	v_lshlrev_b32_e32 v16, 16, v12
	v_lshlrev_b32_e32 v6, 20, v6
	v_and_b32_e32 v16, 0x80000000, v16
	v_lshl_add_u32 v2, v2, 23, v49
	v_or3_b32 v6, v16, v2, v6
.LBB2_384:                              ;   in Loop: Header=BB2_352 Depth=4
	s_or_b64 exec, exec, s[36:37]
.LBB2_385:                              ;   in Loop: Header=BB2_352 Depth=4
	s_or_b64 exec, exec, s[34:35]
.LBB2_386:                              ;   in Loop: Header=BB2_352 Depth=4
	s_or_b64 exec, exec, s[40:41]
	v_lshrrev_b16_e32 v2, 8, v8
	v_cmp_lt_i16_e64 s[28:29], s71, v2
	s_mov_b64 s[40:41], 0
	s_and_saveexec_b64 s[44:45], s[28:29]
	s_xor_b64 s[34:35], exec, s[44:45]
	s_cbranch_execz .LBB2_782
; %bb.387:                              ;   in Loop: Header=BB2_352 Depth=4
	v_cmp_eq_u16_e64 s[28:29], s70, v2
	s_mov_b64 s[40:41], -1
	s_and_saveexec_b64 s[36:37], s[28:29]
; %bb.388:                              ;   in Loop: Header=BB2_352 Depth=4
	s_xor_b64 s[40:41], exec, -1
; %bb.389:                              ;   in Loop: Header=BB2_352 Depth=4
	s_or_b64 exec, exec, s[36:37]
	s_and_b64 s[40:41], s[40:41], exec
	s_or_saveexec_b64 s[34:35], s[34:35]
	v_bfrev_b32_e32 v16, 1
	s_xor_b64 exec, exec, s[34:35]
	s_cbranch_execnz .LBB2_783
.LBB2_390:                              ;   in Loop: Header=BB2_352 Depth=4
	s_or_b64 exec, exec, s[34:35]
	s_and_saveexec_b64 s[34:35], s[40:41]
	s_cbranch_execz .LBB2_392
.LBB2_391:                              ;   in Loop: Header=BB2_352 Depth=4
	v_and_b32_e32 v16, 7, v2
	v_ffbh_u32_e32 v18, v16
	v_min_u32_e32 v25, 32, v18
	v_subrev_u32_e32 v18, 28, v25
	v_lshlrev_b64 v[18:19], v18, v[2:3]
	v_and_b32_e32 v21, 0x7f, v2
	v_bfe_u32 v24, v2, 3, 4
	v_sub_u32_e32 v19, 29, v25
	v_and_b32_e32 v18, 7, v18
	v_cmp_gt_u32_e64 s[28:29], 8, v21
	v_cndmask_b32_e64 v19, v24, v19, s[28:29]
	v_cndmask_b32_e64 v16, v16, v18, s[28:29]
	v_lshlrev_b32_e32 v2, 24, v2
	v_lshlrev_b32_e32 v16, 20, v16
	v_and_b32_e32 v2, 0x80000000, v2
	v_lshl_add_u32 v18, v19, 23, v49
	v_or3_b32 v2, v2, v18, v16
	v_cmp_ne_u32_e64 s[28:29], s71, v21
	v_cndmask_b32_e64 v16, v5, v2, s[28:29]
.LBB2_392:                              ;   in Loop: Header=BB2_352 Depth=4
	s_or_b64 exec, exec, s[34:35]
	v_mul_f32_e32 v16, v6, v16
	v_and_b32_e32 v2, 0x7f800000, v16
	v_cmp_ne_u64_e64 s[28:29], s[62:63], v[2:3]
                                        ; implicit-def: $vgpr21
	s_and_saveexec_b64 s[40:41], s[28:29]
	s_xor_b64 s[34:35], exec, s[40:41]
	s_cbranch_execz .LBB2_406
; %bb.393:                              ;   in Loop: Header=BB2_352 Depth=4
	v_and_b32_e32 v2, 0x7fffffff, v16
	v_cmp_gt_u64_e64 s[28:29], s[72:73], v[2:3]
	v_and_b32_sdwa v6, v16, s70 dst_sel:DWORD dst_unused:UNUSED_PAD src0_sel:BYTE_3 src1_sel:DWORD
                                        ; implicit-def: $vgpr21
	s_and_saveexec_b64 s[40:41], s[28:29]
	s_xor_b64 s[36:37], exec, s[40:41]
	s_cbranch_execz .LBB2_403
; %bb.394:                              ;   in Loop: Header=BB2_352 Depth=4
	v_mov_b32_e32 v21, 0
	v_cmp_ne_u32_e64 s[28:29], 0, v16
	s_and_saveexec_b64 s[38:39], s[28:29]
	s_cbranch_execz .LBB2_402
; %bb.395:                              ;   in Loop: Header=BB2_352 Depth=4
	v_and_b32_e32 v2, 0x7fffff, v16
	v_bfe_u32 v16, v16, 23, 8
	v_cmp_gt_u32_e64 s[40:41], s80, v16
	v_sub_u32_e32 v18, 0x79, v16
	v_cmp_eq_u32_e64 s[28:29], 0, v16
	v_cndmask_b32_e64 v18, 0, v18, s[40:41]
	v_or_b32_e32 v19, 0x800000, v2
	v_cndmask_b32_e64 v18, v18, v1, s[28:29]
	v_cndmask_b32_e64 v2, v19, v2, s[28:29]
	v_add_u32_e32 v19, 20, v18
	v_lshlrev_b64 v[24:25], v19, -1
	v_add_u32_e32 v19, 19, v18
	v_lshlrev_b64 v[40:41], v19, 1
	v_lshrrev_b64 v[59:60], v18, v[2:3]
	v_bfi_b32 v25, v25, 0, 0
	v_bfi_b32 v24, v24, 0, v2
	v_cmp_eq_u64_e64 s[40:41], v[24:25], v[40:41]
	v_mov_b32_e32 v61, v60
	v_mov_b32_e32 v60, v59
	s_and_saveexec_b64 s[48:49], s[40:41]
; %bb.396:                              ;   in Loop: Header=BB2_352 Depth=4
	v_bfe_u32 v2, v59, 20, 1
	v_add_co_u32_e64 v2, s[40:41], v59, v2
	v_add_co_u32_e64 v60, s[40:41], -1, v2
; %bb.397:                              ;   in Loop: Header=BB2_352 Depth=4
	s_or_b64 exec, exec, s[48:49]
	v_add_u32_e32 v2, 0xffffff81, v16
	v_cndmask_b32_e64 v2, v2, v0, s[28:29]
	v_lshrrev_b32_e32 v16, 23, v59
	v_add3_u32 v19, v18, v2, v16
	v_add_u32_e32 v18, 6, v19
	v_and_b32_e32 v2, 0xfffff, v60
	v_add_u32_e32 v2, v2, v59
	v_cmp_ne_u32_e64 s[28:29], 0, v18
                                        ; implicit-def: $vgpr59_vgpr60
                                        ; implicit-def: $vgpr16
	s_and_saveexec_b64 s[40:41], s[28:29]
	s_xor_b64 s[40:41], exec, s[40:41]
; %bb.398:                              ;   in Loop: Header=BB2_352 Depth=4
	v_cmp_lt_u64_e64 s[28:29], s[88:89], v[2:3]
	v_add_u32_e32 v16, 7, v19
	v_cndmask_b32_e64 v16, v18, v16, s[28:29]
	v_cndmask_b32_e64 v18, 0, 1, s[28:29]
	v_lshrrev_b64 v[59:60], v18, v[2:3]
; %bb.399:                              ;   in Loop: Header=BB2_352 Depth=4
	s_andn2_saveexec_b64 s[28:29], s[40:41]
; %bb.400:                              ;   in Loop: Header=BB2_352 Depth=4
	v_mov_b32_e32 v60, v3
	v_bfe_u32 v16, v2, 23, 1
	v_mov_b32_e32 v59, v2
; %bb.401:                              ;   in Loop: Header=BB2_352 Depth=4
	s_or_b64 exec, exec, s[28:29]
	v_lshrrev_b64 v[18:19], 20, v[59:60]
	v_cmp_gt_i32_e64 s[28:29], 16, v16
	v_cndmask_b32_e64 v19, 0, v19, s[28:29]
	v_cndmask_b32_e64 v18, 7, v18, s[28:29]
	v_min_i32_e32 v2, 15, v16
	v_cmp_eq_u64_e64 s[40:41], 0, v[18:19]
	v_lshlrev_b32_e32 v2, 3, v2
	v_cmp_eq_u32_e64 s[28:29], 0, v16
	v_and_b32_e32 v2, 0xf8, v2
	v_and_or_b32 v2, v18, 7, v2
	s_and_b64 s[28:29], s[28:29], s[40:41]
	v_cndmask_b32_e64 v2, v2, 0, s[28:29]
	v_or_b32_e32 v21, v2, v6
.LBB2_402:                              ;   in Loop: Header=BB2_352 Depth=4
	s_or_b64 exec, exec, s[38:39]
                                        ; implicit-def: $vgpr6
.LBB2_403:                              ;   in Loop: Header=BB2_352 Depth=4
	s_andn2_saveexec_b64 s[28:29], s[36:37]
; %bb.404:                              ;   in Loop: Header=BB2_352 Depth=4
	v_or_b32_e32 v21, 0x7e, v6
; %bb.405:                              ;   in Loop: Header=BB2_352 Depth=4
	s_or_b64 exec, exec, s[28:29]
                                        ; implicit-def: $vgpr16
.LBB2_406:                              ;   in Loop: Header=BB2_352 Depth=4
	s_andn2_saveexec_b64 s[28:29], s[34:35]
; %bb.407:                              ;   in Loop: Header=BB2_352 Depth=4
	v_or_b32_sdwa v21, v16, s71 dst_sel:DWORD dst_unused:UNUSED_PAD src0_sel:BYTE_3 src1_sel:DWORD
; %bb.408:                              ;   in Loop: Header=BB2_352 Depth=4
	s_or_b64 exec, exec, s[28:29]
	v_lshrrev_b32_e32 v2, 16, v12
	v_cmp_ne_u16_sdwa s[28:29], v2, v3 src0_sel:BYTE_0 src1_sel:DWORD
	v_mov_b32_e32 v6, 0
	s_and_saveexec_b64 s[40:41], s[28:29]
	s_cbranch_execz .LBB2_414
; %bb.409:                              ;   in Loop: Header=BB2_352 Depth=4
	v_cmp_ne_u16_sdwa s[28:29], v2, s70 src0_sel:BYTE_0 src1_sel:DWORD
	v_bfrev_b32_e32 v6, 1
	s_and_saveexec_b64 s[34:35], s[28:29]
	s_cbranch_execz .LBB2_413
; %bb.410:                              ;   in Loop: Header=BB2_352 Depth=4
	v_bfe_u32 v16, v12, 16, 7
	v_cmp_ne_u32_e64 s[28:29], s71, v16
	v_mov_b32_e32 v6, 0x7f800001
	s_and_saveexec_b64 s[36:37], s[28:29]
	s_cbranch_execz .LBB2_412
; %bb.411:                              ;   in Loop: Header=BB2_352 Depth=4
	v_and_b32_e32 v6, 7, v2
	v_lshrrev_b32_e32 v24, 3, v16
	v_cmp_gt_u32_e64 s[28:29], 8, v16
	v_ffbh_u32_e32 v16, v6
	v_min_u32_e32 v16, 32, v16
	v_subrev_u32_e32 v18, 28, v16
	v_lshlrev_b64 v[18:19], v18, v[2:3]
	v_sub_u32_e32 v16, 29, v16
	v_and_b32_e32 v18, 7, v18
	v_cndmask_b32_e64 v16, v24, v16, s[28:29]
	v_cndmask_b32_e64 v6, v6, v18, s[28:29]
	v_lshlrev_b32_e32 v2, 24, v2
	v_lshlrev_b32_e32 v6, 20, v6
	v_and_b32_e32 v2, 0x80000000, v2
	v_lshl_add_u32 v16, v16, 23, v49
	v_or3_b32 v6, v2, v16, v6
.LBB2_412:                              ;   in Loop: Header=BB2_352 Depth=4
	s_or_b64 exec, exec, s[36:37]
.LBB2_413:                              ;   in Loop: Header=BB2_352 Depth=4
	s_or_b64 exec, exec, s[34:35]
.LBB2_414:                              ;   in Loop: Header=BB2_352 Depth=4
	s_or_b64 exec, exec, s[40:41]
	v_lshrrev_b32_e32 v2, 16, v8
	v_cmp_gt_i16_sdwa s[40:41], v2, s71 src0_sel:BYTE_0 src1_sel:DWORD
	s_mov_b64 s[28:29], 0
	s_and_saveexec_b64 s[44:45], s[40:41]
	s_xor_b64 s[40:41], exec, s[44:45]
	s_cbranch_execz .LBB2_784
; %bb.415:                              ;   in Loop: Header=BB2_352 Depth=4
	v_cmp_eq_u16_sdwa s[44:45], v2, s70 src0_sel:BYTE_0 src1_sel:DWORD
	s_mov_b64 s[28:29], -1
	s_and_saveexec_b64 s[34:35], s[44:45]
; %bb.416:                              ;   in Loop: Header=BB2_352 Depth=4
	s_xor_b64 s[28:29], exec, -1
; %bb.417:                              ;   in Loop: Header=BB2_352 Depth=4
	s_or_b64 exec, exec, s[34:35]
	s_and_b64 s[28:29], s[28:29], exec
	s_or_saveexec_b64 s[40:41], s[40:41]
	v_bfrev_b32_e32 v16, 1
	s_xor_b64 exec, exec, s[40:41]
	s_cbranch_execnz .LBB2_785
.LBB2_418:                              ;   in Loop: Header=BB2_352 Depth=4
	s_or_b64 exec, exec, s[40:41]
	s_and_saveexec_b64 s[40:41], s[28:29]
	s_cbranch_execz .LBB2_420
.LBB2_419:                              ;   in Loop: Header=BB2_352 Depth=4
	v_and_b32_e32 v16, 7, v2
	v_ffbh_u32_e32 v18, v16
	v_min_u32_e32 v26, 32, v18
	v_subrev_u32_e32 v18, 28, v26
	v_lshlrev_b64 v[18:19], v18, v[2:3]
	v_and_b32_e32 v24, 0x7f, v2
	v_bfe_u32 v25, v2, 3, 4
	v_sub_u32_e32 v19, 29, v26
	v_and_b32_e32 v18, 7, v18
	v_cmp_gt_u32_e64 s[28:29], 8, v24
	v_cndmask_b32_e64 v19, v25, v19, s[28:29]
	v_cndmask_b32_e64 v16, v16, v18, s[28:29]
	v_lshlrev_b32_e32 v2, 24, v2
	v_lshlrev_b32_e32 v16, 20, v16
	v_and_b32_e32 v2, 0x80000000, v2
	v_lshl_add_u32 v18, v19, 23, v49
	v_or3_b32 v2, v2, v18, v16
	v_cmp_ne_u32_e64 s[28:29], s71, v24
	v_cndmask_b32_e64 v16, v5, v2, s[28:29]
.LBB2_420:                              ;   in Loop: Header=BB2_352 Depth=4
	s_or_b64 exec, exec, s[40:41]
	v_mul_f32_e32 v16, v6, v16
	v_and_b32_e32 v2, 0x7f800000, v16
	v_cmp_ne_u64_e64 s[28:29], s[62:63], v[2:3]
                                        ; implicit-def: $vgpr34
	s_and_saveexec_b64 s[40:41], s[28:29]
	s_xor_b64 s[34:35], exec, s[40:41]
	s_cbranch_execz .LBB2_434
; %bb.421:                              ;   in Loop: Header=BB2_352 Depth=4
	v_and_b32_e32 v2, 0x7fffffff, v16
	v_cmp_gt_u64_e64 s[28:29], s[72:73], v[2:3]
	v_and_b32_sdwa v6, v16, s70 dst_sel:DWORD dst_unused:UNUSED_PAD src0_sel:BYTE_3 src1_sel:DWORD
                                        ; implicit-def: $vgpr34
	s_and_saveexec_b64 s[40:41], s[28:29]
	s_xor_b64 s[36:37], exec, s[40:41]
	s_cbranch_execz .LBB2_431
; %bb.422:                              ;   in Loop: Header=BB2_352 Depth=4
	v_mov_b32_e32 v34, 0
	v_cmp_ne_u32_e64 s[28:29], 0, v16
	s_and_saveexec_b64 s[38:39], s[28:29]
	s_cbranch_execz .LBB2_430
; %bb.423:                              ;   in Loop: Header=BB2_352 Depth=4
	v_and_b32_e32 v2, 0x7fffff, v16
	v_bfe_u32 v16, v16, 23, 8
	v_cmp_gt_u32_e64 s[40:41], s80, v16
	v_sub_u32_e32 v18, 0x79, v16
	v_cmp_eq_u32_e64 s[28:29], 0, v16
	v_cndmask_b32_e64 v18, 0, v18, s[40:41]
	v_or_b32_e32 v19, 0x800000, v2
	v_cndmask_b32_e64 v18, v18, v1, s[28:29]
	v_cndmask_b32_e64 v2, v19, v2, s[28:29]
	v_add_u32_e32 v19, 20, v18
	v_lshlrev_b64 v[24:25], v19, -1
	v_add_u32_e32 v19, 19, v18
	v_lshlrev_b64 v[40:41], v19, 1
	v_lshrrev_b64 v[59:60], v18, v[2:3]
	v_bfi_b32 v25, v25, 0, 0
	v_bfi_b32 v24, v24, 0, v2
	v_cmp_eq_u64_e64 s[40:41], v[24:25], v[40:41]
	v_mov_b32_e32 v61, v60
	v_mov_b32_e32 v60, v59
	s_and_saveexec_b64 s[48:49], s[40:41]
; %bb.424:                              ;   in Loop: Header=BB2_352 Depth=4
	v_bfe_u32 v2, v59, 20, 1
	v_add_co_u32_e64 v2, s[40:41], v59, v2
	v_add_co_u32_e64 v60, s[40:41], -1, v2
; %bb.425:                              ;   in Loop: Header=BB2_352 Depth=4
	s_or_b64 exec, exec, s[48:49]
	v_add_u32_e32 v2, 0xffffff81, v16
	v_cndmask_b32_e64 v2, v2, v0, s[28:29]
	v_lshrrev_b32_e32 v16, 23, v59
	v_add3_u32 v19, v18, v2, v16
	v_add_u32_e32 v18, 6, v19
	v_and_b32_e32 v2, 0xfffff, v60
	v_add_u32_e32 v2, v2, v59
	v_cmp_ne_u32_e64 s[28:29], 0, v18
                                        ; implicit-def: $vgpr59_vgpr60
                                        ; implicit-def: $vgpr16
	s_and_saveexec_b64 s[40:41], s[28:29]
	s_xor_b64 s[40:41], exec, s[40:41]
; %bb.426:                              ;   in Loop: Header=BB2_352 Depth=4
	v_cmp_lt_u64_e64 s[28:29], s[88:89], v[2:3]
	v_add_u32_e32 v16, 7, v19
	v_cndmask_b32_e64 v16, v18, v16, s[28:29]
	v_cndmask_b32_e64 v18, 0, 1, s[28:29]
	v_lshrrev_b64 v[59:60], v18, v[2:3]
; %bb.427:                              ;   in Loop: Header=BB2_352 Depth=4
	s_andn2_saveexec_b64 s[28:29], s[40:41]
; %bb.428:                              ;   in Loop: Header=BB2_352 Depth=4
	v_mov_b32_e32 v60, v3
	v_bfe_u32 v16, v2, 23, 1
	v_mov_b32_e32 v59, v2
; %bb.429:                              ;   in Loop: Header=BB2_352 Depth=4
	s_or_b64 exec, exec, s[28:29]
	v_lshrrev_b64 v[18:19], 20, v[59:60]
	v_cmp_gt_i32_e64 s[28:29], 16, v16
	v_cndmask_b32_e64 v19, 0, v19, s[28:29]
	v_cndmask_b32_e64 v18, 7, v18, s[28:29]
	v_min_i32_e32 v2, 15, v16
	v_cmp_eq_u64_e64 s[40:41], 0, v[18:19]
	v_lshlrev_b32_e32 v2, 3, v2
	v_cmp_eq_u32_e64 s[28:29], 0, v16
	v_and_b32_e32 v2, 0xf8, v2
	v_and_or_b32 v2, v18, 7, v2
	s_and_b64 s[28:29], s[28:29], s[40:41]
	v_cndmask_b32_e64 v2, v2, 0, s[28:29]
	v_or_b32_e32 v34, v2, v6
.LBB2_430:                              ;   in Loop: Header=BB2_352 Depth=4
	s_or_b64 exec, exec, s[38:39]
                                        ; implicit-def: $vgpr6
.LBB2_431:                              ;   in Loop: Header=BB2_352 Depth=4
	s_andn2_saveexec_b64 s[28:29], s[36:37]
; %bb.432:                              ;   in Loop: Header=BB2_352 Depth=4
	v_or_b32_e32 v34, 0x7e, v6
; %bb.433:                              ;   in Loop: Header=BB2_352 Depth=4
	s_or_b64 exec, exec, s[28:29]
                                        ; implicit-def: $vgpr16
.LBB2_434:                              ;   in Loop: Header=BB2_352 Depth=4
	s_andn2_saveexec_b64 s[28:29], s[34:35]
; %bb.435:                              ;   in Loop: Header=BB2_352 Depth=4
	v_or_b32_sdwa v34, v16, s71 dst_sel:DWORD dst_unused:UNUSED_PAD src0_sel:BYTE_3 src1_sel:DWORD
; %bb.436:                              ;   in Loop: Header=BB2_352 Depth=4
	s_or_b64 exec, exec, s[28:29]
	v_cmp_lt_u32_e64 s[28:29], s57, v12
	v_mov_b32_e32 v6, 0
	s_and_saveexec_b64 s[40:41], s[28:29]
	s_cbranch_execz .LBB2_442
; %bb.437:                              ;   in Loop: Header=BB2_352 Depth=4
	v_lshrrev_b32_e32 v2, 24, v12
	v_cmp_ne_u32_e64 s[28:29], s70, v2
	v_bfrev_b32_e32 v6, 1
	s_and_saveexec_b64 s[34:35], s[28:29]
	s_cbranch_execz .LBB2_441
; %bb.438:                              ;   in Loop: Header=BB2_352 Depth=4
	v_bfe_u32 v16, v12, 24, 7
	v_cmp_ne_u32_e64 s[28:29], s71, v16
	v_mov_b32_e32 v6, 0x7f800001
	s_and_saveexec_b64 s[36:37], s[28:29]
	s_cbranch_execz .LBB2_440
; %bb.439:                              ;   in Loop: Header=BB2_352 Depth=4
	v_and_b32_e32 v6, 7, v2
	v_lshrrev_b32_e32 v24, 3, v16
	v_cmp_gt_u32_e64 s[28:29], 8, v16
	v_ffbh_u32_e32 v16, v6
	v_min_u32_e32 v16, 32, v16
	v_subrev_u32_e32 v18, 28, v16
	v_lshlrev_b64 v[18:19], v18, v[2:3]
	v_sub_u32_e32 v16, 29, v16
	v_and_b32_e32 v18, 7, v18
	v_cndmask_b32_e64 v16, v24, v16, s[28:29]
	v_cndmask_b32_e64 v6, v6, v18, s[28:29]
	v_lshlrev_b32_e32 v2, 24, v2
	v_lshlrev_b32_e32 v6, 20, v6
	v_and_b32_e32 v2, 0x80000000, v2
	v_lshl_add_u32 v16, v16, 23, v49
	v_or3_b32 v6, v2, v16, v6
.LBB2_440:                              ;   in Loop: Header=BB2_352 Depth=4
	s_or_b64 exec, exec, s[36:37]
.LBB2_441:                              ;   in Loop: Header=BB2_352 Depth=4
	s_or_b64 exec, exec, s[34:35]
.LBB2_442:                              ;   in Loop: Header=BB2_352 Depth=4
	s_or_b64 exec, exec, s[40:41]
	v_bfe_u32 v16, v8, 24, 3
	v_ffbh_u32_e32 v18, v16
	v_min_u32_e32 v26, 32, v18
	v_lshrrev_b32_e32 v2, 24, v8
	v_subrev_u32_e32 v18, 28, v26
	v_lshlrev_b64 v[18:19], v18, v[2:3]
	v_bfe_u32 v24, v8, 24, 7
	v_bfe_u32 v25, v2, 3, 4
	v_sub_u32_e32 v19, 29, v26
	v_and_b32_e32 v18, 7, v18
	v_cmp_gt_u32_e64 s[28:29], 8, v24
	v_cndmask_b32_e64 v19, v25, v19, s[28:29]
	v_cndmask_b32_e64 v16, v16, v18, s[28:29]
	v_lshlrev_b32_e32 v16, 20, v16
	v_and_b32_e32 v18, 0x80000000, v8
	v_lshl_add_u32 v19, v19, 23, v49
	v_or3_b32 v16, v18, v19, v16
	v_cmp_ne_u32_e64 s[28:29], s71, v24
	v_cndmask_b32_e64 v16, v5, v16, s[28:29]
	v_cmp_ne_u32_e64 s[28:29], s70, v2
	v_cndmask_b32_e64 v2, v35, v16, s[28:29]
	v_cmp_lt_u32_e64 s[28:29], s57, v8
	v_cndmask_b32_e64 v2, 0, v2, s[28:29]
	v_mul_f32_e32 v16, v2, v6
	v_and_b32_e32 v2, 0x7f800000, v16
	v_cmp_ne_u64_e64 s[28:29], s[62:63], v[2:3]
                                        ; implicit-def: $vgpr52
	s_and_saveexec_b64 s[40:41], s[28:29]
	s_xor_b64 s[34:35], exec, s[40:41]
	s_cbranch_execz .LBB2_456
; %bb.443:                              ;   in Loop: Header=BB2_352 Depth=4
	v_and_b32_e32 v2, 0x7fffffff, v16
	v_cmp_gt_u64_e64 s[28:29], s[72:73], v[2:3]
	v_and_b32_sdwa v6, v16, s70 dst_sel:DWORD dst_unused:UNUSED_PAD src0_sel:BYTE_3 src1_sel:DWORD
                                        ; implicit-def: $vgpr52
	s_and_saveexec_b64 s[40:41], s[28:29]
	s_xor_b64 s[36:37], exec, s[40:41]
	s_cbranch_execz .LBB2_453
; %bb.444:                              ;   in Loop: Header=BB2_352 Depth=4
	v_mov_b32_e32 v52, 0
	v_cmp_ne_u32_e64 s[28:29], 0, v16
	s_and_saveexec_b64 s[38:39], s[28:29]
	s_cbranch_execz .LBB2_452
; %bb.445:                              ;   in Loop: Header=BB2_352 Depth=4
	v_and_b32_e32 v2, 0x7fffff, v16
	v_bfe_u32 v16, v16, 23, 8
	v_cmp_gt_u32_e64 s[40:41], s80, v16
	v_sub_u32_e32 v18, 0x79, v16
	v_cmp_eq_u32_e64 s[28:29], 0, v16
	v_cndmask_b32_e64 v18, 0, v18, s[40:41]
	v_or_b32_e32 v19, 0x800000, v2
	v_cndmask_b32_e64 v18, v18, v1, s[28:29]
	v_cndmask_b32_e64 v2, v19, v2, s[28:29]
	v_add_u32_e32 v19, 20, v18
	v_lshlrev_b64 v[24:25], v19, -1
	v_add_u32_e32 v19, 19, v18
	v_lshlrev_b64 v[40:41], v19, 1
	v_lshrrev_b64 v[59:60], v18, v[2:3]
	v_bfi_b32 v25, v25, 0, 0
	v_bfi_b32 v24, v24, 0, v2
	v_cmp_eq_u64_e64 s[40:41], v[24:25], v[40:41]
	v_mov_b32_e32 v61, v60
	v_mov_b32_e32 v60, v59
	s_and_saveexec_b64 s[48:49], s[40:41]
; %bb.446:                              ;   in Loop: Header=BB2_352 Depth=4
	v_bfe_u32 v2, v59, 20, 1
	v_add_co_u32_e64 v2, s[40:41], v59, v2
	v_add_co_u32_e64 v60, s[40:41], -1, v2
; %bb.447:                              ;   in Loop: Header=BB2_352 Depth=4
	s_or_b64 exec, exec, s[48:49]
	v_add_u32_e32 v2, 0xffffff81, v16
	v_cndmask_b32_e64 v2, v2, v0, s[28:29]
	v_lshrrev_b32_e32 v16, 23, v59
	v_add3_u32 v19, v18, v2, v16
	v_add_u32_e32 v18, 6, v19
	v_and_b32_e32 v2, 0xfffff, v60
	v_add_u32_e32 v2, v2, v59
	v_cmp_ne_u32_e64 s[28:29], 0, v18
                                        ; implicit-def: $vgpr59_vgpr60
                                        ; implicit-def: $vgpr16
	s_and_saveexec_b64 s[40:41], s[28:29]
	s_xor_b64 s[40:41], exec, s[40:41]
; %bb.448:                              ;   in Loop: Header=BB2_352 Depth=4
	v_cmp_lt_u64_e64 s[28:29], s[88:89], v[2:3]
	v_add_u32_e32 v16, 7, v19
	v_cndmask_b32_e64 v16, v18, v16, s[28:29]
	v_cndmask_b32_e64 v18, 0, 1, s[28:29]
	v_lshrrev_b64 v[59:60], v18, v[2:3]
; %bb.449:                              ;   in Loop: Header=BB2_352 Depth=4
	s_andn2_saveexec_b64 s[28:29], s[40:41]
; %bb.450:                              ;   in Loop: Header=BB2_352 Depth=4
	v_mov_b32_e32 v60, v3
	v_bfe_u32 v16, v2, 23, 1
	v_mov_b32_e32 v59, v2
; %bb.451:                              ;   in Loop: Header=BB2_352 Depth=4
	s_or_b64 exec, exec, s[28:29]
	v_lshrrev_b64 v[18:19], 20, v[59:60]
	v_cmp_gt_i32_e64 s[28:29], 16, v16
	v_cndmask_b32_e64 v19, 0, v19, s[28:29]
	v_cndmask_b32_e64 v18, 7, v18, s[28:29]
	v_min_i32_e32 v2, 15, v16
	v_cmp_eq_u64_e64 s[40:41], 0, v[18:19]
	v_lshlrev_b32_e32 v2, 3, v2
	v_cmp_eq_u32_e64 s[28:29], 0, v16
	v_and_b32_e32 v2, 0xf8, v2
	v_and_or_b32 v2, v18, 7, v2
	s_and_b64 s[28:29], s[28:29], s[40:41]
	v_cndmask_b32_e64 v2, v2, 0, s[28:29]
	v_or_b32_e32 v52, v2, v6
.LBB2_452:                              ;   in Loop: Header=BB2_352 Depth=4
	s_or_b64 exec, exec, s[38:39]
                                        ; implicit-def: $vgpr6
.LBB2_453:                              ;   in Loop: Header=BB2_352 Depth=4
	s_andn2_saveexec_b64 s[28:29], s[36:37]
; %bb.454:                              ;   in Loop: Header=BB2_352 Depth=4
	v_or_b32_e32 v52, 0x7e, v6
; %bb.455:                              ;   in Loop: Header=BB2_352 Depth=4
	s_or_b64 exec, exec, s[28:29]
                                        ; implicit-def: $vgpr16
.LBB2_456:                              ;   in Loop: Header=BB2_352 Depth=4
	s_andn2_saveexec_b64 s[28:29], s[34:35]
; %bb.457:                              ;   in Loop: Header=BB2_352 Depth=4
	v_or_b32_sdwa v52, v16, s71 dst_sel:DWORD dst_unused:UNUSED_PAD src0_sel:BYTE_3 src1_sel:DWORD
; %bb.458:                              ;   in Loop: Header=BB2_352 Depth=4
	s_or_b64 exec, exec, s[28:29]
	v_mov_b32_e32 v2, v13
	v_cmp_ne_u16_sdwa s[28:29], v13, v3 src0_sel:BYTE_0 src1_sel:DWORD
	v_mov_b32_e32 v6, 0
	s_and_saveexec_b64 s[40:41], s[28:29]
	s_cbranch_execz .LBB2_464
; %bb.459:                              ;   in Loop: Header=BB2_352 Depth=4
	v_cmp_ne_u16_sdwa s[28:29], v13, s70 src0_sel:BYTE_0 src1_sel:DWORD
	v_bfrev_b32_e32 v6, 1
	s_and_saveexec_b64 s[34:35], s[28:29]
	s_cbranch_execz .LBB2_463
; %bb.460:                              ;   in Loop: Header=BB2_352 Depth=4
	v_and_b32_e32 v16, 0x7f, v13
	v_cmp_ne_u32_e64 s[28:29], s71, v16
	v_mov_b32_e32 v6, 0x7f800001
	s_and_saveexec_b64 s[36:37], s[28:29]
	s_cbranch_execz .LBB2_462
; %bb.461:                              ;   in Loop: Header=BB2_352 Depth=4
	v_and_b32_e32 v6, 7, v13
	v_ffbh_u32_e32 v6, v6
	v_min_u32_e32 v6, 32, v6
	v_lshrrev_b32_e32 v18, 3, v16
	v_cmp_gt_u32_e64 s[28:29], 8, v16
	v_subrev_u32_e32 v16, 28, v6
	v_sub_u32_e32 v6, 29, v6
	v_cndmask_b32_e64 v16, 0, v16, s[28:29]
	v_cndmask_b32_e64 v6, v18, v6, s[28:29]
	v_lshlrev_b64 v[18:19], v16, v[2:3]
	v_lshl_add_u32 v6, v6, 23, v49
	v_lshlrev_b32_e32 v16, 20, v18
	v_lshlrev_b32_e32 v18, 24, v2
	v_and_b32_e32 v16, 0x700000, v16
	v_and_b32_e32 v18, 0x80000000, v18
	v_or3_b32 v6, v18, v6, v16
.LBB2_462:                              ;   in Loop: Header=BB2_352 Depth=4
	s_or_b64 exec, exec, s[36:37]
.LBB2_463:                              ;   in Loop: Header=BB2_352 Depth=4
	s_or_b64 exec, exec, s[34:35]
.LBB2_464:                              ;   in Loop: Header=BB2_352 Depth=4
	s_or_b64 exec, exec, s[40:41]
	v_cmp_gt_i16_sdwa s[40:41], v9, s71 src0_sel:BYTE_0 src1_sel:DWORD
	s_mov_b64 s[28:29], 0
	s_and_saveexec_b64 s[44:45], s[40:41]
	s_xor_b64 s[40:41], exec, s[44:45]
	s_cbranch_execz .LBB2_468
; %bb.465:                              ;   in Loop: Header=BB2_352 Depth=4
	v_cmp_eq_u16_sdwa s[44:45], v9, s70 src0_sel:BYTE_0 src1_sel:DWORD
	s_mov_b64 s[28:29], -1
	s_and_saveexec_b64 s[34:35], s[44:45]
; %bb.466:                              ;   in Loop: Header=BB2_352 Depth=4
	s_xor_b64 s[28:29], exec, -1
; %bb.467:                              ;   in Loop: Header=BB2_352 Depth=4
	s_or_b64 exec, exec, s[34:35]
	s_and_b64 s[28:29], s[28:29], exec
.LBB2_468:                              ;   in Loop: Header=BB2_352 Depth=4
	s_or_saveexec_b64 s[40:41], s[40:41]
	v_bfrev_b32_e32 v16, 1
	s_xor_b64 exec, exec, s[40:41]
; %bb.469:                              ;   in Loop: Header=BB2_352 Depth=4
	v_cmp_ne_u16_sdwa s[44:45], v9, v3 src0_sel:BYTE_0 src1_sel:DWORD
	s_andn2_b64 s[28:29], s[28:29], exec
	s_and_b64 s[44:45], s[44:45], exec
	v_mov_b32_e32 v16, 0
	s_or_b64 s[28:29], s[28:29], s[44:45]
; %bb.470:                              ;   in Loop: Header=BB2_352 Depth=4
	s_or_b64 exec, exec, s[40:41]
	v_mov_b32_e32 v59, v9
	v_mov_b32_e32 v60, v3
	s_and_saveexec_b64 s[40:41], s[28:29]
	s_cbranch_execz .LBB2_472
; %bb.471:                              ;   in Loop: Header=BB2_352 Depth=4
	v_and_b32_e32 v16, 7, v9
	v_ffbh_u32_e32 v16, v16
	v_and_b32_e32 v24, 0x7f, v9
	v_min_u32_e32 v16, 32, v16
	v_bfe_u32 v18, v9, 3, 4
	v_subrev_u32_e32 v19, 28, v16
	v_sub_u32_e32 v16, 29, v16
	v_cmp_gt_u32_e64 s[28:29], 8, v24
	v_cndmask_b32_e64 v16, v18, v16, s[28:29]
	v_cndmask_b32_e64 v18, 0, v19, s[28:29]
	v_lshlrev_b64 v[18:19], v18, v[59:60]
	v_lshlrev_b32_e32 v19, 24, v59
	v_lshlrev_b32_e32 v18, 20, v18
	v_and_b32_e32 v18, 0x700000, v18
	v_and_b32_e32 v19, 0x80000000, v19
	v_lshl_add_u32 v16, v16, 23, v49
	v_or3_b32 v16, v19, v16, v18
	v_cmp_ne_u32_e64 s[28:29], s71, v24
	v_cndmask_b32_e64 v16, v5, v16, s[28:29]
.LBB2_472:                              ;   in Loop: Header=BB2_352 Depth=4
	s_or_b64 exec, exec, s[40:41]
	v_mul_f32_e32 v16, v6, v16
	v_and_b32_e32 v18, 0x7f800000, v16
	v_mov_b32_e32 v19, v3
	v_cmp_ne_u64_e64 s[28:29], s[62:63], v[18:19]
                                        ; implicit-def: $vgpr61
	s_and_saveexec_b64 s[40:41], s[28:29]
	s_xor_b64 s[34:35], exec, s[40:41]
	s_cbranch_execz .LBB2_486
; %bb.473:                              ;   in Loop: Header=BB2_352 Depth=4
	v_and_b32_e32 v18, 0x7fffffff, v16
	v_mov_b32_e32 v19, v3
	v_cmp_gt_u64_e64 s[28:29], s[72:73], v[18:19]
	v_and_b32_sdwa v6, v16, s70 dst_sel:DWORD dst_unused:UNUSED_PAD src0_sel:BYTE_3 src1_sel:DWORD
                                        ; implicit-def: $vgpr61
	s_and_saveexec_b64 s[40:41], s[28:29]
	s_xor_b64 s[36:37], exec, s[40:41]
	s_cbranch_execz .LBB2_483
; %bb.474:                              ;   in Loop: Header=BB2_352 Depth=4
	v_mov_b32_e32 v61, 0
	v_cmp_ne_u32_e64 s[28:29], 0, v16
	s_and_saveexec_b64 s[38:39], s[28:29]
	s_cbranch_execz .LBB2_482
; %bb.475:                              ;   in Loop: Header=BB2_352 Depth=4
	v_and_b32_e32 v18, 0x7fffff, v16
	v_bfe_u32 v16, v16, 23, 8
	v_cmp_gt_u32_e64 s[40:41], s80, v16
	v_sub_u32_e32 v19, 0x79, v16
	v_cmp_eq_u32_e64 s[28:29], 0, v16
	v_cndmask_b32_e64 v19, 0, v19, s[40:41]
	v_or_b32_e32 v25, 0x800000, v18
	v_cndmask_b32_e64 v24, v19, v1, s[28:29]
	v_cndmask_b32_e64 v18, v25, v18, s[28:29]
	v_add_u32_e32 v25, 20, v24
	v_lshlrev_b64 v[25:26], v25, -1
	v_add_u32_e32 v30, 19, v24
	v_mov_b32_e32 v19, v3
	v_lshlrev_b64 v[40:41], v30, 1
	v_bfi_b32 v26, v26, 0, 0
	v_bfi_b32 v25, v25, 0, v18
	v_lshrrev_b64 v[60:61], v24, v[18:19]
	v_cmp_eq_u64_e64 s[40:41], v[25:26], v[40:41]
	v_mov_b32_e32 v18, v60
	v_mov_b32_e32 v19, v61
	s_and_saveexec_b64 s[48:49], s[40:41]
; %bb.476:                              ;   in Loop: Header=BB2_352 Depth=4
	v_bfe_u32 v18, v60, 20, 1
	v_add_co_u32_e64 v18, s[40:41], v60, v18
	v_add_co_u32_e64 v18, s[40:41], -1, v18
; %bb.477:                              ;   in Loop: Header=BB2_352 Depth=4
	s_or_b64 exec, exec, s[48:49]
	v_add_u32_e32 v16, 0xffffff81, v16
	v_cndmask_b32_e64 v16, v16, v0, s[28:29]
	v_lshrrev_b32_e32 v19, 23, v60
	v_add3_u32 v24, v24, v16, v19
	v_add_u32_e32 v19, 6, v24
	v_and_b32_e32 v16, 0xfffff, v18
	v_add_u32_e32 v60, v16, v60
	v_mov_b32_e32 v61, v3
	v_cmp_ne_u32_e64 s[28:29], 0, v19
                                        ; implicit-def: $vgpr16
	s_and_saveexec_b64 s[40:41], s[28:29]
	s_xor_b64 s[40:41], exec, s[40:41]
; %bb.478:                              ;   in Loop: Header=BB2_352 Depth=4
	v_cmp_lt_u64_e64 s[28:29], s[88:89], v[60:61]
	v_add_u32_e32 v16, 7, v24
	v_cndmask_b32_e64 v18, 0, 1, s[28:29]
	v_cndmask_b32_e64 v16, v19, v16, s[28:29]
	v_lshrrev_b64 v[60:61], v18, v[60:61]
; %bb.479:                              ;   in Loop: Header=BB2_352 Depth=4
	s_andn2_saveexec_b64 s[28:29], s[40:41]
; %bb.480:                              ;   in Loop: Header=BB2_352 Depth=4
	v_bfe_u32 v16, v60, 23, 1
; %bb.481:                              ;   in Loop: Header=BB2_352 Depth=4
	s_or_b64 exec, exec, s[28:29]
	v_lshrrev_b64 v[18:19], 20, v[60:61]
	v_cmp_gt_i32_e64 s[28:29], 16, v16
	v_cndmask_b32_e64 v19, 0, v19, s[28:29]
	v_cndmask_b32_e64 v18, 7, v18, s[28:29]
	v_cmp_eq_u32_e64 s[28:29], 0, v16
	v_min_i32_e32 v16, 15, v16
	v_cmp_eq_u64_e64 s[40:41], 0, v[18:19]
	v_lshlrev_b32_e32 v16, 3, v16
	v_and_b32_e32 v16, 0xf8, v16
	v_and_or_b32 v16, v18, 7, v16
	s_and_b64 s[28:29], s[28:29], s[40:41]
	v_cndmask_b32_e64 v16, v16, 0, s[28:29]
	v_or_b32_e32 v61, v16, v6
.LBB2_482:                              ;   in Loop: Header=BB2_352 Depth=4
	s_or_b64 exec, exec, s[38:39]
                                        ; implicit-def: $vgpr6
.LBB2_483:                              ;   in Loop: Header=BB2_352 Depth=4
	s_andn2_saveexec_b64 s[28:29], s[36:37]
; %bb.484:                              ;   in Loop: Header=BB2_352 Depth=4
	v_or_b32_e32 v61, 0x7e, v6
; %bb.485:                              ;   in Loop: Header=BB2_352 Depth=4
	s_or_b64 exec, exec, s[28:29]
                                        ; implicit-def: $vgpr16
.LBB2_486:                              ;   in Loop: Header=BB2_352 Depth=4
	s_andn2_saveexec_b64 s[28:29], s[34:35]
; %bb.487:                              ;   in Loop: Header=BB2_352 Depth=4
	v_or_b32_sdwa v61, v16, s71 dst_sel:DWORD dst_unused:UNUSED_PAD src0_sel:BYTE_3 src1_sel:DWORD
; %bb.488:                              ;   in Loop: Header=BB2_352 Depth=4
	s_or_b64 exec, exec, s[28:29]
	v_lshrrev_b16_e32 v30, 8, v2
	v_cmp_ne_u16_e64 s[28:29], 0, v30
	v_mov_b32_e32 v6, 0
	s_and_saveexec_b64 s[40:41], s[28:29]
	s_cbranch_execz .LBB2_494
; %bb.489:                              ;   in Loop: Header=BB2_352 Depth=4
	v_cmp_ne_u16_e64 s[28:29], s70, v30
	v_bfrev_b32_e32 v6, 1
	s_and_saveexec_b64 s[34:35], s[28:29]
	s_cbranch_execz .LBB2_493
; %bb.490:                              ;   in Loop: Header=BB2_352 Depth=4
	v_and_b32_e32 v16, 0x7f, v30
	v_cmp_ne_u32_e64 s[28:29], s71, v16
	v_mov_b32_e32 v6, 0x7f800001
	s_and_saveexec_b64 s[36:37], s[28:29]
	s_cbranch_execz .LBB2_492
; %bb.491:                              ;   in Loop: Header=BB2_352 Depth=4
	v_and_b32_e32 v6, 7, v30
	v_lshrrev_b32_e32 v24, 3, v16
	v_cmp_gt_u32_e64 s[28:29], 8, v16
	v_ffbh_u32_e32 v16, v6
	v_min_u32_e32 v16, 32, v16
	v_subrev_u32_e32 v18, 28, v16
	v_lshlrev_b64 v[18:19], v18, v[30:31]
	v_sub_u32_e32 v16, 29, v16
	v_and_b32_e32 v18, 7, v18
	v_cndmask_b32_e64 v16, v24, v16, s[28:29]
	v_cndmask_b32_e64 v6, v6, v18, s[28:29]
	v_lshlrev_b32_e32 v2, 16, v2
	v_lshlrev_b32_e32 v6, 20, v6
	v_and_b32_e32 v2, 0x80000000, v2
	v_lshl_add_u32 v16, v16, 23, v49
	v_or3_b32 v6, v2, v16, v6
.LBB2_492:                              ;   in Loop: Header=BB2_352 Depth=4
	s_or_b64 exec, exec, s[36:37]
.LBB2_493:                              ;   in Loop: Header=BB2_352 Depth=4
	s_or_b64 exec, exec, s[34:35]
.LBB2_494:                              ;   in Loop: Header=BB2_352 Depth=4
	s_or_b64 exec, exec, s[40:41]
	v_lshrrev_b16_e32 v2, 8, v59
	v_cmp_lt_i16_e64 s[28:29], s71, v2
	s_mov_b64 s[40:41], 0
	s_and_saveexec_b64 s[44:45], s[28:29]
	s_xor_b64 s[34:35], exec, s[44:45]
	s_cbranch_execz .LBB2_786
; %bb.495:                              ;   in Loop: Header=BB2_352 Depth=4
	v_cmp_eq_u16_e64 s[28:29], s70, v2
	s_mov_b64 s[40:41], -1
	s_and_saveexec_b64 s[36:37], s[28:29]
; %bb.496:                              ;   in Loop: Header=BB2_352 Depth=4
	s_xor_b64 s[40:41], exec, -1
; %bb.497:                              ;   in Loop: Header=BB2_352 Depth=4
	s_or_b64 exec, exec, s[36:37]
	s_and_b64 s[40:41], s[40:41], exec
	s_or_saveexec_b64 s[34:35], s[34:35]
	v_bfrev_b32_e32 v16, 1
	s_xor_b64 exec, exec, s[34:35]
	s_cbranch_execnz .LBB2_787
.LBB2_498:                              ;   in Loop: Header=BB2_352 Depth=4
	s_or_b64 exec, exec, s[34:35]
	s_and_saveexec_b64 s[34:35], s[40:41]
	s_cbranch_execz .LBB2_500
.LBB2_499:                              ;   in Loop: Header=BB2_352 Depth=4
	v_and_b32_e32 v16, 7, v2
	v_ffbh_u32_e32 v18, v16
	v_min_u32_e32 v26, 32, v18
	v_subrev_u32_e32 v18, 28, v26
	v_lshlrev_b64 v[18:19], v18, v[2:3]
	v_and_b32_e32 v24, 0x7f, v2
	v_bfe_u32 v25, v2, 3, 4
	v_sub_u32_e32 v19, 29, v26
	v_and_b32_e32 v18, 7, v18
	v_cmp_gt_u32_e64 s[28:29], 8, v24
	v_cndmask_b32_e64 v19, v25, v19, s[28:29]
	v_cndmask_b32_e64 v16, v16, v18, s[28:29]
	v_lshlrev_b32_e32 v2, 24, v2
	v_lshlrev_b32_e32 v16, 20, v16
	v_and_b32_e32 v2, 0x80000000, v2
	v_lshl_add_u32 v18, v19, 23, v49
	v_or3_b32 v2, v2, v18, v16
	v_cmp_ne_u32_e64 s[28:29], s71, v24
	v_cndmask_b32_e64 v16, v5, v2, s[28:29]
.LBB2_500:                              ;   in Loop: Header=BB2_352 Depth=4
	s_or_b64 exec, exec, s[34:35]
	v_mul_f32_e32 v16, v6, v16
	v_and_b32_e32 v2, 0x7f800000, v16
	v_cmp_ne_u64_e64 s[28:29], s[62:63], v[2:3]
                                        ; implicit-def: $vgpr30
	s_and_saveexec_b64 s[40:41], s[28:29]
	s_xor_b64 s[34:35], exec, s[40:41]
	s_cbranch_execz .LBB2_514
; %bb.501:                              ;   in Loop: Header=BB2_352 Depth=4
	v_and_b32_e32 v2, 0x7fffffff, v16
	v_cmp_gt_u64_e64 s[28:29], s[72:73], v[2:3]
	v_and_b32_sdwa v6, v16, s70 dst_sel:DWORD dst_unused:UNUSED_PAD src0_sel:BYTE_3 src1_sel:DWORD
                                        ; implicit-def: $vgpr30
	s_and_saveexec_b64 s[40:41], s[28:29]
	s_xor_b64 s[36:37], exec, s[40:41]
	s_cbranch_execz .LBB2_511
; %bb.502:                              ;   in Loop: Header=BB2_352 Depth=4
	v_mov_b32_e32 v30, 0
	v_cmp_ne_u32_e64 s[28:29], 0, v16
	s_and_saveexec_b64 s[38:39], s[28:29]
	s_cbranch_execz .LBB2_510
; %bb.503:                              ;   in Loop: Header=BB2_352 Depth=4
	v_and_b32_e32 v2, 0x7fffff, v16
	v_bfe_u32 v16, v16, 23, 8
	v_cmp_gt_u32_e64 s[40:41], s80, v16
	v_sub_u32_e32 v18, 0x79, v16
	v_cmp_eq_u32_e64 s[28:29], 0, v16
	v_cndmask_b32_e64 v18, 0, v18, s[40:41]
	v_cndmask_b32_e64 v24, v18, v1, s[28:29]
	v_or_b32_e32 v19, 0x800000, v2
	v_add_u32_e32 v18, 20, v24
	v_cndmask_b32_e64 v2, v19, v2, s[28:29]
	v_lshlrev_b64 v[18:19], v18, -1
	v_add_u32_e32 v25, 19, v24
	v_lshlrev_b64 v[25:26], v25, 1
	v_bfi_b32 v19, v19, 0, 0
	v_bfi_b32 v18, v18, 0, v2
	v_lshrrev_b64 v[59:60], v24, v[2:3]
	v_cmp_eq_u64_e64 s[40:41], v[18:19], v[25:26]
	v_mov_b32_e32 v18, v59
	v_mov_b32_e32 v19, v60
	s_and_saveexec_b64 s[48:49], s[40:41]
; %bb.504:                              ;   in Loop: Header=BB2_352 Depth=4
	v_bfe_u32 v2, v59, 20, 1
	v_add_co_u32_e64 v2, s[40:41], v59, v2
	v_add_co_u32_e64 v18, s[40:41], -1, v2
; %bb.505:                              ;   in Loop: Header=BB2_352 Depth=4
	s_or_b64 exec, exec, s[48:49]
	v_add_u32_e32 v2, 0xffffff81, v16
	v_cndmask_b32_e64 v2, v2, v0, s[28:29]
	v_lshrrev_b32_e32 v16, 23, v59
	v_add3_u32 v24, v24, v2, v16
	v_add_u32_e32 v19, 6, v24
	v_and_b32_e32 v2, 0xfffff, v18
	v_add_u32_e32 v2, v2, v59
	v_cmp_ne_u32_e64 s[28:29], 0, v19
                                        ; implicit-def: $vgpr59_vgpr60
                                        ; implicit-def: $vgpr16
	s_and_saveexec_b64 s[40:41], s[28:29]
	s_xor_b64 s[40:41], exec, s[40:41]
; %bb.506:                              ;   in Loop: Header=BB2_352 Depth=4
	v_cmp_lt_u64_e64 s[28:29], s[88:89], v[2:3]
	v_add_u32_e32 v16, 7, v24
	v_cndmask_b32_e64 v18, 0, 1, s[28:29]
	v_cndmask_b32_e64 v16, v19, v16, s[28:29]
	v_lshrrev_b64 v[59:60], v18, v[2:3]
; %bb.507:                              ;   in Loop: Header=BB2_352 Depth=4
	s_andn2_saveexec_b64 s[28:29], s[40:41]
; %bb.508:                              ;   in Loop: Header=BB2_352 Depth=4
	v_mov_b32_e32 v60, v3
	v_bfe_u32 v16, v2, 23, 1
	v_mov_b32_e32 v59, v2
; %bb.509:                              ;   in Loop: Header=BB2_352 Depth=4
	s_or_b64 exec, exec, s[28:29]
	v_lshrrev_b64 v[18:19], 20, v[59:60]
	v_cmp_gt_i32_e64 s[28:29], 16, v16
	v_cndmask_b32_e64 v19, 0, v19, s[28:29]
	v_cndmask_b32_e64 v18, 7, v18, s[28:29]
	v_min_i32_e32 v2, 15, v16
	v_cmp_eq_u64_e64 s[40:41], 0, v[18:19]
	v_lshlrev_b32_e32 v2, 3, v2
	v_cmp_eq_u32_e64 s[28:29], 0, v16
	v_and_b32_e32 v2, 0xf8, v2
	v_and_or_b32 v2, v18, 7, v2
	s_and_b64 s[28:29], s[28:29], s[40:41]
	v_cndmask_b32_e64 v2, v2, 0, s[28:29]
	v_or_b32_e32 v30, v2, v6
.LBB2_510:                              ;   in Loop: Header=BB2_352 Depth=4
	s_or_b64 exec, exec, s[38:39]
                                        ; implicit-def: $vgpr6
.LBB2_511:                              ;   in Loop: Header=BB2_352 Depth=4
	s_andn2_saveexec_b64 s[28:29], s[36:37]
; %bb.512:                              ;   in Loop: Header=BB2_352 Depth=4
	v_or_b32_e32 v30, 0x7e, v6
; %bb.513:                              ;   in Loop: Header=BB2_352 Depth=4
	s_or_b64 exec, exec, s[28:29]
                                        ; implicit-def: $vgpr16
.LBB2_514:                              ;   in Loop: Header=BB2_352 Depth=4
	s_andn2_saveexec_b64 s[28:29], s[34:35]
; %bb.515:                              ;   in Loop: Header=BB2_352 Depth=4
	v_or_b32_sdwa v30, v16, s71 dst_sel:DWORD dst_unused:UNUSED_PAD src0_sel:BYTE_3 src1_sel:DWORD
; %bb.516:                              ;   in Loop: Header=BB2_352 Depth=4
	s_or_b64 exec, exec, s[28:29]
	v_lshrrev_b32_e32 v2, 16, v13
	v_cmp_ne_u16_sdwa s[28:29], v2, v3 src0_sel:BYTE_0 src1_sel:DWORD
	v_mov_b32_e32 v6, 0
	s_and_saveexec_b64 s[40:41], s[28:29]
	s_cbranch_execz .LBB2_522
; %bb.517:                              ;   in Loop: Header=BB2_352 Depth=4
	v_cmp_ne_u16_sdwa s[28:29], v2, s70 src0_sel:BYTE_0 src1_sel:DWORD
	v_bfrev_b32_e32 v6, 1
	s_and_saveexec_b64 s[34:35], s[28:29]
	s_cbranch_execz .LBB2_521
; %bb.518:                              ;   in Loop: Header=BB2_352 Depth=4
	v_bfe_u32 v16, v13, 16, 7
	v_cmp_ne_u32_e64 s[28:29], s71, v16
	v_mov_b32_e32 v6, 0x7f800001
	s_and_saveexec_b64 s[36:37], s[28:29]
	s_cbranch_execz .LBB2_520
; %bb.519:                              ;   in Loop: Header=BB2_352 Depth=4
	v_and_b32_e32 v6, 7, v2
	v_lshrrev_b32_e32 v24, 3, v16
	v_cmp_gt_u32_e64 s[28:29], 8, v16
	v_ffbh_u32_e32 v16, v6
	v_min_u32_e32 v16, 32, v16
	v_subrev_u32_e32 v18, 28, v16
	v_lshlrev_b64 v[18:19], v18, v[2:3]
	v_sub_u32_e32 v16, 29, v16
	v_and_b32_e32 v18, 7, v18
	v_cndmask_b32_e64 v16, v24, v16, s[28:29]
	v_cndmask_b32_e64 v6, v6, v18, s[28:29]
	v_lshlrev_b32_e32 v2, 24, v2
	v_lshlrev_b32_e32 v6, 20, v6
	v_and_b32_e32 v2, 0x80000000, v2
	v_lshl_add_u32 v16, v16, 23, v49
	v_or3_b32 v6, v2, v16, v6
.LBB2_520:                              ;   in Loop: Header=BB2_352 Depth=4
	s_or_b64 exec, exec, s[36:37]
.LBB2_521:                              ;   in Loop: Header=BB2_352 Depth=4
	s_or_b64 exec, exec, s[34:35]
.LBB2_522:                              ;   in Loop: Header=BB2_352 Depth=4
	s_or_b64 exec, exec, s[40:41]
	v_lshrrev_b32_e32 v2, 16, v9
	v_cmp_gt_i16_sdwa s[40:41], v2, s71 src0_sel:BYTE_0 src1_sel:DWORD
	s_mov_b64 s[28:29], 0
	s_and_saveexec_b64 s[44:45], s[40:41]
	s_xor_b64 s[40:41], exec, s[44:45]
	s_cbranch_execz .LBB2_788
; %bb.523:                              ;   in Loop: Header=BB2_352 Depth=4
	v_cmp_eq_u16_sdwa s[44:45], v2, s70 src0_sel:BYTE_0 src1_sel:DWORD
	s_mov_b64 s[28:29], -1
	s_and_saveexec_b64 s[34:35], s[44:45]
; %bb.524:                              ;   in Loop: Header=BB2_352 Depth=4
	s_xor_b64 s[28:29], exec, -1
; %bb.525:                              ;   in Loop: Header=BB2_352 Depth=4
	s_or_b64 exec, exec, s[34:35]
	s_and_b64 s[28:29], s[28:29], exec
	s_or_saveexec_b64 s[40:41], s[40:41]
	v_bfrev_b32_e32 v16, 1
	s_xor_b64 exec, exec, s[40:41]
	s_cbranch_execnz .LBB2_789
.LBB2_526:                              ;   in Loop: Header=BB2_352 Depth=4
	s_or_b64 exec, exec, s[40:41]
	s_and_saveexec_b64 s[40:41], s[28:29]
	s_cbranch_execz .LBB2_528
.LBB2_527:                              ;   in Loop: Header=BB2_352 Depth=4
	v_and_b32_e32 v16, 7, v2
	v_ffbh_u32_e32 v18, v16
	v_min_u32_e32 v26, 32, v18
	v_subrev_u32_e32 v18, 28, v26
	v_lshlrev_b64 v[18:19], v18, v[2:3]
	v_and_b32_e32 v24, 0x7f, v2
	v_bfe_u32 v25, v2, 3, 4
	v_sub_u32_e32 v19, 29, v26
	v_and_b32_e32 v18, 7, v18
	v_cmp_gt_u32_e64 s[28:29], 8, v24
	v_cndmask_b32_e64 v19, v25, v19, s[28:29]
	v_cndmask_b32_e64 v16, v16, v18, s[28:29]
	v_lshlrev_b32_e32 v2, 24, v2
	v_lshlrev_b32_e32 v16, 20, v16
	v_and_b32_e32 v2, 0x80000000, v2
	v_lshl_add_u32 v18, v19, 23, v49
	v_or3_b32 v2, v2, v18, v16
	v_cmp_ne_u32_e64 s[28:29], s71, v24
	v_cndmask_b32_e64 v16, v5, v2, s[28:29]
.LBB2_528:                              ;   in Loop: Header=BB2_352 Depth=4
	s_or_b64 exec, exec, s[40:41]
	v_mul_f32_e32 v16, v6, v16
	v_and_b32_e32 v2, 0x7f800000, v16
	v_cmp_ne_u64_e64 s[28:29], s[62:63], v[2:3]
                                        ; implicit-def: $vgpr59
	s_and_saveexec_b64 s[40:41], s[28:29]
	s_xor_b64 s[34:35], exec, s[40:41]
	s_cbranch_execz .LBB2_542
; %bb.529:                              ;   in Loop: Header=BB2_352 Depth=4
	v_and_b32_e32 v2, 0x7fffffff, v16
	v_cmp_gt_u64_e64 s[28:29], s[72:73], v[2:3]
	v_and_b32_sdwa v6, v16, s70 dst_sel:DWORD dst_unused:UNUSED_PAD src0_sel:BYTE_3 src1_sel:DWORD
                                        ; implicit-def: $vgpr59
	s_and_saveexec_b64 s[40:41], s[28:29]
	s_xor_b64 s[36:37], exec, s[40:41]
	s_cbranch_execz .LBB2_539
; %bb.530:                              ;   in Loop: Header=BB2_352 Depth=4
	v_mov_b32_e32 v59, 0
	v_cmp_ne_u32_e64 s[28:29], 0, v16
	s_and_saveexec_b64 s[38:39], s[28:29]
	s_cbranch_execz .LBB2_538
; %bb.531:                              ;   in Loop: Header=BB2_352 Depth=4
	v_and_b32_e32 v2, 0x7fffff, v16
	v_bfe_u32 v16, v16, 23, 8
	v_cmp_gt_u32_e64 s[40:41], s80, v16
	v_sub_u32_e32 v18, 0x79, v16
	v_cmp_eq_u32_e64 s[28:29], 0, v16
	v_cndmask_b32_e64 v18, 0, v18, s[40:41]
	v_cndmask_b32_e64 v24, v18, v1, s[28:29]
	v_or_b32_e32 v19, 0x800000, v2
	v_add_u32_e32 v18, 20, v24
	v_cndmask_b32_e64 v2, v19, v2, s[28:29]
	v_lshlrev_b64 v[18:19], v18, -1
	v_add_u32_e32 v25, 19, v24
	v_lshlrev_b64 v[25:26], v25, 1
	v_bfi_b32 v19, v19, 0, 0
	v_bfi_b32 v18, v18, 0, v2
	v_lshrrev_b64 v[59:60], v24, v[2:3]
	v_cmp_eq_u64_e64 s[40:41], v[18:19], v[25:26]
	v_mov_b32_e32 v18, v59
	v_mov_b32_e32 v19, v60
	s_and_saveexec_b64 s[48:49], s[40:41]
; %bb.532:                              ;   in Loop: Header=BB2_352 Depth=4
	v_bfe_u32 v2, v59, 20, 1
	v_add_co_u32_e64 v2, s[40:41], v59, v2
	v_add_co_u32_e64 v18, s[40:41], -1, v2
; %bb.533:                              ;   in Loop: Header=BB2_352 Depth=4
	s_or_b64 exec, exec, s[48:49]
	v_add_u32_e32 v2, 0xffffff81, v16
	v_cndmask_b32_e64 v2, v2, v0, s[28:29]
	v_lshrrev_b32_e32 v16, 23, v59
	v_add3_u32 v24, v24, v2, v16
	v_add_u32_e32 v19, 6, v24
	v_and_b32_e32 v2, 0xfffff, v18
	v_add_u32_e32 v2, v2, v59
	v_cmp_ne_u32_e64 s[28:29], 0, v19
                                        ; implicit-def: $vgpr59_vgpr60
                                        ; implicit-def: $vgpr16
	s_and_saveexec_b64 s[40:41], s[28:29]
	s_xor_b64 s[40:41], exec, s[40:41]
; %bb.534:                              ;   in Loop: Header=BB2_352 Depth=4
	v_cmp_lt_u64_e64 s[28:29], s[88:89], v[2:3]
	v_add_u32_e32 v16, 7, v24
	v_cndmask_b32_e64 v18, 0, 1, s[28:29]
	v_cndmask_b32_e64 v16, v19, v16, s[28:29]
	v_lshrrev_b64 v[59:60], v18, v[2:3]
; %bb.535:                              ;   in Loop: Header=BB2_352 Depth=4
	s_andn2_saveexec_b64 s[28:29], s[40:41]
; %bb.536:                              ;   in Loop: Header=BB2_352 Depth=4
	v_mov_b32_e32 v60, v3
	v_bfe_u32 v16, v2, 23, 1
	v_mov_b32_e32 v59, v2
; %bb.537:                              ;   in Loop: Header=BB2_352 Depth=4
	s_or_b64 exec, exec, s[28:29]
	v_lshrrev_b64 v[18:19], 20, v[59:60]
	v_cmp_gt_i32_e64 s[28:29], 16, v16
	v_cndmask_b32_e64 v19, 0, v19, s[28:29]
	v_cndmask_b32_e64 v18, 7, v18, s[28:29]
	v_min_i32_e32 v2, 15, v16
	v_cmp_eq_u64_e64 s[40:41], 0, v[18:19]
	v_lshlrev_b32_e32 v2, 3, v2
	v_cmp_eq_u32_e64 s[28:29], 0, v16
	v_and_b32_e32 v2, 0xf8, v2
	v_and_or_b32 v2, v18, 7, v2
	s_and_b64 s[28:29], s[28:29], s[40:41]
	v_cndmask_b32_e64 v2, v2, 0, s[28:29]
	v_or_b32_e32 v59, v2, v6
.LBB2_538:                              ;   in Loop: Header=BB2_352 Depth=4
	s_or_b64 exec, exec, s[38:39]
                                        ; implicit-def: $vgpr6
.LBB2_539:                              ;   in Loop: Header=BB2_352 Depth=4
	s_andn2_saveexec_b64 s[28:29], s[36:37]
; %bb.540:                              ;   in Loop: Header=BB2_352 Depth=4
	v_or_b32_e32 v59, 0x7e, v6
; %bb.541:                              ;   in Loop: Header=BB2_352 Depth=4
	s_or_b64 exec, exec, s[28:29]
                                        ; implicit-def: $vgpr16
.LBB2_542:                              ;   in Loop: Header=BB2_352 Depth=4
	s_andn2_saveexec_b64 s[28:29], s[34:35]
; %bb.543:                              ;   in Loop: Header=BB2_352 Depth=4
	v_or_b32_sdwa v59, v16, s71 dst_sel:DWORD dst_unused:UNUSED_PAD src0_sel:BYTE_3 src1_sel:DWORD
; %bb.544:                              ;   in Loop: Header=BB2_352 Depth=4
	s_or_b64 exec, exec, s[28:29]
	v_cmp_lt_u64_e64 s[28:29], s[56:57], v[12:13]
	v_mov_b32_e32 v6, 0
	s_and_saveexec_b64 s[40:41], s[28:29]
	s_cbranch_execz .LBB2_550
; %bb.545:                              ;   in Loop: Header=BB2_352 Depth=4
	v_lshrrev_b32_e32 v2, 24, v13
	v_cmp_ne_u32_e64 s[28:29], s70, v2
	v_bfrev_b32_e32 v6, 1
	s_and_saveexec_b64 s[34:35], s[28:29]
	s_cbranch_execz .LBB2_549
; %bb.546:                              ;   in Loop: Header=BB2_352 Depth=4
	v_bfe_u32 v12, v13, 24, 7
	v_cmp_ne_u32_e64 s[28:29], s71, v12
	v_mov_b32_e32 v6, 0x7f800001
	s_and_saveexec_b64 s[36:37], s[28:29]
	s_cbranch_execz .LBB2_548
; %bb.547:                              ;   in Loop: Header=BB2_352 Depth=4
	v_and_b32_e32 v6, 7, v2
	v_lshrrev_b32_e32 v16, 3, v12
	v_cmp_gt_u32_e64 s[28:29], 8, v12
	v_ffbh_u32_e32 v12, v6
	v_min_u32_e32 v18, 32, v12
	v_subrev_u32_e32 v12, 28, v18
	v_lshlrev_b64 v[12:13], v12, v[2:3]
	v_sub_u32_e32 v13, 29, v18
	v_and_b32_e32 v12, 7, v12
	v_cndmask_b32_e64 v13, v16, v13, s[28:29]
	v_cndmask_b32_e64 v6, v6, v12, s[28:29]
	v_lshlrev_b32_e32 v2, 24, v2
	v_lshlrev_b32_e32 v6, 20, v6
	v_and_b32_e32 v2, 0x80000000, v2
	v_lshl_add_u32 v12, v13, 23, v49
	v_or3_b32 v6, v2, v12, v6
.LBB2_548:                              ;   in Loop: Header=BB2_352 Depth=4
	s_or_b64 exec, exec, s[36:37]
.LBB2_549:                              ;   in Loop: Header=BB2_352 Depth=4
	s_or_b64 exec, exec, s[34:35]
.LBB2_550:                              ;   in Loop: Header=BB2_352 Depth=4
	s_or_b64 exec, exec, s[40:41]
	v_bfe_u32 v16, v9, 24, 3
	v_ffbh_u32_e32 v12, v16
	v_min_u32_e32 v24, 32, v12
	v_lshrrev_b32_e32 v2, 24, v9
	v_subrev_u32_e32 v12, 28, v24
	v_lshlrev_b64 v[12:13], v12, v[2:3]
	v_bfe_u32 v18, v9, 24, 7
	v_bfe_u32 v19, v2, 3, 4
	v_sub_u32_e32 v13, 29, v24
	v_and_b32_e32 v12, 7, v12
	v_cmp_gt_u32_e64 s[28:29], 8, v18
	v_cndmask_b32_e64 v13, v19, v13, s[28:29]
	v_cndmask_b32_e64 v12, v16, v12, s[28:29]
	v_lshlrev_b32_e32 v12, 20, v12
	v_and_b32_e32 v16, 0x80000000, v9
	v_lshl_add_u32 v13, v13, 23, v49
	v_or3_b32 v12, v16, v13, v12
	v_cmp_ne_u32_e64 s[28:29], s71, v18
	v_cndmask_b32_e64 v12, v5, v12, s[28:29]
	v_cmp_ne_u32_e64 s[28:29], s70, v2
	v_cndmask_b32_e64 v2, v35, v12, s[28:29]
	v_cmp_lt_u64_e64 s[28:29], s[56:57], v[8:9]
                                        ; implicit-def: $vgpr60
	v_cndmask_b32_e64 v2, 0, v2, s[28:29]
	v_mul_f32_e32 v8, v2, v6
	v_and_b32_e32 v2, 0x7f800000, v8
	v_cmp_ne_u64_e64 s[28:29], s[62:63], v[2:3]
	s_and_saveexec_b64 s[40:41], s[28:29]
	s_xor_b64 s[34:35], exec, s[40:41]
	s_cbranch_execz .LBB2_564
; %bb.551:                              ;   in Loop: Header=BB2_352 Depth=4
	v_and_b32_e32 v2, 0x7fffffff, v8
	v_cmp_gt_u64_e64 s[28:29], s[72:73], v[2:3]
	v_and_b32_sdwa v6, v8, s70 dst_sel:DWORD dst_unused:UNUSED_PAD src0_sel:BYTE_3 src1_sel:DWORD
                                        ; implicit-def: $vgpr60
	s_and_saveexec_b64 s[40:41], s[28:29]
	s_xor_b64 s[36:37], exec, s[40:41]
	s_cbranch_execz .LBB2_561
; %bb.552:                              ;   in Loop: Header=BB2_352 Depth=4
	v_mov_b32_e32 v60, 0
	v_cmp_ne_u32_e64 s[28:29], 0, v8
	s_and_saveexec_b64 s[38:39], s[28:29]
	s_cbranch_execz .LBB2_560
; %bb.553:                              ;   in Loop: Header=BB2_352 Depth=4
	v_bfe_u32 v16, v8, 23, 8
	v_and_b32_e32 v2, 0x7fffff, v8
	v_cmp_gt_u32_e64 s[40:41], s80, v16
	v_sub_u32_e32 v8, 0x79, v16
	v_cmp_eq_u32_e64 s[28:29], 0, v16
	v_cndmask_b32_e64 v8, 0, v8, s[40:41]
	v_cndmask_b32_e64 v18, v8, v1, s[28:29]
	v_or_b32_e32 v9, 0x800000, v2
	v_add_u32_e32 v8, 20, v18
	v_cndmask_b32_e64 v2, v9, v2, s[28:29]
	v_lshlrev_b64 v[8:9], v8, -1
	v_add_u32_e32 v12, 19, v18
	v_lshlrev_b64 v[12:13], v12, 1
	v_bfi_b32 v9, v9, 0, 0
	v_bfi_b32 v8, v8, 0, v2
	v_cmp_eq_u64_e64 s[40:41], v[8:9], v[12:13]
	v_lshrrev_b64 v[8:9], v18, v[2:3]
	v_mov_b32_e32 v13, v9
	v_mov_b32_e32 v12, v8
	s_and_saveexec_b64 s[48:49], s[40:41]
; %bb.554:                              ;   in Loop: Header=BB2_352 Depth=4
	v_bfe_u32 v2, v8, 20, 1
	v_add_co_u32_e64 v2, s[40:41], v8, v2
	v_add_co_u32_e64 v12, s[40:41], -1, v2
; %bb.555:                              ;   in Loop: Header=BB2_352 Depth=4
	s_or_b64 exec, exec, s[48:49]
	v_add_u32_e32 v2, 0xffffff81, v16
	v_cndmask_b32_e64 v2, v2, v0, s[28:29]
	v_lshrrev_b32_e32 v9, 23, v8
	v_add3_u32 v16, v18, v2, v9
	v_add_u32_e32 v13, 6, v16
	v_and_b32_e32 v2, 0xfffff, v12
	v_add_u32_e32 v2, v2, v8
	v_cmp_ne_u32_e64 s[28:29], 0, v13
                                        ; implicit-def: $vgpr8_vgpr9
                                        ; implicit-def: $vgpr12
	s_and_saveexec_b64 s[40:41], s[28:29]
	s_xor_b64 s[40:41], exec, s[40:41]
; %bb.556:                              ;   in Loop: Header=BB2_352 Depth=4
	v_cmp_lt_u64_e64 s[28:29], s[88:89], v[2:3]
	v_add_u32_e32 v8, 7, v16
	v_cndmask_b32_e64 v12, v13, v8, s[28:29]
	v_cndmask_b32_e64 v8, 0, 1, s[28:29]
	v_lshrrev_b64 v[8:9], v8, v[2:3]
; %bb.557:                              ;   in Loop: Header=BB2_352 Depth=4
	s_andn2_saveexec_b64 s[28:29], s[40:41]
; %bb.558:                              ;   in Loop: Header=BB2_352 Depth=4
	v_mov_b32_e32 v9, v3
	v_bfe_u32 v12, v2, 23, 1
	v_mov_b32_e32 v8, v2
; %bb.559:                              ;   in Loop: Header=BB2_352 Depth=4
	s_or_b64 exec, exec, s[28:29]
	v_lshrrev_b64 v[8:9], 20, v[8:9]
	v_cmp_gt_i32_e64 s[28:29], 16, v12
	v_cndmask_b32_e64 v9, 0, v9, s[28:29]
	v_cndmask_b32_e64 v8, 7, v8, s[28:29]
	v_min_i32_e32 v2, 15, v12
	v_cmp_eq_u64_e64 s[40:41], 0, v[8:9]
	v_lshlrev_b32_e32 v2, 3, v2
	v_cmp_eq_u32_e64 s[28:29], 0, v12
	v_and_b32_e32 v2, 0xf8, v2
	v_and_or_b32 v2, v8, 7, v2
	s_and_b64 s[28:29], s[28:29], s[40:41]
	v_cndmask_b32_e64 v2, v2, 0, s[28:29]
	v_or_b32_e32 v60, v2, v6
.LBB2_560:                              ;   in Loop: Header=BB2_352 Depth=4
	s_or_b64 exec, exec, s[38:39]
                                        ; implicit-def: $vgpr6
.LBB2_561:                              ;   in Loop: Header=BB2_352 Depth=4
	s_andn2_saveexec_b64 s[28:29], s[36:37]
; %bb.562:                              ;   in Loop: Header=BB2_352 Depth=4
	v_or_b32_e32 v60, 0x7e, v6
; %bb.563:                              ;   in Loop: Header=BB2_352 Depth=4
	s_or_b64 exec, exec, s[28:29]
                                        ; implicit-def: $vgpr8
.LBB2_564:                              ;   in Loop: Header=BB2_352 Depth=4
	s_andn2_saveexec_b64 s[28:29], s[34:35]
; %bb.565:                              ;   in Loop: Header=BB2_352 Depth=4
	v_or_b32_sdwa v60, v8, s71 dst_sel:DWORD dst_unused:UNUSED_PAD src0_sel:BYTE_3 src1_sel:DWORD
; %bb.566:                              ;   in Loop: Header=BB2_352 Depth=4
	s_or_b64 exec, exec, s[28:29]
	v_cmp_ne_u16_sdwa s[28:29], v14, v3 src0_sel:BYTE_0 src1_sel:DWORD
	v_mov_b32_e32 v2, 0
	s_and_saveexec_b64 s[40:41], s[28:29]
	s_cbranch_execz .LBB2_572
; %bb.567:                              ;   in Loop: Header=BB2_352 Depth=4
	v_cmp_ne_u16_sdwa s[28:29], v14, s70 src0_sel:BYTE_0 src1_sel:DWORD
	v_bfrev_b32_e32 v2, 1
	s_and_saveexec_b64 s[34:35], s[28:29]
	s_cbranch_execz .LBB2_571
; %bb.568:                              ;   in Loop: Header=BB2_352 Depth=4
	v_and_b32_e32 v6, 0x7f, v14
	v_cmp_ne_u32_e64 s[28:29], s71, v6
	v_mov_b32_e32 v2, 0x7f800001
	s_and_saveexec_b64 s[36:37], s[28:29]
	s_cbranch_execz .LBB2_570
; %bb.569:                              ;   in Loop: Header=BB2_352 Depth=4
	v_and_b32_e32 v2, 7, v14
	v_ffbh_u32_e32 v2, v2
	v_min_u32_e32 v2, 32, v2
	v_lshrrev_b32_e32 v8, 3, v6
	v_cmp_gt_u32_e64 s[28:29], 8, v6
	v_subrev_u32_e32 v6, 28, v2
	v_sub_u32_e32 v2, 29, v2
	v_cndmask_b32_e64 v6, 0, v6, s[28:29]
	v_cndmask_b32_e64 v2, v8, v2, s[28:29]
	v_lshlrev_b64 v[8:9], v6, v[14:15]
	v_lshl_add_u32 v2, v2, 23, v49
	v_lshlrev_b32_e32 v6, 20, v8
	v_lshlrev_b32_e32 v8, 24, v14
	v_and_b32_e32 v6, 0x700000, v6
	v_and_b32_e32 v8, 0x80000000, v8
	v_or3_b32 v2, v8, v2, v6
.LBB2_570:                              ;   in Loop: Header=BB2_352 Depth=4
	s_or_b64 exec, exec, s[36:37]
.LBB2_571:                              ;   in Loop: Header=BB2_352 Depth=4
	s_or_b64 exec, exec, s[34:35]
.LBB2_572:                              ;   in Loop: Header=BB2_352 Depth=4
	s_or_b64 exec, exec, s[40:41]
	v_cmp_gt_i16_sdwa s[40:41], v10, s71 src0_sel:BYTE_0 src1_sel:DWORD
	s_mov_b64 s[28:29], 0
	s_and_saveexec_b64 s[44:45], s[40:41]
	s_xor_b64 s[40:41], exec, s[44:45]
	s_cbranch_execz .LBB2_790
; %bb.573:                              ;   in Loop: Header=BB2_352 Depth=4
	v_cmp_eq_u16_sdwa s[44:45], v10, s70 src0_sel:BYTE_0 src1_sel:DWORD
	s_mov_b64 s[28:29], -1
	s_and_saveexec_b64 s[34:35], s[44:45]
; %bb.574:                              ;   in Loop: Header=BB2_352 Depth=4
	s_xor_b64 s[28:29], exec, -1
; %bb.575:                              ;   in Loop: Header=BB2_352 Depth=4
	s_or_b64 exec, exec, s[34:35]
	s_and_b64 s[28:29], s[28:29], exec
	s_or_saveexec_b64 s[40:41], s[40:41]
	v_bfrev_b32_e32 v6, 1
	s_xor_b64 exec, exec, s[40:41]
	s_cbranch_execnz .LBB2_791
.LBB2_576:                              ;   in Loop: Header=BB2_352 Depth=4
	s_or_b64 exec, exec, s[40:41]
	s_and_saveexec_b64 s[40:41], s[28:29]
	s_cbranch_execz .LBB2_578
.LBB2_577:                              ;   in Loop: Header=BB2_352 Depth=4
	v_and_b32_e32 v6, 7, v10
	v_ffbh_u32_e32 v6, v6
	v_and_b32_e32 v12, 0x7f, v10
	v_min_u32_e32 v6, 32, v6
	v_bfe_u32 v8, v10, 3, 4
	v_subrev_u32_e32 v9, 28, v6
	v_sub_u32_e32 v6, 29, v6
	v_cmp_gt_u32_e64 s[28:29], 8, v12
	v_cndmask_b32_e64 v6, v8, v6, s[28:29]
	v_cndmask_b32_e64 v8, 0, v9, s[28:29]
	v_lshlrev_b64 v[8:9], v8, v[10:11]
	v_lshlrev_b32_e32 v9, 24, v10
	v_lshlrev_b32_e32 v8, 20, v8
	v_and_b32_e32 v8, 0x700000, v8
	v_and_b32_e32 v9, 0x80000000, v9
	v_lshl_add_u32 v6, v6, 23, v49
	v_or3_b32 v6, v9, v6, v8
	v_cmp_ne_u32_e64 s[28:29], s71, v12
	v_cndmask_b32_e64 v6, v5, v6, s[28:29]
.LBB2_578:                              ;   in Loop: Header=BB2_352 Depth=4
	s_or_b64 exec, exec, s[40:41]
	v_mul_f32_e32 v8, v2, v6
	v_and_b32_e32 v2, 0x7f800000, v8
	v_cmp_ne_u64_e64 s[28:29], s[62:63], v[2:3]
                                        ; implicit-def: $vgpr16
	s_and_saveexec_b64 s[40:41], s[28:29]
	s_xor_b64 s[34:35], exec, s[40:41]
	s_cbranch_execz .LBB2_592
; %bb.579:                              ;   in Loop: Header=BB2_352 Depth=4
	v_and_b32_e32 v2, 0x7fffffff, v8
	v_cmp_gt_u64_e64 s[28:29], s[72:73], v[2:3]
	v_and_b32_sdwa v6, v8, s70 dst_sel:DWORD dst_unused:UNUSED_PAD src0_sel:BYTE_3 src1_sel:DWORD
                                        ; implicit-def: $vgpr16
	s_and_saveexec_b64 s[40:41], s[28:29]
	s_xor_b64 s[36:37], exec, s[40:41]
	s_cbranch_execz .LBB2_589
; %bb.580:                              ;   in Loop: Header=BB2_352 Depth=4
	v_mov_b32_e32 v16, 0
	v_cmp_ne_u32_e64 s[28:29], 0, v8
	s_and_saveexec_b64 s[38:39], s[28:29]
	s_cbranch_execz .LBB2_588
; %bb.581:                              ;   in Loop: Header=BB2_352 Depth=4
	v_bfe_u32 v16, v8, 23, 8
	v_and_b32_e32 v2, 0x7fffff, v8
	v_cmp_gt_u32_e64 s[40:41], s80, v16
	v_sub_u32_e32 v8, 0x79, v16
	v_cmp_eq_u32_e64 s[28:29], 0, v16
	v_cndmask_b32_e64 v8, 0, v8, s[40:41]
	v_cndmask_b32_e64 v18, v8, v1, s[28:29]
	v_or_b32_e32 v9, 0x800000, v2
	v_add_u32_e32 v8, 20, v18
	v_cndmask_b32_e64 v2, v9, v2, s[28:29]
	v_lshlrev_b64 v[8:9], v8, -1
	v_add_u32_e32 v12, 19, v18
	v_lshlrev_b64 v[12:13], v12, 1
	v_bfi_b32 v9, v9, 0, 0
	v_bfi_b32 v8, v8, 0, v2
	v_cmp_eq_u64_e64 s[40:41], v[8:9], v[12:13]
	v_lshrrev_b64 v[8:9], v18, v[2:3]
	v_mov_b32_e32 v13, v9
	v_mov_b32_e32 v12, v8
	s_and_saveexec_b64 s[48:49], s[40:41]
; %bb.582:                              ;   in Loop: Header=BB2_352 Depth=4
	v_bfe_u32 v2, v8, 20, 1
	v_add_co_u32_e64 v2, s[40:41], v8, v2
	v_add_co_u32_e64 v12, s[40:41], -1, v2
; %bb.583:                              ;   in Loop: Header=BB2_352 Depth=4
	s_or_b64 exec, exec, s[48:49]
	v_add_u32_e32 v2, 0xffffff81, v16
	v_cndmask_b32_e64 v2, v2, v0, s[28:29]
	v_lshrrev_b32_e32 v9, 23, v8
	v_add3_u32 v16, v18, v2, v9
	v_add_u32_e32 v13, 6, v16
	v_and_b32_e32 v2, 0xfffff, v12
	v_add_u32_e32 v2, v2, v8
	v_cmp_ne_u32_e64 s[28:29], 0, v13
                                        ; implicit-def: $vgpr8_vgpr9
                                        ; implicit-def: $vgpr12
	s_and_saveexec_b64 s[40:41], s[28:29]
	s_xor_b64 s[40:41], exec, s[40:41]
; %bb.584:                              ;   in Loop: Header=BB2_352 Depth=4
	v_cmp_lt_u64_e64 s[28:29], s[88:89], v[2:3]
	v_add_u32_e32 v8, 7, v16
	v_cndmask_b32_e64 v12, v13, v8, s[28:29]
	v_cndmask_b32_e64 v8, 0, 1, s[28:29]
	v_lshrrev_b64 v[8:9], v8, v[2:3]
; %bb.585:                              ;   in Loop: Header=BB2_352 Depth=4
	s_andn2_saveexec_b64 s[28:29], s[40:41]
; %bb.586:                              ;   in Loop: Header=BB2_352 Depth=4
	v_mov_b32_e32 v9, v3
	v_bfe_u32 v12, v2, 23, 1
	v_mov_b32_e32 v8, v2
; %bb.587:                              ;   in Loop: Header=BB2_352 Depth=4
	s_or_b64 exec, exec, s[28:29]
	v_lshrrev_b64 v[8:9], 20, v[8:9]
	v_cmp_gt_i32_e64 s[28:29], 16, v12
	v_cndmask_b32_e64 v9, 0, v9, s[28:29]
	v_cndmask_b32_e64 v8, 7, v8, s[28:29]
	v_min_i32_e32 v2, 15, v12
	v_cmp_eq_u64_e64 s[40:41], 0, v[8:9]
	v_lshlrev_b32_e32 v2, 3, v2
	v_cmp_eq_u32_e64 s[28:29], 0, v12
	v_and_b32_e32 v2, 0xf8, v2
	v_and_or_b32 v2, v8, 7, v2
	s_and_b64 s[28:29], s[28:29], s[40:41]
	v_cndmask_b32_e64 v2, v2, 0, s[28:29]
	v_or_b32_e32 v16, v2, v6
.LBB2_588:                              ;   in Loop: Header=BB2_352 Depth=4
	s_or_b64 exec, exec, s[38:39]
                                        ; implicit-def: $vgpr6
.LBB2_589:                              ;   in Loop: Header=BB2_352 Depth=4
	s_andn2_saveexec_b64 s[28:29], s[36:37]
; %bb.590:                              ;   in Loop: Header=BB2_352 Depth=4
	v_or_b32_e32 v16, 0x7e, v6
; %bb.591:                              ;   in Loop: Header=BB2_352 Depth=4
	s_or_b64 exec, exec, s[28:29]
                                        ; implicit-def: $vgpr8
.LBB2_592:                              ;   in Loop: Header=BB2_352 Depth=4
	s_andn2_saveexec_b64 s[28:29], s[34:35]
; %bb.593:                              ;   in Loop: Header=BB2_352 Depth=4
	v_or_b32_sdwa v16, v8, s71 dst_sel:DWORD dst_unused:UNUSED_PAD src0_sel:BYTE_3 src1_sel:DWORD
; %bb.594:                              ;   in Loop: Header=BB2_352 Depth=4
	s_or_b64 exec, exec, s[28:29]
	v_lshrrev_b16_e32 v2, 8, v14
	v_cmp_ne_u16_e64 s[28:29], 0, v2
	v_mov_b32_e32 v6, 0
	s_and_saveexec_b64 s[40:41], s[28:29]
	s_cbranch_execz .LBB2_600
; %bb.595:                              ;   in Loop: Header=BB2_352 Depth=4
	v_cmp_ne_u16_e64 s[28:29], s70, v2
	v_bfrev_b32_e32 v6, 1
	s_and_saveexec_b64 s[34:35], s[28:29]
	s_cbranch_execz .LBB2_599
; %bb.596:                              ;   in Loop: Header=BB2_352 Depth=4
	v_and_b32_e32 v8, 0x7f, v2
	v_cmp_ne_u32_e64 s[28:29], s71, v8
	v_mov_b32_e32 v6, 0x7f800001
	s_and_saveexec_b64 s[36:37], s[28:29]
	s_cbranch_execz .LBB2_598
; %bb.597:                              ;   in Loop: Header=BB2_352 Depth=4
	v_and_b32_e32 v6, 7, v2
	v_lshrrev_b32_e32 v12, 3, v8
	v_cmp_gt_u32_e64 s[28:29], 8, v8
	v_ffbh_u32_e32 v8, v6
	v_min_u32_e32 v13, 32, v8
	v_subrev_u32_e32 v8, 28, v13
	v_lshlrev_b64 v[8:9], v8, v[2:3]
	v_sub_u32_e32 v2, 29, v13
	v_and_b32_e32 v8, 7, v8
	v_cndmask_b32_e64 v2, v12, v2, s[28:29]
	v_cndmask_b32_e64 v6, v6, v8, s[28:29]
	v_lshlrev_b32_e32 v8, 16, v14
	v_lshlrev_b32_e32 v6, 20, v6
	v_and_b32_e32 v8, 0x80000000, v8
	v_lshl_add_u32 v2, v2, 23, v49
	v_or3_b32 v6, v8, v2, v6
.LBB2_598:                              ;   in Loop: Header=BB2_352 Depth=4
	s_or_b64 exec, exec, s[36:37]
.LBB2_599:                              ;   in Loop: Header=BB2_352 Depth=4
	s_or_b64 exec, exec, s[34:35]
.LBB2_600:                              ;   in Loop: Header=BB2_352 Depth=4
	s_or_b64 exec, exec, s[40:41]
	v_lshrrev_b16_e32 v2, 8, v10
	v_cmp_lt_i16_e64 s[28:29], s71, v2
	s_mov_b64 s[40:41], 0
	s_and_saveexec_b64 s[44:45], s[28:29]
	s_xor_b64 s[34:35], exec, s[44:45]
	s_cbranch_execz .LBB2_792
; %bb.601:                              ;   in Loop: Header=BB2_352 Depth=4
	v_cmp_eq_u16_e64 s[28:29], s70, v2
	s_mov_b64 s[40:41], -1
	s_and_saveexec_b64 s[36:37], s[28:29]
; %bb.602:                              ;   in Loop: Header=BB2_352 Depth=4
	s_xor_b64 s[40:41], exec, -1
; %bb.603:                              ;   in Loop: Header=BB2_352 Depth=4
	s_or_b64 exec, exec, s[36:37]
	s_and_b64 s[40:41], s[40:41], exec
	s_or_saveexec_b64 s[34:35], s[34:35]
	v_bfrev_b32_e32 v8, 1
	s_xor_b64 exec, exec, s[34:35]
	s_cbranch_execnz .LBB2_793
.LBB2_604:                              ;   in Loop: Header=BB2_352 Depth=4
	s_or_b64 exec, exec, s[34:35]
	s_and_saveexec_b64 s[34:35], s[40:41]
	s_cbranch_execz .LBB2_606
.LBB2_605:                              ;   in Loop: Header=BB2_352 Depth=4
	v_and_b32_e32 v12, 7, v2
	v_ffbh_u32_e32 v8, v12
	v_min_u32_e32 v19, 32, v8
	v_subrev_u32_e32 v8, 28, v19
	v_lshlrev_b64 v[8:9], v8, v[2:3]
	v_and_b32_e32 v13, 0x7f, v2
	v_bfe_u32 v18, v2, 3, 4
	v_sub_u32_e32 v9, 29, v19
	v_and_b32_e32 v8, 7, v8
	v_cmp_gt_u32_e64 s[28:29], 8, v13
	v_cndmask_b32_e64 v9, v18, v9, s[28:29]
	v_cndmask_b32_e64 v8, v12, v8, s[28:29]
	v_lshlrev_b32_e32 v2, 24, v2
	v_lshlrev_b32_e32 v8, 20, v8
	v_and_b32_e32 v2, 0x80000000, v2
	v_lshl_add_u32 v9, v9, 23, v49
	v_or3_b32 v2, v2, v9, v8
	v_cmp_ne_u32_e64 s[28:29], s71, v13
	v_cndmask_b32_e64 v8, v5, v2, s[28:29]
.LBB2_606:                              ;   in Loop: Header=BB2_352 Depth=4
	s_or_b64 exec, exec, s[34:35]
	v_mul_f32_e32 v8, v6, v8
	v_and_b32_e32 v2, 0x7f800000, v8
	v_cmp_ne_u64_e64 s[28:29], s[62:63], v[2:3]
                                        ; implicit-def: $vgpr48
	s_and_saveexec_b64 s[40:41], s[28:29]
	s_xor_b64 s[34:35], exec, s[40:41]
	s_cbranch_execz .LBB2_620
; %bb.607:                              ;   in Loop: Header=BB2_352 Depth=4
	v_and_b32_e32 v2, 0x7fffffff, v8
	v_cmp_gt_u64_e64 s[28:29], s[72:73], v[2:3]
	v_and_b32_sdwa v6, v8, s70 dst_sel:DWORD dst_unused:UNUSED_PAD src0_sel:BYTE_3 src1_sel:DWORD
                                        ; implicit-def: $vgpr48
	s_and_saveexec_b64 s[40:41], s[28:29]
	s_xor_b64 s[36:37], exec, s[40:41]
	s_cbranch_execz .LBB2_617
; %bb.608:                              ;   in Loop: Header=BB2_352 Depth=4
	v_mov_b32_e32 v48, 0
	v_cmp_ne_u32_e64 s[28:29], 0, v8
	s_and_saveexec_b64 s[38:39], s[28:29]
	s_cbranch_execz .LBB2_616
; %bb.609:                              ;   in Loop: Header=BB2_352 Depth=4
	v_bfe_u32 v18, v8, 23, 8
	v_and_b32_e32 v2, 0x7fffff, v8
	v_cmp_gt_u32_e64 s[40:41], s80, v18
	v_sub_u32_e32 v8, 0x79, v18
	v_cmp_eq_u32_e64 s[28:29], 0, v18
	v_cndmask_b32_e64 v8, 0, v8, s[40:41]
	v_cndmask_b32_e64 v19, v8, v1, s[28:29]
	v_or_b32_e32 v9, 0x800000, v2
	v_add_u32_e32 v8, 20, v19
	v_cndmask_b32_e64 v2, v9, v2, s[28:29]
	v_lshlrev_b64 v[8:9], v8, -1
	v_add_u32_e32 v12, 19, v19
	v_lshlrev_b64 v[12:13], v12, 1
	v_bfi_b32 v9, v9, 0, 0
	v_bfi_b32 v8, v8, 0, v2
	v_cmp_eq_u64_e64 s[40:41], v[8:9], v[12:13]
	v_lshrrev_b64 v[8:9], v19, v[2:3]
	v_mov_b32_e32 v13, v9
	v_mov_b32_e32 v12, v8
	s_and_saveexec_b64 s[48:49], s[40:41]
; %bb.610:                              ;   in Loop: Header=BB2_352 Depth=4
	v_bfe_u32 v2, v8, 20, 1
	v_add_co_u32_e64 v2, s[40:41], v8, v2
	v_add_co_u32_e64 v12, s[40:41], -1, v2
; %bb.611:                              ;   in Loop: Header=BB2_352 Depth=4
	s_or_b64 exec, exec, s[48:49]
	v_add_u32_e32 v2, 0xffffff81, v18
	v_cndmask_b32_e64 v2, v2, v0, s[28:29]
	v_lshrrev_b32_e32 v9, 23, v8
	v_add3_u32 v18, v19, v2, v9
	v_add_u32_e32 v13, 6, v18
	v_and_b32_e32 v2, 0xfffff, v12
	v_add_u32_e32 v2, v2, v8
	v_cmp_ne_u32_e64 s[28:29], 0, v13
                                        ; implicit-def: $vgpr8_vgpr9
                                        ; implicit-def: $vgpr12
	s_and_saveexec_b64 s[40:41], s[28:29]
	s_xor_b64 s[40:41], exec, s[40:41]
; %bb.612:                              ;   in Loop: Header=BB2_352 Depth=4
	v_cmp_lt_u64_e64 s[28:29], s[88:89], v[2:3]
	v_add_u32_e32 v8, 7, v18
	v_cndmask_b32_e64 v12, v13, v8, s[28:29]
	v_cndmask_b32_e64 v8, 0, 1, s[28:29]
	v_lshrrev_b64 v[8:9], v8, v[2:3]
; %bb.613:                              ;   in Loop: Header=BB2_352 Depth=4
	s_andn2_saveexec_b64 s[28:29], s[40:41]
; %bb.614:                              ;   in Loop: Header=BB2_352 Depth=4
	v_mov_b32_e32 v9, v3
	v_bfe_u32 v12, v2, 23, 1
	v_mov_b32_e32 v8, v2
; %bb.615:                              ;   in Loop: Header=BB2_352 Depth=4
	s_or_b64 exec, exec, s[28:29]
	v_lshrrev_b64 v[8:9], 20, v[8:9]
	v_cmp_gt_i32_e64 s[28:29], 16, v12
	v_cndmask_b32_e64 v9, 0, v9, s[28:29]
	v_cndmask_b32_e64 v8, 7, v8, s[28:29]
	v_min_i32_e32 v2, 15, v12
	v_cmp_eq_u64_e64 s[40:41], 0, v[8:9]
	v_lshlrev_b32_e32 v2, 3, v2
	v_cmp_eq_u32_e64 s[28:29], 0, v12
	v_and_b32_e32 v2, 0xf8, v2
	v_and_or_b32 v2, v8, 7, v2
	s_and_b64 s[28:29], s[28:29], s[40:41]
	v_cndmask_b32_e64 v2, v2, 0, s[28:29]
	v_or_b32_e32 v48, v2, v6
.LBB2_616:                              ;   in Loop: Header=BB2_352 Depth=4
	s_or_b64 exec, exec, s[38:39]
                                        ; implicit-def: $vgpr6
.LBB2_617:                              ;   in Loop: Header=BB2_352 Depth=4
	s_andn2_saveexec_b64 s[28:29], s[36:37]
; %bb.618:                              ;   in Loop: Header=BB2_352 Depth=4
	v_or_b32_e32 v48, 0x7e, v6
; %bb.619:                              ;   in Loop: Header=BB2_352 Depth=4
	s_or_b64 exec, exec, s[28:29]
                                        ; implicit-def: $vgpr8
.LBB2_620:                              ;   in Loop: Header=BB2_352 Depth=4
	s_andn2_saveexec_b64 s[28:29], s[34:35]
; %bb.621:                              ;   in Loop: Header=BB2_352 Depth=4
	v_or_b32_sdwa v48, v8, s71 dst_sel:DWORD dst_unused:UNUSED_PAD src0_sel:BYTE_3 src1_sel:DWORD
; %bb.622:                              ;   in Loop: Header=BB2_352 Depth=4
	s_or_b64 exec, exec, s[28:29]
	v_lshrrev_b32_e32 v2, 16, v14
	v_cmp_ne_u16_sdwa s[28:29], v2, v3 src0_sel:BYTE_0 src1_sel:DWORD
	v_mov_b32_e32 v6, 0
	s_and_saveexec_b64 s[40:41], s[28:29]
	s_cbranch_execz .LBB2_628
; %bb.623:                              ;   in Loop: Header=BB2_352 Depth=4
	v_cmp_ne_u16_sdwa s[28:29], v2, s70 src0_sel:BYTE_0 src1_sel:DWORD
	v_bfrev_b32_e32 v6, 1
	s_and_saveexec_b64 s[34:35], s[28:29]
	s_cbranch_execz .LBB2_627
; %bb.624:                              ;   in Loop: Header=BB2_352 Depth=4
	v_bfe_u32 v8, v14, 16, 7
	v_cmp_ne_u32_e64 s[28:29], s71, v8
	v_mov_b32_e32 v6, 0x7f800001
	s_and_saveexec_b64 s[36:37], s[28:29]
	s_cbranch_execz .LBB2_626
; %bb.625:                              ;   in Loop: Header=BB2_352 Depth=4
	v_and_b32_e32 v6, 7, v2
	v_lshrrev_b32_e32 v12, 3, v8
	v_cmp_gt_u32_e64 s[28:29], 8, v8
	v_ffbh_u32_e32 v8, v6
	v_min_u32_e32 v13, 32, v8
	v_subrev_u32_e32 v8, 28, v13
	v_lshlrev_b64 v[8:9], v8, v[2:3]
	v_sub_u32_e32 v9, 29, v13
	v_and_b32_e32 v8, 7, v8
	v_cndmask_b32_e64 v9, v12, v9, s[28:29]
	v_cndmask_b32_e64 v6, v6, v8, s[28:29]
	v_lshlrev_b32_e32 v2, 24, v2
	v_lshlrev_b32_e32 v6, 20, v6
	v_and_b32_e32 v2, 0x80000000, v2
	v_lshl_add_u32 v8, v9, 23, v49
	v_or3_b32 v6, v2, v8, v6
.LBB2_626:                              ;   in Loop: Header=BB2_352 Depth=4
	s_or_b64 exec, exec, s[36:37]
.LBB2_627:                              ;   in Loop: Header=BB2_352 Depth=4
	s_or_b64 exec, exec, s[34:35]
.LBB2_628:                              ;   in Loop: Header=BB2_352 Depth=4
	s_or_b64 exec, exec, s[40:41]
	v_lshrrev_b32_e32 v2, 16, v10
	v_cmp_gt_i16_sdwa s[40:41], v2, s71 src0_sel:BYTE_0 src1_sel:DWORD
	s_mov_b64 s[28:29], 0
	s_and_saveexec_b64 s[44:45], s[40:41]
	s_xor_b64 s[40:41], exec, s[44:45]
	s_cbranch_execz .LBB2_794
; %bb.629:                              ;   in Loop: Header=BB2_352 Depth=4
	v_cmp_eq_u16_sdwa s[44:45], v2, s70 src0_sel:BYTE_0 src1_sel:DWORD
	s_mov_b64 s[28:29], -1
	s_and_saveexec_b64 s[34:35], s[44:45]
; %bb.630:                              ;   in Loop: Header=BB2_352 Depth=4
	s_xor_b64 s[28:29], exec, -1
; %bb.631:                              ;   in Loop: Header=BB2_352 Depth=4
	s_or_b64 exec, exec, s[34:35]
	s_and_b64 s[28:29], s[28:29], exec
	s_or_saveexec_b64 s[40:41], s[40:41]
	v_bfrev_b32_e32 v8, 1
	s_xor_b64 exec, exec, s[40:41]
	s_cbranch_execnz .LBB2_795
.LBB2_632:                              ;   in Loop: Header=BB2_352 Depth=4
	s_or_b64 exec, exec, s[40:41]
	s_and_saveexec_b64 s[40:41], s[28:29]
	s_cbranch_execz .LBB2_634
.LBB2_633:                              ;   in Loop: Header=BB2_352 Depth=4
	v_and_b32_e32 v12, 7, v2
	v_ffbh_u32_e32 v8, v12
	v_min_u32_e32 v19, 32, v8
	v_subrev_u32_e32 v8, 28, v19
	v_lshlrev_b64 v[8:9], v8, v[2:3]
	v_and_b32_e32 v13, 0x7f, v2
	v_bfe_u32 v18, v2, 3, 4
	v_sub_u32_e32 v9, 29, v19
	v_and_b32_e32 v8, 7, v8
	v_cmp_gt_u32_e64 s[28:29], 8, v13
	v_cndmask_b32_e64 v9, v18, v9, s[28:29]
	v_cndmask_b32_e64 v8, v12, v8, s[28:29]
	v_lshlrev_b32_e32 v2, 24, v2
	v_lshlrev_b32_e32 v8, 20, v8
	v_and_b32_e32 v2, 0x80000000, v2
	v_lshl_add_u32 v9, v9, 23, v49
	v_or3_b32 v2, v2, v9, v8
	v_cmp_ne_u32_e64 s[28:29], s71, v13
	v_cndmask_b32_e64 v8, v5, v2, s[28:29]
.LBB2_634:                              ;   in Loop: Header=BB2_352 Depth=4
	s_or_b64 exec, exec, s[40:41]
	v_mul_f32_e32 v8, v6, v8
	v_and_b32_e32 v2, 0x7f800000, v8
	v_cmp_ne_u64_e64 s[28:29], s[62:63], v[2:3]
                                        ; implicit-def: $vgpr6
	s_and_saveexec_b64 s[40:41], s[28:29]
	s_xor_b64 s[34:35], exec, s[40:41]
	s_cbranch_execz .LBB2_648
; %bb.635:                              ;   in Loop: Header=BB2_352 Depth=4
	v_and_b32_e32 v2, 0x7fffffff, v8
	v_cmp_gt_u64_e64 s[28:29], s[72:73], v[2:3]
	v_and_b32_sdwa v18, v8, s70 dst_sel:DWORD dst_unused:UNUSED_PAD src0_sel:BYTE_3 src1_sel:DWORD
                                        ; implicit-def: $vgpr6
	s_and_saveexec_b64 s[40:41], s[28:29]
	s_xor_b64 s[36:37], exec, s[40:41]
	s_cbranch_execz .LBB2_645
; %bb.636:                              ;   in Loop: Header=BB2_352 Depth=4
	v_mov_b32_e32 v6, 0
	v_cmp_ne_u32_e64 s[28:29], 0, v8
	s_and_saveexec_b64 s[38:39], s[28:29]
	s_cbranch_execz .LBB2_644
; %bb.637:                              ;   in Loop: Header=BB2_352 Depth=4
	v_bfe_u32 v6, v8, 23, 8
	v_and_b32_e32 v2, 0x7fffff, v8
	v_cmp_gt_u32_e64 s[40:41], s80, v6
	v_sub_u32_e32 v8, 0x79, v6
	v_cmp_eq_u32_e64 s[28:29], 0, v6
	v_cndmask_b32_e64 v8, 0, v8, s[40:41]
	v_cndmask_b32_e64 v19, v8, v1, s[28:29]
	v_or_b32_e32 v9, 0x800000, v2
	v_add_u32_e32 v8, 20, v19
	v_cndmask_b32_e64 v2, v9, v2, s[28:29]
	v_lshlrev_b64 v[8:9], v8, -1
	v_add_u32_e32 v12, 19, v19
	v_lshlrev_b64 v[12:13], v12, 1
	v_bfi_b32 v9, v9, 0, 0
	v_bfi_b32 v8, v8, 0, v2
	v_cmp_eq_u64_e64 s[40:41], v[8:9], v[12:13]
	v_lshrrev_b64 v[8:9], v19, v[2:3]
	v_mov_b32_e32 v13, v9
	v_mov_b32_e32 v12, v8
	s_and_saveexec_b64 s[48:49], s[40:41]
; %bb.638:                              ;   in Loop: Header=BB2_352 Depth=4
	v_bfe_u32 v2, v8, 20, 1
	v_add_co_u32_e64 v2, s[40:41], v8, v2
	v_add_co_u32_e64 v12, s[40:41], -1, v2
; %bb.639:                              ;   in Loop: Header=BB2_352 Depth=4
	s_or_b64 exec, exec, s[48:49]
	v_add_u32_e32 v2, 0xffffff81, v6
	v_cndmask_b32_e64 v2, v2, v0, s[28:29]
	v_lshrrev_b32_e32 v6, 23, v8
	v_add3_u32 v19, v19, v2, v6
	v_add_u32_e32 v13, 6, v19
	v_and_b32_e32 v2, 0xfffff, v12
	v_add_u32_e32 v2, v2, v8
	v_cmp_ne_u32_e64 s[28:29], 0, v13
                                        ; implicit-def: $vgpr8_vgpr9
                                        ; implicit-def: $vgpr6
	s_and_saveexec_b64 s[40:41], s[28:29]
	s_xor_b64 s[40:41], exec, s[40:41]
; %bb.640:                              ;   in Loop: Header=BB2_352 Depth=4
	v_cmp_lt_u64_e64 s[28:29], s[88:89], v[2:3]
	v_add_u32_e32 v6, 7, v19
	v_cndmask_b32_e64 v8, 0, 1, s[28:29]
	v_cndmask_b32_e64 v6, v13, v6, s[28:29]
	v_lshrrev_b64 v[8:9], v8, v[2:3]
; %bb.641:                              ;   in Loop: Header=BB2_352 Depth=4
	s_andn2_saveexec_b64 s[28:29], s[40:41]
; %bb.642:                              ;   in Loop: Header=BB2_352 Depth=4
	v_mov_b32_e32 v9, v3
	v_bfe_u32 v6, v2, 23, 1
	v_mov_b32_e32 v8, v2
; %bb.643:                              ;   in Loop: Header=BB2_352 Depth=4
	s_or_b64 exec, exec, s[28:29]
	v_lshrrev_b64 v[8:9], 20, v[8:9]
	v_cmp_gt_i32_e64 s[28:29], 16, v6
	v_cndmask_b32_e64 v9, 0, v9, s[28:29]
	v_cndmask_b32_e64 v8, 7, v8, s[28:29]
	v_min_i32_e32 v2, 15, v6
	v_cmp_eq_u64_e64 s[40:41], 0, v[8:9]
	v_lshlrev_b32_e32 v2, 3, v2
	v_cmp_eq_u32_e64 s[28:29], 0, v6
	v_and_b32_e32 v2, 0xf8, v2
	v_and_or_b32 v2, v8, 7, v2
	s_and_b64 s[28:29], s[28:29], s[40:41]
	v_cndmask_b32_e64 v2, v2, 0, s[28:29]
	v_or_b32_e32 v6, v2, v18
.LBB2_644:                              ;   in Loop: Header=BB2_352 Depth=4
	s_or_b64 exec, exec, s[38:39]
                                        ; implicit-def: $vgpr18
.LBB2_645:                              ;   in Loop: Header=BB2_352 Depth=4
	s_andn2_saveexec_b64 s[28:29], s[36:37]
; %bb.646:                              ;   in Loop: Header=BB2_352 Depth=4
	v_or_b32_e32 v6, 0x7e, v18
; %bb.647:                              ;   in Loop: Header=BB2_352 Depth=4
	s_or_b64 exec, exec, s[28:29]
                                        ; implicit-def: $vgpr8
.LBB2_648:                              ;   in Loop: Header=BB2_352 Depth=4
	s_andn2_saveexec_b64 s[28:29], s[34:35]
; %bb.649:                              ;   in Loop: Header=BB2_352 Depth=4
	v_or_b32_sdwa v6, v8, s71 dst_sel:DWORD dst_unused:UNUSED_PAD src0_sel:BYTE_3 src1_sel:DWORD
; %bb.650:                              ;   in Loop: Header=BB2_352 Depth=4
	s_or_b64 exec, exec, s[28:29]
	v_cmp_lt_u32_e64 s[28:29], s57, v14
	v_mov_b32_e32 v8, 0
	s_and_saveexec_b64 s[40:41], s[28:29]
	s_cbranch_execz .LBB2_656
; %bb.651:                              ;   in Loop: Header=BB2_352 Depth=4
	v_lshrrev_b32_e32 v2, 24, v14
	v_cmp_ne_u32_e64 s[28:29], s70, v2
	v_bfrev_b32_e32 v8, 1
	s_and_saveexec_b64 s[34:35], s[28:29]
	s_cbranch_execz .LBB2_655
; %bb.652:                              ;   in Loop: Header=BB2_352 Depth=4
	v_bfe_u32 v9, v14, 24, 7
	v_cmp_ne_u32_e64 s[28:29], s71, v9
	v_mov_b32_e32 v8, 0x7f800001
	s_and_saveexec_b64 s[36:37], s[28:29]
	s_cbranch_execz .LBB2_654
; %bb.653:                              ;   in Loop: Header=BB2_352 Depth=4
	v_and_b32_e32 v12, 7, v2
	v_ffbh_u32_e32 v8, v12
	v_min_u32_e32 v18, 32, v8
	v_subrev_u32_e32 v8, 28, v18
	v_lshrrev_b32_e32 v13, 3, v9
	v_cmp_gt_u32_e64 s[28:29], 8, v9
	v_lshlrev_b64 v[8:9], v8, v[2:3]
	v_sub_u32_e32 v9, 29, v18
	v_and_b32_e32 v8, 7, v8
	v_cndmask_b32_e64 v9, v13, v9, s[28:29]
	v_cndmask_b32_e64 v8, v12, v8, s[28:29]
	v_lshlrev_b32_e32 v2, 24, v2
	v_lshlrev_b32_e32 v8, 20, v8
	v_and_b32_e32 v2, 0x80000000, v2
	v_lshl_add_u32 v9, v9, 23, v49
	v_or3_b32 v8, v2, v9, v8
.LBB2_654:                              ;   in Loop: Header=BB2_352 Depth=4
	s_or_b64 exec, exec, s[36:37]
.LBB2_655:                              ;   in Loop: Header=BB2_352 Depth=4
	s_or_b64 exec, exec, s[34:35]
.LBB2_656:                              ;   in Loop: Header=BB2_352 Depth=4
	s_or_b64 exec, exec, s[40:41]
	v_bfe_u32 v9, v10, 24, 3
	v_ffbh_u32_e32 v12, v9
	v_min_u32_e32 v24, 32, v12
	v_lshrrev_b32_e32 v2, 24, v10
	v_subrev_u32_e32 v12, 28, v24
	v_lshlrev_b64 v[12:13], v12, v[2:3]
	v_bfe_u32 v18, v10, 24, 7
	v_bfe_u32 v19, v2, 3, 4
	v_sub_u32_e32 v13, 29, v24
	v_and_b32_e32 v12, 7, v12
	v_cmp_gt_u32_e64 s[28:29], 8, v18
	v_cndmask_b32_e64 v13, v19, v13, s[28:29]
	v_cndmask_b32_e64 v9, v9, v12, s[28:29]
	v_lshlrev_b32_e32 v9, 20, v9
	v_and_b32_e32 v12, 0x80000000, v10
	v_lshl_add_u32 v13, v13, 23, v49
	v_or3_b32 v9, v12, v13, v9
	v_cmp_ne_u32_e64 s[28:29], s71, v18
	v_cndmask_b32_e64 v9, v5, v9, s[28:29]
	v_cmp_ne_u32_e64 s[28:29], s70, v2
	v_cndmask_b32_e64 v2, v35, v9, s[28:29]
	v_cmp_lt_u32_e64 s[28:29], s57, v10
	v_cndmask_b32_e64 v2, 0, v2, s[28:29]
	v_mul_f32_e32 v8, v2, v8
	v_and_b32_e32 v2, 0x7f800000, v8
	v_cmp_ne_u64_e64 s[28:29], s[62:63], v[2:3]
                                        ; implicit-def: $vgpr26
	s_and_saveexec_b64 s[40:41], s[28:29]
	s_xor_b64 s[34:35], exec, s[40:41]
	s_cbranch_execz .LBB2_670
; %bb.657:                              ;   in Loop: Header=BB2_352 Depth=4
	v_and_b32_e32 v2, 0x7fffffff, v8
	v_cmp_gt_u64_e64 s[28:29], s[72:73], v[2:3]
	v_and_b32_sdwa v18, v8, s70 dst_sel:DWORD dst_unused:UNUSED_PAD src0_sel:BYTE_3 src1_sel:DWORD
                                        ; implicit-def: $vgpr26
	s_and_saveexec_b64 s[40:41], s[28:29]
	s_xor_b64 s[36:37], exec, s[40:41]
	s_cbranch_execz .LBB2_667
; %bb.658:                              ;   in Loop: Header=BB2_352 Depth=4
	v_mov_b32_e32 v26, 0
	v_cmp_ne_u32_e64 s[28:29], 0, v8
	s_and_saveexec_b64 s[38:39], s[28:29]
	s_cbranch_execz .LBB2_666
; %bb.659:                              ;   in Loop: Header=BB2_352 Depth=4
	v_bfe_u32 v19, v8, 23, 8
	v_and_b32_e32 v2, 0x7fffff, v8
	v_cmp_gt_u32_e64 s[40:41], s80, v19
	v_sub_u32_e32 v8, 0x79, v19
	v_cmp_eq_u32_e64 s[28:29], 0, v19
	v_cndmask_b32_e64 v8, 0, v8, s[40:41]
	v_cndmask_b32_e64 v24, v8, v1, s[28:29]
	v_or_b32_e32 v9, 0x800000, v2
	v_add_u32_e32 v8, 20, v24
	v_cndmask_b32_e64 v2, v9, v2, s[28:29]
	v_lshlrev_b64 v[8:9], v8, -1
	v_add_u32_e32 v12, 19, v24
	v_lshlrev_b64 v[12:13], v12, 1
	v_bfi_b32 v9, v9, 0, 0
	v_bfi_b32 v8, v8, 0, v2
	v_cmp_eq_u64_e64 s[40:41], v[8:9], v[12:13]
	v_lshrrev_b64 v[8:9], v24, v[2:3]
	v_mov_b32_e32 v13, v9
	v_mov_b32_e32 v12, v8
	s_and_saveexec_b64 s[48:49], s[40:41]
; %bb.660:                              ;   in Loop: Header=BB2_352 Depth=4
	v_bfe_u32 v2, v8, 20, 1
	v_add_co_u32_e64 v2, s[40:41], v8, v2
	v_add_co_u32_e64 v12, s[40:41], -1, v2
; %bb.661:                              ;   in Loop: Header=BB2_352 Depth=4
	s_or_b64 exec, exec, s[48:49]
	v_add_u32_e32 v2, 0xffffff81, v19
	v_cndmask_b32_e64 v2, v2, v0, s[28:29]
	v_lshrrev_b32_e32 v9, 23, v8
	v_add3_u32 v19, v24, v2, v9
	v_add_u32_e32 v13, 6, v19
	v_and_b32_e32 v2, 0xfffff, v12
	v_add_u32_e32 v2, v2, v8
	v_cmp_ne_u32_e64 s[28:29], 0, v13
                                        ; implicit-def: $vgpr8_vgpr9
                                        ; implicit-def: $vgpr12
	s_and_saveexec_b64 s[40:41], s[28:29]
	s_xor_b64 s[40:41], exec, s[40:41]
; %bb.662:                              ;   in Loop: Header=BB2_352 Depth=4
	v_cmp_lt_u64_e64 s[28:29], s[88:89], v[2:3]
	v_add_u32_e32 v8, 7, v19
	v_cndmask_b32_e64 v12, v13, v8, s[28:29]
	v_cndmask_b32_e64 v8, 0, 1, s[28:29]
	v_lshrrev_b64 v[8:9], v8, v[2:3]
; %bb.663:                              ;   in Loop: Header=BB2_352 Depth=4
	s_andn2_saveexec_b64 s[28:29], s[40:41]
; %bb.664:                              ;   in Loop: Header=BB2_352 Depth=4
	v_mov_b32_e32 v9, v3
	v_bfe_u32 v12, v2, 23, 1
	v_mov_b32_e32 v8, v2
; %bb.665:                              ;   in Loop: Header=BB2_352 Depth=4
	s_or_b64 exec, exec, s[28:29]
	v_lshrrev_b64 v[8:9], 20, v[8:9]
	v_cmp_gt_i32_e64 s[28:29], 16, v12
	v_cndmask_b32_e64 v9, 0, v9, s[28:29]
	v_cndmask_b32_e64 v8, 7, v8, s[28:29]
	v_min_i32_e32 v2, 15, v12
	v_cmp_eq_u64_e64 s[40:41], 0, v[8:9]
	v_lshlrev_b32_e32 v2, 3, v2
	v_cmp_eq_u32_e64 s[28:29], 0, v12
	v_and_b32_e32 v2, 0xf8, v2
	v_and_or_b32 v2, v8, 7, v2
	s_and_b64 s[28:29], s[28:29], s[40:41]
	v_cndmask_b32_e64 v2, v2, 0, s[28:29]
	v_or_b32_e32 v26, v2, v18
.LBB2_666:                              ;   in Loop: Header=BB2_352 Depth=4
	s_or_b64 exec, exec, s[38:39]
                                        ; implicit-def: $vgpr18
.LBB2_667:                              ;   in Loop: Header=BB2_352 Depth=4
	s_andn2_saveexec_b64 s[28:29], s[36:37]
; %bb.668:                              ;   in Loop: Header=BB2_352 Depth=4
	v_or_b32_e32 v26, 0x7e, v18
; %bb.669:                              ;   in Loop: Header=BB2_352 Depth=4
	s_or_b64 exec, exec, s[28:29]
                                        ; implicit-def: $vgpr8
.LBB2_670:                              ;   in Loop: Header=BB2_352 Depth=4
	s_andn2_saveexec_b64 s[28:29], s[34:35]
; %bb.671:                              ;   in Loop: Header=BB2_352 Depth=4
	v_or_b32_sdwa v26, v8, s71 dst_sel:DWORD dst_unused:UNUSED_PAD src0_sel:BYTE_3 src1_sel:DWORD
; %bb.672:                              ;   in Loop: Header=BB2_352 Depth=4
	s_or_b64 exec, exec, s[28:29]
	v_mov_b32_e32 v2, v15
	v_cmp_ne_u16_sdwa s[28:29], v15, v3 src0_sel:BYTE_0 src1_sel:DWORD
	v_mov_b32_e32 v12, 0
	s_and_saveexec_b64 s[40:41], s[28:29]
	s_cbranch_execz .LBB2_678
; %bb.673:                              ;   in Loop: Header=BB2_352 Depth=4
	v_cmp_ne_u16_sdwa s[28:29], v15, s70 src0_sel:BYTE_0 src1_sel:DWORD
	v_bfrev_b32_e32 v12, 1
	s_and_saveexec_b64 s[34:35], s[28:29]
	s_cbranch_execz .LBB2_677
; %bb.674:                              ;   in Loop: Header=BB2_352 Depth=4
	v_and_b32_e32 v8, 0x7f, v15
	v_cmp_ne_u32_e64 s[28:29], s71, v8
	v_mov_b32_e32 v12, 0x7f800001
	s_and_saveexec_b64 s[36:37], s[28:29]
	s_cbranch_execz .LBB2_676
; %bb.675:                              ;   in Loop: Header=BB2_352 Depth=4
	v_and_b32_e32 v9, 7, v15
	v_lshrrev_b32_e32 v12, 3, v8
	v_cmp_gt_u32_e64 s[28:29], 8, v8
	v_ffbh_u32_e32 v8, v9
	v_min_u32_e32 v8, 32, v8
	v_subrev_u32_e32 v9, 28, v8
	v_sub_u32_e32 v8, 29, v8
	v_cndmask_b32_e64 v12, v12, v8, s[28:29]
	v_cndmask_b32_e64 v8, 0, v9, s[28:29]
	v_lshlrev_b64 v[8:9], v8, v[2:3]
	v_lshlrev_b32_e32 v9, 24, v2
	v_lshlrev_b32_e32 v8, 20, v8
	v_and_b32_e32 v8, 0x700000, v8
	v_and_b32_e32 v9, 0x80000000, v9
	v_lshl_add_u32 v12, v12, 23, v49
	v_or3_b32 v12, v9, v12, v8
.LBB2_676:                              ;   in Loop: Header=BB2_352 Depth=4
	s_or_b64 exec, exec, s[36:37]
.LBB2_677:                              ;   in Loop: Header=BB2_352 Depth=4
	s_or_b64 exec, exec, s[34:35]
.LBB2_678:                              ;   in Loop: Header=BB2_352 Depth=4
	s_or_b64 exec, exec, s[40:41]
	v_cmp_gt_i16_sdwa s[40:41], v11, s71 src0_sel:BYTE_0 src1_sel:DWORD
	s_mov_b64 s[28:29], 0
	s_and_saveexec_b64 s[44:45], s[40:41]
	s_xor_b64 s[40:41], exec, s[44:45]
	s_cbranch_execz .LBB2_682
; %bb.679:                              ;   in Loop: Header=BB2_352 Depth=4
	v_cmp_eq_u16_sdwa s[44:45], v11, s70 src0_sel:BYTE_0 src1_sel:DWORD
	s_mov_b64 s[28:29], -1
	s_and_saveexec_b64 s[34:35], s[44:45]
; %bb.680:                              ;   in Loop: Header=BB2_352 Depth=4
	s_xor_b64 s[28:29], exec, -1
; %bb.681:                              ;   in Loop: Header=BB2_352 Depth=4
	s_or_b64 exec, exec, s[34:35]
	s_and_b64 s[28:29], s[28:29], exec
.LBB2_682:                              ;   in Loop: Header=BB2_352 Depth=4
	s_or_saveexec_b64 s[40:41], s[40:41]
	v_bfrev_b32_e32 v13, 1
	s_xor_b64 exec, exec, s[40:41]
; %bb.683:                              ;   in Loop: Header=BB2_352 Depth=4
	v_cmp_ne_u16_sdwa s[44:45], v11, v3 src0_sel:BYTE_0 src1_sel:DWORD
	s_andn2_b64 s[28:29], s[28:29], exec
	s_and_b64 s[44:45], s[44:45], exec
	v_mov_b32_e32 v13, 0
	s_or_b64 s[28:29], s[28:29], s[44:45]
; %bb.684:                              ;   in Loop: Header=BB2_352 Depth=4
	s_or_b64 exec, exec, s[40:41]
	v_mov_b32_e32 v8, v11
	v_mov_b32_e32 v9, v3
	s_and_saveexec_b64 s[40:41], s[28:29]
	s_cbranch_execz .LBB2_686
; %bb.685:                              ;   in Loop: Header=BB2_352 Depth=4
	v_and_b32_e32 v13, 7, v11
	v_ffbh_u32_e32 v13, v13
	v_and_b32_e32 v24, 0x7f, v11
	v_min_u32_e32 v13, 32, v13
	v_bfe_u32 v18, v11, 3, 4
	v_subrev_u32_e32 v19, 28, v13
	v_sub_u32_e32 v13, 29, v13
	v_cmp_gt_u32_e64 s[28:29], 8, v24
	v_cndmask_b32_e64 v13, v18, v13, s[28:29]
	v_cndmask_b32_e64 v18, 0, v19, s[28:29]
	v_lshlrev_b64 v[18:19], v18, v[8:9]
	v_lshl_add_u32 v13, v13, 23, v49
	v_lshlrev_b32_e32 v9, 20, v18
	v_lshlrev_b32_e32 v18, 24, v8
	v_and_b32_e32 v9, 0x700000, v9
	v_and_b32_e32 v18, 0x80000000, v18
	v_or3_b32 v9, v18, v13, v9
	v_cmp_ne_u32_e64 s[28:29], s71, v24
	v_cndmask_b32_e64 v13, v5, v9, s[28:29]
.LBB2_686:                              ;   in Loop: Header=BB2_352 Depth=4
	s_or_b64 exec, exec, s[40:41]
	v_mul_f32_e32 v12, v12, v13
	v_and_b32_e32 v18, 0x7f800000, v12
	v_mov_b32_e32 v19, v3
	v_cmp_ne_u64_e64 s[28:29], s[62:63], v[18:19]
                                        ; implicit-def: $vgpr18
	s_and_saveexec_b64 s[40:41], s[28:29]
	s_xor_b64 s[34:35], exec, s[40:41]
	s_cbranch_execz .LBB2_700
; %bb.687:                              ;   in Loop: Header=BB2_352 Depth=4
	v_and_b32_e32 v18, 0x7fffffff, v12
	v_mov_b32_e32 v19, v3
	v_cmp_gt_u64_e64 s[28:29], s[72:73], v[18:19]
	v_and_b32_sdwa v9, v12, s70 dst_sel:DWORD dst_unused:UNUSED_PAD src0_sel:BYTE_3 src1_sel:DWORD
                                        ; implicit-def: $vgpr18
	s_and_saveexec_b64 s[40:41], s[28:29]
	s_xor_b64 s[36:37], exec, s[40:41]
	s_cbranch_execz .LBB2_697
; %bb.688:                              ;   in Loop: Header=BB2_352 Depth=4
	v_mov_b32_e32 v18, 0
	v_cmp_ne_u32_e64 s[28:29], 0, v12
	s_and_saveexec_b64 s[38:39], s[28:29]
	s_cbranch_execz .LBB2_696
; %bb.689:                              ;   in Loop: Header=BB2_352 Depth=4
	v_bfe_u32 v24, v12, 23, 8
	v_and_b32_e32 v13, 0x7fffff, v12
	v_cmp_gt_u32_e64 s[40:41], s80, v24
	v_sub_u32_e32 v12, 0x79, v24
	v_cmp_eq_u32_e64 s[28:29], 0, v24
	v_cndmask_b32_e64 v12, 0, v12, s[40:41]
	v_or_b32_e32 v18, 0x800000, v13
	v_cndmask_b32_e64 v25, v12, v1, s[28:29]
	v_cndmask_b32_e64 v12, v18, v13, s[28:29]
	v_add_u32_e32 v18, 20, v25
	v_lshlrev_b64 v[18:19], v18, -1
	v_mov_b32_e32 v13, v3
	v_add_u32_e32 v36, 19, v25
	v_bfi_b32 v18, v18, 0, v12
	v_lshlrev_b64 v[40:41], v36, 1
	v_lshrrev_b64 v[12:13], v25, v[12:13]
	v_bfi_b32 v19, v19, 0, 0
	v_cmp_eq_u64_e64 s[40:41], v[18:19], v[40:41]
	v_mov_b32_e32 v19, v13
	v_mov_b32_e32 v18, v12
	s_and_saveexec_b64 s[48:49], s[40:41]
; %bb.690:                              ;   in Loop: Header=BB2_352 Depth=4
	v_bfe_u32 v13, v12, 20, 1
	v_add_co_u32_e64 v13, s[40:41], v12, v13
	v_add_co_u32_e64 v18, s[40:41], -1, v13
; %bb.691:                              ;   in Loop: Header=BB2_352 Depth=4
	s_or_b64 exec, exec, s[48:49]
	v_add_u32_e32 v13, 0xffffff81, v24
	v_cndmask_b32_e64 v13, v13, v0, s[28:29]
	v_lshrrev_b32_e32 v19, 23, v12
	v_add3_u32 v24, v25, v13, v19
	v_add_u32_e32 v19, 6, v24
	v_and_b32_e32 v13, 0xfffff, v18
	v_add_u32_e32 v12, v13, v12
	v_mov_b32_e32 v13, v3
	v_cmp_ne_u32_e64 s[28:29], 0, v19
                                        ; implicit-def: $vgpr18
	s_and_saveexec_b64 s[40:41], s[28:29]
	s_xor_b64 s[40:41], exec, s[40:41]
; %bb.692:                              ;   in Loop: Header=BB2_352 Depth=4
	v_cmp_lt_u64_e64 s[28:29], s[88:89], v[12:13]
	v_add_u32_e32 v18, 7, v24
	v_cndmask_b32_e64 v18, v19, v18, s[28:29]
	v_cndmask_b32_e64 v19, 0, 1, s[28:29]
	v_lshrrev_b64 v[12:13], v19, v[12:13]
; %bb.693:                              ;   in Loop: Header=BB2_352 Depth=4
	s_andn2_saveexec_b64 s[28:29], s[40:41]
; %bb.694:                              ;   in Loop: Header=BB2_352 Depth=4
	v_bfe_u32 v18, v12, 23, 1
; %bb.695:                              ;   in Loop: Header=BB2_352 Depth=4
	s_or_b64 exec, exec, s[28:29]
	v_lshrrev_b64 v[12:13], 20, v[12:13]
	v_cmp_gt_i32_e64 s[28:29], 16, v18
	v_cndmask_b32_e64 v13, 0, v13, s[28:29]
	v_cndmask_b32_e64 v12, 7, v12, s[28:29]
	v_cmp_eq_u64_e64 s[40:41], 0, v[12:13]
	v_min_i32_e32 v13, 15, v18
	v_lshlrev_b32_e32 v13, 3, v13
	v_cmp_eq_u32_e64 s[28:29], 0, v18
	v_and_b32_e32 v13, 0xf8, v13
	v_and_or_b32 v12, v12, 7, v13
	s_and_b64 s[28:29], s[28:29], s[40:41]
	v_cndmask_b32_e64 v12, v12, 0, s[28:29]
	v_or_b32_e32 v18, v12, v9
.LBB2_696:                              ;   in Loop: Header=BB2_352 Depth=4
	s_or_b64 exec, exec, s[38:39]
                                        ; implicit-def: $vgpr9
.LBB2_697:                              ;   in Loop: Header=BB2_352 Depth=4
	s_andn2_saveexec_b64 s[28:29], s[36:37]
; %bb.698:                              ;   in Loop: Header=BB2_352 Depth=4
	v_or_b32_e32 v18, 0x7e, v9
; %bb.699:                              ;   in Loop: Header=BB2_352 Depth=4
	s_or_b64 exec, exec, s[28:29]
                                        ; implicit-def: $vgpr12
.LBB2_700:                              ;   in Loop: Header=BB2_352 Depth=4
	s_andn2_saveexec_b64 s[28:29], s[34:35]
; %bb.701:                              ;   in Loop: Header=BB2_352 Depth=4
	v_or_b32_sdwa v18, v12, s71 dst_sel:DWORD dst_unused:UNUSED_PAD src0_sel:BYTE_3 src1_sel:DWORD
; %bb.702:                              ;   in Loop: Header=BB2_352 Depth=4
	s_or_b64 exec, exec, s[28:29]
	v_lshrrev_b16_e32 v9, 8, v2
	v_cmp_ne_u16_e64 s[28:29], 0, v9
	v_mov_b32_e32 v12, 0
	s_and_saveexec_b64 s[40:41], s[28:29]
	s_cbranch_execz .LBB2_708
; %bb.703:                              ;   in Loop: Header=BB2_352 Depth=4
	v_cmp_ne_u16_e64 s[28:29], s70, v9
	v_bfrev_b32_e32 v12, 1
	s_and_saveexec_b64 s[34:35], s[28:29]
	s_cbranch_execz .LBB2_707
; %bb.704:                              ;   in Loop: Header=BB2_352 Depth=4
	v_and_b32_e32 v13, 0x7f, v9
	v_cmp_ne_u32_e64 s[28:29], s71, v13
	v_mov_b32_e32 v12, 0x7f800001
	s_and_saveexec_b64 s[36:37], s[28:29]
	s_cbranch_execz .LBB2_706
; %bb.705:                              ;   in Loop: Header=BB2_352 Depth=4
	v_and_b32_e32 v19, 7, v9
	v_ffbh_u32_e32 v12, v19
	v_min_u32_e32 v25, 32, v12
	v_subrev_u32_e32 v12, 28, v25
	v_lshrrev_b32_e32 v24, 3, v13
	v_cmp_gt_u32_e64 s[28:29], 8, v13
	v_lshlrev_b64 v[12:13], v12, v[9:10]
	v_sub_u32_e32 v9, 29, v25
	v_and_b32_e32 v12, 7, v12
	v_cndmask_b32_e64 v9, v24, v9, s[28:29]
	v_cndmask_b32_e64 v12, v19, v12, s[28:29]
	v_lshlrev_b32_e32 v2, 16, v2
	v_lshlrev_b32_e32 v12, 20, v12
	v_and_b32_e32 v2, 0x80000000, v2
	v_lshl_add_u32 v9, v9, 23, v49
	v_or3_b32 v12, v2, v9, v12
.LBB2_706:                              ;   in Loop: Header=BB2_352 Depth=4
	s_or_b64 exec, exec, s[36:37]
.LBB2_707:                              ;   in Loop: Header=BB2_352 Depth=4
	s_or_b64 exec, exec, s[34:35]
.LBB2_708:                              ;   in Loop: Header=BB2_352 Depth=4
	s_or_b64 exec, exec, s[40:41]
	v_lshrrev_b16_e32 v2, 8, v8
	v_cmp_lt_i16_e64 s[28:29], s71, v2
	s_mov_b64 s[40:41], 0
	s_and_saveexec_b64 s[44:45], s[28:29]
	s_xor_b64 s[34:35], exec, s[44:45]
	s_cbranch_execz .LBB2_796
; %bb.709:                              ;   in Loop: Header=BB2_352 Depth=4
	v_cmp_eq_u16_e64 s[28:29], s70, v2
	s_mov_b64 s[40:41], -1
	s_and_saveexec_b64 s[36:37], s[28:29]
; %bb.710:                              ;   in Loop: Header=BB2_352 Depth=4
	s_xor_b64 s[40:41], exec, -1
; %bb.711:                              ;   in Loop: Header=BB2_352 Depth=4
	s_or_b64 exec, exec, s[36:37]
	s_and_b64 s[40:41], s[40:41], exec
	s_or_saveexec_b64 s[34:35], s[34:35]
	v_bfrev_b32_e32 v8, 1
	s_xor_b64 exec, exec, s[34:35]
	s_cbranch_execnz .LBB2_797
.LBB2_712:                              ;   in Loop: Header=BB2_352 Depth=4
	s_or_b64 exec, exec, s[34:35]
	s_and_saveexec_b64 s[34:35], s[40:41]
	s_cbranch_execz .LBB2_714
.LBB2_713:                              ;   in Loop: Header=BB2_352 Depth=4
	v_and_b32_e32 v13, 7, v2
	v_ffbh_u32_e32 v8, v13
	v_min_u32_e32 v25, 32, v8
	v_subrev_u32_e32 v8, 28, v25
	v_lshlrev_b64 v[8:9], v8, v[2:3]
	v_and_b32_e32 v19, 0x7f, v2
	v_bfe_u32 v24, v2, 3, 4
	v_sub_u32_e32 v9, 29, v25
	v_and_b32_e32 v8, 7, v8
	v_cmp_gt_u32_e64 s[28:29], 8, v19
	v_cndmask_b32_e64 v9, v24, v9, s[28:29]
	v_cndmask_b32_e64 v8, v13, v8, s[28:29]
	v_lshlrev_b32_e32 v2, 24, v2
	v_lshlrev_b32_e32 v8, 20, v8
	v_and_b32_e32 v2, 0x80000000, v2
	v_lshl_add_u32 v9, v9, 23, v49
	v_or3_b32 v2, v2, v9, v8
	v_cmp_ne_u32_e64 s[28:29], s71, v19
	v_cndmask_b32_e64 v8, v5, v2, s[28:29]
.LBB2_714:                              ;   in Loop: Header=BB2_352 Depth=4
	s_or_b64 exec, exec, s[34:35]
	v_mul_f32_e32 v8, v12, v8
	v_and_b32_e32 v2, 0x7f800000, v8
	v_cmp_ne_u64_e64 s[28:29], s[62:63], v[2:3]
                                        ; implicit-def: $vgpr19
	s_and_saveexec_b64 s[40:41], s[28:29]
	s_xor_b64 s[34:35], exec, s[40:41]
	s_cbranch_execz .LBB2_728
; %bb.715:                              ;   in Loop: Header=BB2_352 Depth=4
	v_and_b32_e32 v2, 0x7fffffff, v8
	v_cmp_gt_u64_e64 s[28:29], s[72:73], v[2:3]
	v_and_b32_sdwa v24, v8, s70 dst_sel:DWORD dst_unused:UNUSED_PAD src0_sel:BYTE_3 src1_sel:DWORD
                                        ; implicit-def: $vgpr19
	s_and_saveexec_b64 s[40:41], s[28:29]
	s_xor_b64 s[36:37], exec, s[40:41]
	s_cbranch_execz .LBB2_725
; %bb.716:                              ;   in Loop: Header=BB2_352 Depth=4
	v_mov_b32_e32 v19, 0
	v_cmp_ne_u32_e64 s[28:29], 0, v8
	s_and_saveexec_b64 s[38:39], s[28:29]
	s_cbranch_execz .LBB2_724
; %bb.717:                              ;   in Loop: Header=BB2_352 Depth=4
	v_bfe_u32 v19, v8, 23, 8
	v_and_b32_e32 v2, 0x7fffff, v8
	v_cmp_gt_u32_e64 s[40:41], s80, v19
	v_sub_u32_e32 v8, 0x79, v19
	v_cmp_eq_u32_e64 s[28:29], 0, v19
	v_cndmask_b32_e64 v8, 0, v8, s[40:41]
	v_cndmask_b32_e64 v25, v8, v1, s[28:29]
	v_or_b32_e32 v9, 0x800000, v2
	v_add_u32_e32 v8, 20, v25
	v_cndmask_b32_e64 v2, v9, v2, s[28:29]
	v_lshlrev_b64 v[8:9], v8, -1
	v_add_u32_e32 v12, 19, v25
	v_lshlrev_b64 v[12:13], v12, 1
	v_bfi_b32 v9, v9, 0, 0
	v_bfi_b32 v8, v8, 0, v2
	v_cmp_eq_u64_e64 s[40:41], v[8:9], v[12:13]
	v_lshrrev_b64 v[8:9], v25, v[2:3]
	v_mov_b32_e32 v13, v9
	v_mov_b32_e32 v12, v8
	s_and_saveexec_b64 s[48:49], s[40:41]
; %bb.718:                              ;   in Loop: Header=BB2_352 Depth=4
	v_bfe_u32 v2, v8, 20, 1
	v_add_co_u32_e64 v2, s[40:41], v8, v2
	v_add_co_u32_e64 v12, s[40:41], -1, v2
; %bb.719:                              ;   in Loop: Header=BB2_352 Depth=4
	s_or_b64 exec, exec, s[48:49]
	v_add_u32_e32 v2, 0xffffff81, v19
	v_cndmask_b32_e64 v2, v2, v0, s[28:29]
	v_lshrrev_b32_e32 v9, 23, v8
	v_add3_u32 v19, v25, v2, v9
	v_add_u32_e32 v13, 6, v19
	v_and_b32_e32 v2, 0xfffff, v12
	v_add_u32_e32 v2, v2, v8
	v_cmp_ne_u32_e64 s[28:29], 0, v13
                                        ; implicit-def: $vgpr8_vgpr9
                                        ; implicit-def: $vgpr12
	s_and_saveexec_b64 s[40:41], s[28:29]
	s_xor_b64 s[40:41], exec, s[40:41]
; %bb.720:                              ;   in Loop: Header=BB2_352 Depth=4
	v_cmp_lt_u64_e64 s[28:29], s[88:89], v[2:3]
	v_add_u32_e32 v8, 7, v19
	v_cndmask_b32_e64 v12, v13, v8, s[28:29]
	v_cndmask_b32_e64 v8, 0, 1, s[28:29]
	v_lshrrev_b64 v[8:9], v8, v[2:3]
; %bb.721:                              ;   in Loop: Header=BB2_352 Depth=4
	s_andn2_saveexec_b64 s[28:29], s[40:41]
; %bb.722:                              ;   in Loop: Header=BB2_352 Depth=4
	v_mov_b32_e32 v9, v3
	v_bfe_u32 v12, v2, 23, 1
	v_mov_b32_e32 v8, v2
; %bb.723:                              ;   in Loop: Header=BB2_352 Depth=4
	s_or_b64 exec, exec, s[28:29]
	v_lshrrev_b64 v[8:9], 20, v[8:9]
	v_cmp_gt_i32_e64 s[28:29], 16, v12
	v_cndmask_b32_e64 v9, 0, v9, s[28:29]
	v_cndmask_b32_e64 v8, 7, v8, s[28:29]
	v_min_i32_e32 v2, 15, v12
	v_cmp_eq_u64_e64 s[40:41], 0, v[8:9]
	v_lshlrev_b32_e32 v2, 3, v2
	v_cmp_eq_u32_e64 s[28:29], 0, v12
	v_and_b32_e32 v2, 0xf8, v2
	v_and_or_b32 v2, v8, 7, v2
	s_and_b64 s[28:29], s[28:29], s[40:41]
	v_cndmask_b32_e64 v2, v2, 0, s[28:29]
	v_or_b32_e32 v19, v2, v24
.LBB2_724:                              ;   in Loop: Header=BB2_352 Depth=4
	s_or_b64 exec, exec, s[38:39]
                                        ; implicit-def: $vgpr24
.LBB2_725:                              ;   in Loop: Header=BB2_352 Depth=4
	s_andn2_saveexec_b64 s[28:29], s[36:37]
; %bb.726:                              ;   in Loop: Header=BB2_352 Depth=4
	v_or_b32_e32 v19, 0x7e, v24
; %bb.727:                              ;   in Loop: Header=BB2_352 Depth=4
	s_or_b64 exec, exec, s[28:29]
                                        ; implicit-def: $vgpr8
.LBB2_728:                              ;   in Loop: Header=BB2_352 Depth=4
	s_andn2_saveexec_b64 s[28:29], s[34:35]
; %bb.729:                              ;   in Loop: Header=BB2_352 Depth=4
	v_or_b32_sdwa v19, v8, s71 dst_sel:DWORD dst_unused:UNUSED_PAD src0_sel:BYTE_3 src1_sel:DWORD
; %bb.730:                              ;   in Loop: Header=BB2_352 Depth=4
	s_or_b64 exec, exec, s[28:29]
	v_lshrrev_b32_e32 v2, 16, v15
	v_cmp_ne_u16_sdwa s[28:29], v2, v3 src0_sel:BYTE_0 src1_sel:DWORD
	v_mov_b32_e32 v8, 0
	s_and_saveexec_b64 s[40:41], s[28:29]
	s_cbranch_execz .LBB2_736
; %bb.731:                              ;   in Loop: Header=BB2_352 Depth=4
	v_cmp_ne_u16_sdwa s[28:29], v2, s70 src0_sel:BYTE_0 src1_sel:DWORD
	v_bfrev_b32_e32 v8, 1
	s_and_saveexec_b64 s[34:35], s[28:29]
	s_cbranch_execz .LBB2_735
; %bb.732:                              ;   in Loop: Header=BB2_352 Depth=4
	v_bfe_u32 v9, v15, 16, 7
	v_cmp_ne_u32_e64 s[28:29], s71, v9
	v_mov_b32_e32 v8, 0x7f800001
	s_and_saveexec_b64 s[36:37], s[28:29]
	s_cbranch_execz .LBB2_734
; %bb.733:                              ;   in Loop: Header=BB2_352 Depth=4
	v_and_b32_e32 v12, 7, v2
	v_ffbh_u32_e32 v8, v12
	v_min_u32_e32 v24, 32, v8
	v_subrev_u32_e32 v8, 28, v24
	v_lshrrev_b32_e32 v13, 3, v9
	v_cmp_gt_u32_e64 s[28:29], 8, v9
	v_lshlrev_b64 v[8:9], v8, v[2:3]
	v_sub_u32_e32 v9, 29, v24
	v_and_b32_e32 v8, 7, v8
	v_cndmask_b32_e64 v9, v13, v9, s[28:29]
	v_cndmask_b32_e64 v8, v12, v8, s[28:29]
	v_lshlrev_b32_e32 v2, 24, v2
	v_lshlrev_b32_e32 v8, 20, v8
	v_and_b32_e32 v2, 0x80000000, v2
	v_lshl_add_u32 v9, v9, 23, v49
	v_or3_b32 v8, v2, v9, v8
.LBB2_734:                              ;   in Loop: Header=BB2_352 Depth=4
	s_or_b64 exec, exec, s[36:37]
.LBB2_735:                              ;   in Loop: Header=BB2_352 Depth=4
	s_or_b64 exec, exec, s[34:35]
.LBB2_736:                              ;   in Loop: Header=BB2_352 Depth=4
	s_or_b64 exec, exec, s[40:41]
	v_lshrrev_b32_e32 v2, 16, v11
	v_cmp_gt_i16_sdwa s[40:41], v2, s71 src0_sel:BYTE_0 src1_sel:DWORD
	s_mov_b64 s[28:29], 0
	s_and_saveexec_b64 s[44:45], s[40:41]
	s_xor_b64 s[40:41], exec, s[44:45]
	s_cbranch_execz .LBB2_798
; %bb.737:                              ;   in Loop: Header=BB2_352 Depth=4
	v_cmp_eq_u16_sdwa s[44:45], v2, s70 src0_sel:BYTE_0 src1_sel:DWORD
	s_mov_b64 s[28:29], -1
	s_and_saveexec_b64 s[34:35], s[44:45]
; %bb.738:                              ;   in Loop: Header=BB2_352 Depth=4
	s_xor_b64 s[28:29], exec, -1
; %bb.739:                              ;   in Loop: Header=BB2_352 Depth=4
	s_or_b64 exec, exec, s[34:35]
	s_and_b64 s[28:29], s[28:29], exec
	s_or_saveexec_b64 s[40:41], s[40:41]
	v_bfrev_b32_e32 v9, 1
	s_xor_b64 exec, exec, s[40:41]
	s_cbranch_execnz .LBB2_799
.LBB2_740:                              ;   in Loop: Header=BB2_352 Depth=4
	s_or_b64 exec, exec, s[40:41]
	s_and_saveexec_b64 s[40:41], s[28:29]
	s_cbranch_execz .LBB2_742
.LBB2_741:                              ;   in Loop: Header=BB2_352 Depth=4
	v_and_b32_e32 v9, 7, v2
	v_ffbh_u32_e32 v12, v9
	v_min_u32_e32 v36, 32, v12
	v_subrev_u32_e32 v12, 28, v36
	v_lshlrev_b64 v[12:13], v12, v[2:3]
	v_and_b32_e32 v24, 0x7f, v2
	v_bfe_u32 v25, v2, 3, 4
	v_sub_u32_e32 v13, 29, v36
	v_and_b32_e32 v12, 7, v12
	v_cmp_gt_u32_e64 s[28:29], 8, v24
	v_cndmask_b32_e64 v13, v25, v13, s[28:29]
	v_cndmask_b32_e64 v9, v9, v12, s[28:29]
	v_lshlrev_b32_e32 v2, 24, v2
	v_lshlrev_b32_e32 v9, 20, v9
	v_and_b32_e32 v2, 0x80000000, v2
	v_lshl_add_u32 v12, v13, 23, v49
	v_or3_b32 v2, v2, v12, v9
	v_cmp_ne_u32_e64 s[28:29], s71, v24
	v_cndmask_b32_e64 v9, v5, v2, s[28:29]
.LBB2_742:                              ;   in Loop: Header=BB2_352 Depth=4
	s_or_b64 exec, exec, s[40:41]
	v_mul_f32_e32 v8, v8, v9
	v_and_b32_e32 v2, 0x7f800000, v8
	v_cmp_ne_u64_e64 s[28:29], s[62:63], v[2:3]
                                        ; implicit-def: $vgpr12
	s_and_saveexec_b64 s[40:41], s[28:29]
	s_xor_b64 s[34:35], exec, s[40:41]
	s_cbranch_execz .LBB2_756
; %bb.743:                              ;   in Loop: Header=BB2_352 Depth=4
	v_and_b32_e32 v2, 0x7fffffff, v8
	v_cmp_gt_u64_e64 s[28:29], s[72:73], v[2:3]
	v_and_b32_sdwa v24, v8, s70 dst_sel:DWORD dst_unused:UNUSED_PAD src0_sel:BYTE_3 src1_sel:DWORD
                                        ; implicit-def: $vgpr12
	s_and_saveexec_b64 s[40:41], s[28:29]
	s_xor_b64 s[36:37], exec, s[40:41]
	s_cbranch_execz .LBB2_753
; %bb.744:                              ;   in Loop: Header=BB2_352 Depth=4
	v_mov_b32_e32 v12, 0
	v_cmp_ne_u32_e64 s[28:29], 0, v8
	s_and_saveexec_b64 s[38:39], s[28:29]
	s_cbranch_execz .LBB2_752
; %bb.745:                              ;   in Loop: Header=BB2_352 Depth=4
	v_bfe_u32 v25, v8, 23, 8
	v_and_b32_e32 v2, 0x7fffff, v8
	v_cmp_gt_u32_e64 s[40:41], s80, v25
	v_sub_u32_e32 v8, 0x79, v25
	v_cmp_eq_u32_e64 s[28:29], 0, v25
	v_cndmask_b32_e64 v8, 0, v8, s[40:41]
	v_cndmask_b32_e64 v36, v8, v1, s[28:29]
	v_or_b32_e32 v9, 0x800000, v2
	v_add_u32_e32 v8, 20, v36
	v_cndmask_b32_e64 v2, v9, v2, s[28:29]
	v_lshlrev_b64 v[8:9], v8, -1
	v_add_u32_e32 v12, 19, v36
	v_lshlrev_b64 v[12:13], v12, 1
	v_bfi_b32 v9, v9, 0, 0
	v_bfi_b32 v8, v8, 0, v2
	v_cmp_eq_u64_e64 s[40:41], v[8:9], v[12:13]
	v_lshrrev_b64 v[8:9], v36, v[2:3]
	v_mov_b32_e32 v13, v9
	v_mov_b32_e32 v12, v8
	s_and_saveexec_b64 s[48:49], s[40:41]
; %bb.746:                              ;   in Loop: Header=BB2_352 Depth=4
	v_bfe_u32 v2, v8, 20, 1
	v_add_co_u32_e64 v2, s[40:41], v8, v2
	v_add_co_u32_e64 v12, s[40:41], -1, v2
; %bb.747:                              ;   in Loop: Header=BB2_352 Depth=4
	s_or_b64 exec, exec, s[48:49]
	v_add_u32_e32 v2, 0xffffff81, v25
	v_cndmask_b32_e64 v2, v2, v0, s[28:29]
	v_lshrrev_b32_e32 v9, 23, v8
	v_add3_u32 v25, v36, v2, v9
	v_add_u32_e32 v13, 6, v25
	v_and_b32_e32 v2, 0xfffff, v12
	v_add_u32_e32 v2, v2, v8
	v_cmp_ne_u32_e64 s[28:29], 0, v13
                                        ; implicit-def: $vgpr8_vgpr9
                                        ; implicit-def: $vgpr12
	s_and_saveexec_b64 s[40:41], s[28:29]
	s_xor_b64 s[40:41], exec, s[40:41]
; %bb.748:                              ;   in Loop: Header=BB2_352 Depth=4
	v_cmp_lt_u64_e64 s[28:29], s[88:89], v[2:3]
	v_add_u32_e32 v8, 7, v25
	v_cndmask_b32_e64 v12, v13, v8, s[28:29]
	v_cndmask_b32_e64 v8, 0, 1, s[28:29]
	v_lshrrev_b64 v[8:9], v8, v[2:3]
; %bb.749:                              ;   in Loop: Header=BB2_352 Depth=4
	s_andn2_saveexec_b64 s[28:29], s[40:41]
; %bb.750:                              ;   in Loop: Header=BB2_352 Depth=4
	v_mov_b32_e32 v9, v3
	v_bfe_u32 v12, v2, 23, 1
	v_mov_b32_e32 v8, v2
; %bb.751:                              ;   in Loop: Header=BB2_352 Depth=4
	s_or_b64 exec, exec, s[28:29]
	v_lshrrev_b64 v[8:9], 20, v[8:9]
	v_cmp_gt_i32_e64 s[28:29], 16, v12
	v_cndmask_b32_e64 v9, 0, v9, s[28:29]
	v_cndmask_b32_e64 v8, 7, v8, s[28:29]
	v_min_i32_e32 v2, 15, v12
	v_cmp_eq_u64_e64 s[40:41], 0, v[8:9]
	v_lshlrev_b32_e32 v2, 3, v2
	v_cmp_eq_u32_e64 s[28:29], 0, v12
	v_and_b32_e32 v2, 0xf8, v2
	v_and_or_b32 v2, v8, 7, v2
	s_and_b64 s[28:29], s[28:29], s[40:41]
	v_cndmask_b32_e64 v2, v2, 0, s[28:29]
	v_or_b32_e32 v12, v2, v24
.LBB2_752:                              ;   in Loop: Header=BB2_352 Depth=4
	s_or_b64 exec, exec, s[38:39]
                                        ; implicit-def: $vgpr24
.LBB2_753:                              ;   in Loop: Header=BB2_352 Depth=4
	s_andn2_saveexec_b64 s[28:29], s[36:37]
; %bb.754:                              ;   in Loop: Header=BB2_352 Depth=4
	v_or_b32_e32 v12, 0x7e, v24
; %bb.755:                              ;   in Loop: Header=BB2_352 Depth=4
	s_or_b64 exec, exec, s[28:29]
                                        ; implicit-def: $vgpr8
.LBB2_756:                              ;   in Loop: Header=BB2_352 Depth=4
	s_andn2_saveexec_b64 s[28:29], s[34:35]
; %bb.757:                              ;   in Loop: Header=BB2_352 Depth=4
	v_or_b32_sdwa v12, v8, s71 dst_sel:DWORD dst_unused:UNUSED_PAD src0_sel:BYTE_3 src1_sel:DWORD
; %bb.758:                              ;   in Loop: Header=BB2_352 Depth=4
	s_or_b64 exec, exec, s[28:29]
	v_cmp_lt_u64_e64 s[28:29], s[56:57], v[14:15]
	v_mov_b32_e32 v8, 0
	s_and_saveexec_b64 s[40:41], s[28:29]
	s_cbranch_execz .LBB2_764
; %bb.759:                              ;   in Loop: Header=BB2_352 Depth=4
	v_lshrrev_b32_e32 v2, 24, v15
	v_cmp_ne_u32_e64 s[28:29], s70, v2
	v_bfrev_b32_e32 v8, 1
	s_and_saveexec_b64 s[34:35], s[28:29]
	s_cbranch_execz .LBB2_763
; %bb.760:                              ;   in Loop: Header=BB2_352 Depth=4
	v_bfe_u32 v9, v15, 24, 7
	v_cmp_ne_u32_e64 s[28:29], s71, v9
	v_mov_b32_e32 v8, 0x7f800001
	s_and_saveexec_b64 s[36:37], s[28:29]
	s_cbranch_execz .LBB2_762
; %bb.761:                              ;   in Loop: Header=BB2_352 Depth=4
	v_and_b32_e32 v13, 7, v2
	v_ffbh_u32_e32 v8, v13
	v_min_u32_e32 v15, 32, v8
	v_subrev_u32_e32 v8, 28, v15
	v_lshrrev_b32_e32 v14, 3, v9
	v_cmp_gt_u32_e64 s[28:29], 8, v9
	v_lshlrev_b64 v[8:9], v8, v[2:3]
	v_sub_u32_e32 v9, 29, v15
	v_and_b32_e32 v8, 7, v8
	v_cndmask_b32_e64 v9, v14, v9, s[28:29]
	v_cndmask_b32_e64 v8, v13, v8, s[28:29]
	v_lshlrev_b32_e32 v2, 24, v2
	v_lshlrev_b32_e32 v8, 20, v8
	v_and_b32_e32 v2, 0x80000000, v2
	v_lshl_add_u32 v9, v9, 23, v49
	v_or3_b32 v8, v2, v9, v8
.LBB2_762:                              ;   in Loop: Header=BB2_352 Depth=4
	s_or_b64 exec, exec, s[36:37]
.LBB2_763:                              ;   in Loop: Header=BB2_352 Depth=4
	s_or_b64 exec, exec, s[34:35]
.LBB2_764:                              ;   in Loop: Header=BB2_352 Depth=4
	s_or_b64 exec, exec, s[40:41]
	v_bfe_u32 v9, v11, 24, 3
	v_ffbh_u32_e32 v13, v9
	v_min_u32_e32 v25, 32, v13
	v_lshrrev_b32_e32 v2, 24, v11
	v_subrev_u32_e32 v13, 28, v25
	v_lshlrev_b64 v[13:14], v13, v[2:3]
	v_bfe_u32 v15, v11, 24, 7
	v_bfe_u32 v24, v2, 3, 4
	v_sub_u32_e32 v14, 29, v25
	v_and_b32_e32 v13, 7, v13
	v_cmp_gt_u32_e64 s[28:29], 8, v15
	v_cndmask_b32_e64 v14, v24, v14, s[28:29]
	v_cndmask_b32_e64 v9, v9, v13, s[28:29]
	v_lshlrev_b32_e32 v9, 20, v9
	v_and_b32_e32 v13, 0x80000000, v11
	v_lshl_add_u32 v14, v14, 23, v49
	v_or3_b32 v9, v13, v14, v9
	v_cmp_ne_u32_e64 s[28:29], s71, v15
	v_cndmask_b32_e64 v9, v5, v9, s[28:29]
	v_cmp_ne_u32_e64 s[28:29], s70, v2
	v_cndmask_b32_e64 v2, v35, v9, s[28:29]
	v_cmp_lt_u64_e64 s[28:29], s[56:57], v[10:11]
	v_cndmask_b32_e64 v2, 0, v2, s[28:29]
	v_mul_f32_e32 v8, v2, v8
	v_and_b32_e32 v2, 0x7f800000, v8
	v_cmp_ne_u64_e64 s[28:29], s[62:63], v[2:3]
                                        ; implicit-def: $vgpr2
	s_and_saveexec_b64 s[40:41], s[28:29]
	s_xor_b64 s[34:35], exec, s[40:41]
	s_cbranch_execz .LBB2_778
; %bb.765:                              ;   in Loop: Header=BB2_352 Depth=4
	v_and_b32_e32 v2, 0x7fffffff, v8
	v_cmp_gt_u64_e64 s[28:29], s[72:73], v[2:3]
	v_and_b32_sdwa v11, v8, s70 dst_sel:DWORD dst_unused:UNUSED_PAD src0_sel:BYTE_3 src1_sel:DWORD
                                        ; implicit-def: $vgpr2
	s_and_saveexec_b64 s[40:41], s[28:29]
	s_xor_b64 s[36:37], exec, s[40:41]
	s_cbranch_execz .LBB2_775
; %bb.766:                              ;   in Loop: Header=BB2_352 Depth=4
	v_mov_b32_e32 v2, 0
	v_cmp_ne_u32_e64 s[28:29], 0, v8
	s_and_saveexec_b64 s[38:39], s[28:29]
	s_cbranch_execz .LBB2_774
; %bb.767:                              ;   in Loop: Header=BB2_352 Depth=4
	v_bfe_u32 v13, v8, 23, 8
	v_and_b32_e32 v2, 0x7fffff, v8
	v_cmp_gt_u32_e64 s[40:41], s80, v13
	v_sub_u32_e32 v8, 0x79, v13
	v_cmp_eq_u32_e64 s[28:29], 0, v13
	v_cndmask_b32_e64 v8, 0, v8, s[40:41]
	v_cndmask_b32_e64 v14, v8, v1, s[28:29]
	v_or_b32_e32 v9, 0x800000, v2
	v_add_u32_e32 v8, 20, v14
	v_cndmask_b32_e64 v2, v9, v2, s[28:29]
	v_lshlrev_b64 v[8:9], v8, -1
	v_add_u32_e32 v10, 19, v14
	v_lshlrev_b64 v[24:25], v10, 1
	v_bfi_b32 v9, v9, 0, 0
	v_bfi_b32 v8, v8, 0, v2
	v_cmp_eq_u64_e64 s[40:41], v[8:9], v[24:25]
	v_lshrrev_b64 v[8:9], v14, v[2:3]
	v_mov_b32_e32 v10, v9
	v_mov_b32_e32 v9, v8
	s_and_saveexec_b64 s[48:49], s[40:41]
; %bb.768:                              ;   in Loop: Header=BB2_352 Depth=4
	v_bfe_u32 v2, v8, 20, 1
	v_add_co_u32_e64 v2, s[40:41], v8, v2
	v_add_co_u32_e64 v9, s[40:41], -1, v2
; %bb.769:                              ;   in Loop: Header=BB2_352 Depth=4
	s_or_b64 exec, exec, s[48:49]
	v_add_u32_e32 v2, 0xffffff81, v13
	v_cndmask_b32_e64 v2, v2, v0, s[28:29]
	v_lshrrev_b32_e32 v10, 23, v8
	v_add3_u32 v14, v14, v2, v10
	v_add_u32_e32 v13, 6, v14
	v_and_b32_e32 v2, 0xfffff, v9
	v_add_u32_e32 v2, v2, v8
	v_cmp_ne_u32_e64 s[28:29], 0, v13
                                        ; implicit-def: $vgpr8_vgpr9
                                        ; implicit-def: $vgpr10
	s_and_saveexec_b64 s[40:41], s[28:29]
	s_xor_b64 s[40:41], exec, s[40:41]
; %bb.770:                              ;   in Loop: Header=BB2_352 Depth=4
	v_cmp_lt_u64_e64 s[28:29], s[88:89], v[2:3]
	v_add_u32_e32 v8, 7, v14
	v_cndmask_b32_e64 v10, v13, v8, s[28:29]
	v_cndmask_b32_e64 v8, 0, 1, s[28:29]
	v_lshrrev_b64 v[8:9], v8, v[2:3]
; %bb.771:                              ;   in Loop: Header=BB2_352 Depth=4
	s_andn2_saveexec_b64 s[28:29], s[40:41]
; %bb.772:                              ;   in Loop: Header=BB2_352 Depth=4
	v_mov_b32_e32 v9, v3
	v_bfe_u32 v10, v2, 23, 1
	v_mov_b32_e32 v8, v2
; %bb.773:                              ;   in Loop: Header=BB2_352 Depth=4
	s_or_b64 exec, exec, s[28:29]
	v_lshrrev_b64 v[8:9], 20, v[8:9]
	v_cmp_gt_i32_e64 s[28:29], 16, v10
	v_cndmask_b32_e64 v9, 0, v9, s[28:29]
	v_cndmask_b32_e64 v8, 7, v8, s[28:29]
	v_min_i32_e32 v2, 15, v10
	v_cmp_eq_u64_e64 s[40:41], 0, v[8:9]
	v_lshlrev_b32_e32 v2, 3, v2
	v_cmp_eq_u32_e64 s[28:29], 0, v10
	v_and_b32_e32 v2, 0xf8, v2
	v_and_or_b32 v2, v8, 7, v2
	s_and_b64 s[28:29], s[28:29], s[40:41]
	v_cndmask_b32_e64 v2, v2, 0, s[28:29]
	v_or_b32_e32 v2, v2, v11
.LBB2_774:                              ;   in Loop: Header=BB2_352 Depth=4
	s_or_b64 exec, exec, s[38:39]
                                        ; implicit-def: $vgpr11
.LBB2_775:                              ;   in Loop: Header=BB2_352 Depth=4
	s_andn2_saveexec_b64 s[28:29], s[36:37]
; %bb.776:                              ;   in Loop: Header=BB2_352 Depth=4
	v_or_b32_e32 v2, 0x7e, v11
; %bb.777:                              ;   in Loop: Header=BB2_352 Depth=4
	s_or_b64 exec, exec, s[28:29]
                                        ; implicit-def: $vgpr8
.LBB2_778:                              ;   in Loop: Header=BB2_352 Depth=4
	s_andn2_saveexec_b64 s[28:29], s[34:35]
	s_cbranch_execz .LBB2_351
; %bb.779:                              ;   in Loop: Header=BB2_352 Depth=4
	v_or_b32_sdwa v2, v8, s71 dst_sel:DWORD dst_unused:UNUSED_PAD src0_sel:BYTE_3 src1_sel:DWORD
	s_branch .LBB2_351
.LBB2_780:                              ;   in Loop: Header=BB2_352 Depth=4
	s_or_saveexec_b64 s[40:41], s[40:41]
	v_bfrev_b32_e32 v6, 1
	s_xor_b64 exec, exec, s[40:41]
	s_cbranch_execz .LBB2_362
.LBB2_781:                              ;   in Loop: Header=BB2_352 Depth=4
	v_cmp_ne_u16_sdwa s[44:45], v8, v3 src0_sel:BYTE_0 src1_sel:DWORD
	s_andn2_b64 s[28:29], s[28:29], exec
	s_and_b64 s[44:45], s[44:45], exec
	v_mov_b32_e32 v6, 0
	s_or_b64 s[28:29], s[28:29], s[44:45]
	s_or_b64 exec, exec, s[40:41]
	s_and_saveexec_b64 s[40:41], s[28:29]
	s_cbranch_execnz .LBB2_363
	s_branch .LBB2_364
.LBB2_782:                              ;   in Loop: Header=BB2_352 Depth=4
	s_or_saveexec_b64 s[34:35], s[34:35]
	v_bfrev_b32_e32 v16, 1
	s_xor_b64 exec, exec, s[34:35]
	s_cbranch_execz .LBB2_390
.LBB2_783:                              ;   in Loop: Header=BB2_352 Depth=4
	v_cmp_ne_u16_e64 s[28:29], 0, v2
	s_andn2_b64 s[40:41], s[40:41], exec
	s_and_b64 s[28:29], s[28:29], exec
	v_mov_b32_e32 v16, 0
	s_or_b64 s[40:41], s[40:41], s[28:29]
	s_or_b64 exec, exec, s[34:35]
	s_and_saveexec_b64 s[34:35], s[40:41]
	s_cbranch_execnz .LBB2_391
	s_branch .LBB2_392
.LBB2_784:                              ;   in Loop: Header=BB2_352 Depth=4
	s_or_saveexec_b64 s[40:41], s[40:41]
	v_bfrev_b32_e32 v16, 1
	s_xor_b64 exec, exec, s[40:41]
	s_cbranch_execz .LBB2_418
.LBB2_785:                              ;   in Loop: Header=BB2_352 Depth=4
	v_cmp_ne_u16_sdwa s[44:45], v2, v3 src0_sel:BYTE_0 src1_sel:DWORD
	s_andn2_b64 s[28:29], s[28:29], exec
	s_and_b64 s[44:45], s[44:45], exec
	v_mov_b32_e32 v16, 0
	s_or_b64 s[28:29], s[28:29], s[44:45]
	s_or_b64 exec, exec, s[40:41]
	s_and_saveexec_b64 s[40:41], s[28:29]
	s_cbranch_execnz .LBB2_419
	s_branch .LBB2_420
.LBB2_786:                              ;   in Loop: Header=BB2_352 Depth=4
	s_or_saveexec_b64 s[34:35], s[34:35]
	v_bfrev_b32_e32 v16, 1
	s_xor_b64 exec, exec, s[34:35]
	s_cbranch_execz .LBB2_498
.LBB2_787:                              ;   in Loop: Header=BB2_352 Depth=4
	v_cmp_ne_u16_e64 s[28:29], 0, v2
	s_andn2_b64 s[40:41], s[40:41], exec
	s_and_b64 s[28:29], s[28:29], exec
	v_mov_b32_e32 v16, 0
	s_or_b64 s[40:41], s[40:41], s[28:29]
	s_or_b64 exec, exec, s[34:35]
	s_and_saveexec_b64 s[34:35], s[40:41]
	s_cbranch_execnz .LBB2_499
	s_branch .LBB2_500
.LBB2_788:                              ;   in Loop: Header=BB2_352 Depth=4
	s_or_saveexec_b64 s[40:41], s[40:41]
	v_bfrev_b32_e32 v16, 1
	s_xor_b64 exec, exec, s[40:41]
	s_cbranch_execz .LBB2_526
.LBB2_789:                              ;   in Loop: Header=BB2_352 Depth=4
	v_cmp_ne_u16_sdwa s[44:45], v2, v3 src0_sel:BYTE_0 src1_sel:DWORD
	s_andn2_b64 s[28:29], s[28:29], exec
	s_and_b64 s[44:45], s[44:45], exec
	v_mov_b32_e32 v16, 0
	s_or_b64 s[28:29], s[28:29], s[44:45]
	s_or_b64 exec, exec, s[40:41]
	s_and_saveexec_b64 s[40:41], s[28:29]
	s_cbranch_execnz .LBB2_527
	s_branch .LBB2_528
.LBB2_790:                              ;   in Loop: Header=BB2_352 Depth=4
	s_or_saveexec_b64 s[40:41], s[40:41]
	v_bfrev_b32_e32 v6, 1
	s_xor_b64 exec, exec, s[40:41]
	s_cbranch_execz .LBB2_576
.LBB2_791:                              ;   in Loop: Header=BB2_352 Depth=4
	v_cmp_ne_u16_sdwa s[44:45], v10, v3 src0_sel:BYTE_0 src1_sel:DWORD
	s_andn2_b64 s[28:29], s[28:29], exec
	s_and_b64 s[44:45], s[44:45], exec
	v_mov_b32_e32 v6, 0
	s_or_b64 s[28:29], s[28:29], s[44:45]
	s_or_b64 exec, exec, s[40:41]
	s_and_saveexec_b64 s[40:41], s[28:29]
	s_cbranch_execnz .LBB2_577
	s_branch .LBB2_578
.LBB2_792:                              ;   in Loop: Header=BB2_352 Depth=4
	s_or_saveexec_b64 s[34:35], s[34:35]
	v_bfrev_b32_e32 v8, 1
	s_xor_b64 exec, exec, s[34:35]
	s_cbranch_execz .LBB2_604
.LBB2_793:                              ;   in Loop: Header=BB2_352 Depth=4
	v_cmp_ne_u16_e64 s[28:29], 0, v2
	s_andn2_b64 s[40:41], s[40:41], exec
	s_and_b64 s[28:29], s[28:29], exec
	v_mov_b32_e32 v8, 0
	s_or_b64 s[40:41], s[40:41], s[28:29]
	s_or_b64 exec, exec, s[34:35]
	s_and_saveexec_b64 s[34:35], s[40:41]
	s_cbranch_execnz .LBB2_605
	s_branch .LBB2_606
.LBB2_794:                              ;   in Loop: Header=BB2_352 Depth=4
	s_or_saveexec_b64 s[40:41], s[40:41]
	v_bfrev_b32_e32 v8, 1
	s_xor_b64 exec, exec, s[40:41]
	s_cbranch_execz .LBB2_632
.LBB2_795:                              ;   in Loop: Header=BB2_352 Depth=4
	v_cmp_ne_u16_sdwa s[44:45], v2, v3 src0_sel:BYTE_0 src1_sel:DWORD
	s_andn2_b64 s[28:29], s[28:29], exec
	s_and_b64 s[44:45], s[44:45], exec
	v_mov_b32_e32 v8, 0
	s_or_b64 s[28:29], s[28:29], s[44:45]
	s_or_b64 exec, exec, s[40:41]
	s_and_saveexec_b64 s[40:41], s[28:29]
	s_cbranch_execnz .LBB2_633
	s_branch .LBB2_634
.LBB2_796:                              ;   in Loop: Header=BB2_352 Depth=4
	s_or_saveexec_b64 s[34:35], s[34:35]
	v_bfrev_b32_e32 v8, 1
	s_xor_b64 exec, exec, s[34:35]
	s_cbranch_execz .LBB2_712
.LBB2_797:                              ;   in Loop: Header=BB2_352 Depth=4
	v_cmp_ne_u16_e64 s[28:29], 0, v2
	s_andn2_b64 s[40:41], s[40:41], exec
	s_and_b64 s[28:29], s[28:29], exec
	v_mov_b32_e32 v8, 0
	s_or_b64 s[40:41], s[40:41], s[28:29]
	s_or_b64 exec, exec, s[34:35]
	s_and_saveexec_b64 s[34:35], s[40:41]
	s_cbranch_execnz .LBB2_713
	s_branch .LBB2_714
.LBB2_798:                              ;   in Loop: Header=BB2_352 Depth=4
	s_or_saveexec_b64 s[40:41], s[40:41]
	v_bfrev_b32_e32 v9, 1
	s_xor_b64 exec, exec, s[40:41]
	s_cbranch_execz .LBB2_740
.LBB2_799:                              ;   in Loop: Header=BB2_352 Depth=4
	v_cmp_ne_u16_sdwa s[44:45], v2, v3 src0_sel:BYTE_0 src1_sel:DWORD
	s_andn2_b64 s[28:29], s[28:29], exec
	s_and_b64 s[44:45], s[44:45], exec
	v_mov_b32_e32 v9, 0
	s_or_b64 s[28:29], s[28:29], s[44:45]
	s_or_b64 exec, exec, s[40:41]
	s_and_saveexec_b64 s[40:41], s[28:29]
	s_cbranch_execnz .LBB2_741
	s_branch .LBB2_742
.LBB2_800:                              ;   in Loop: Header=BB2_274 Depth=3
	s_or_b64 exec, exec, s[30:31]
	buffer_load_dword v56, off, s[0:3], s33 offset:148 ; 4-byte Folded Reload
	buffer_load_dword v47, off, s[0:3], s33 offset:144 ; 4-byte Folded Reload
	;; [unrolled: 1-line block ×6, first 2 shown]
.LBB2_801:                              ;   in Loop: Header=BB2_274 Depth=3
	s_or_b64 exec, exec, s[94:95]
	v_and_b32_e32 v6, 15, v37
	s_waitcnt vmcnt(0)
	v_cndmask_b32_e32 v4, v9, v6, vcc
	v_mov_b32_e32 v7, 0
	v_cmp_ne_u32_e64 s[28:29], 0, v4
	s_mov_b64 s[30:31], 0
                                        ; implicit-def: $vgpr21
                                        ; implicit-def: $vgpr30
                                        ; implicit-def: $vgpr2
	s_and_saveexec_b64 s[94:95], s[28:29]
	s_cbranch_execz .LBB2_1257
; %bb.802:                              ;   in Loop: Header=BB2_274 Depth=3
	v_sub_u32_e32 v2, v9, v6
	buffer_load_dword v6, off, s[0:3], s33 offset:152 ; 4-byte Folded Reload
	v_cndmask_b32_e32 v2, 0, v2, vcc
	v_cmp_lt_i32_e32 vcc, 0, v27
	v_add_u32_e32 v10, v2, v8
	v_cndmask_b32_e32 v2, 0, v17, vcc
	v_sub_u32_e32 v2, v2, v27
	v_ashrrev_i32_e32 v8, 31, v4
	v_lshrrev_b32_e32 v8, 22, v8
	v_add_u32_e32 v8, v4, v8
	v_and_b32_e32 v12, 0xfffffc00, v8
	v_sub_u32_e32 v13, v4, v12
	v_ashrrev_i32_e32 v9, 10, v8
	v_cmp_lt_i32_e32 vcc, 15, v13
	v_addc_co_u32_e64 v8, s[28:29], 0, v9, vcc
	s_waitcnt vmcnt(0)
	v_lshl_add_u32 v2, v2, 6, v6
	v_ashrrev_i32_e32 v6, 31, v2
	v_lshrrev_b32_e32 v6, 26, v6
	v_add_u32_e32 v6, v2, v6
	v_ashrrev_i32_e32 v7, 6, v6
	v_and_b32_e32 v6, 0xffffffc0, v6
	v_sub_u32_e32 v11, v2, v6
	v_lshlrev_b32_e32 v2, 4, v11
	v_lshl_add_u32 v2, v7, 10, v2
	v_sub_u32_e32 v6, v4, v2
	v_sub_u32_e32 v26, v8, v7
	v_cmp_lt_i32_e64 s[28:29], 15, v6
	s_and_saveexec_b64 s[30:31], s[28:29]
	s_cbranch_execz .LBB2_1254
; %bb.803:                              ;   in Loop: Header=BB2_274 Depth=3
	buffer_store_dword v13, off, s[0:3], s33 offset:204 ; 4-byte Folded Spill
	buffer_store_dword v12, off, s[0:3], s33 offset:196 ; 4-byte Folded Spill
	;; [unrolled: 1-line block ×4, first 2 shown]
	s_trap 2
	ds_read_b64 v[7:8], v0
	v_add_u32_e32 v2, v2, v10
	v_ashrrev_i32_e32 v9, 31, v2
	v_add_co_u32_e64 v46, s[28:29], v2, v44
	v_addc_co_u32_e64 v47, s[28:29], v9, v45, s[28:29]
	s_waitcnt lgkmcnt(0)
	v_add_co_u32_e64 v55, s[28:29], v7, v2
	v_addc_co_u32_e64 v56, s[28:29], v8, v9, s[28:29]
	v_add_co_u32_e64 v57, s[28:29], v2, v42
	v_addc_co_u32_e64 v58, s[28:29], v9, v43, s[28:29]
	s_mov_b64 s[34:35], 0
	s_branch .LBB2_805
.LBB2_804:                              ;   in Loop: Header=BB2_805 Depth=4
	s_or_b64 exec, exec, s[28:29]
	v_lshl_or_b32 v8, v30, 8, v61
	v_lshlrev_b32_e32 v9, 16, v59
	v_lshlrev_b32_e32 v10, 24, v60
	v_or3_b32 v8, v8, v9, v10
	v_lshl_or_b32 v7, v21, 8, v7
	v_lshlrev_b32_e32 v9, 16, v34
	v_lshlrev_b32_e32 v10, 24, v52
	v_add_co_u32_e64 v46, s[28:29], v46, v38
	v_or3_b32 v7, v7, v9, v10
	v_lshl_or_b32 v9, v48, 8, v16
	v_lshlrev_b32_e32 v10, 16, v27
	v_lshlrev_b32_e32 v11, 24, v24
	v_addc_co_u32_e64 v47, s[28:29], 0, v47, s[28:29]
	v_or3_b32 v9, v9, v10, v11
	v_lshlrev_b32_e32 v2, 24, v2
	v_lshlrev_b32_e32 v10, 16, v12
	v_lshl_or_b32 v11, v19, 8, v18
	v_add_co_u32_e64 v55, s[28:29], v55, v38
	v_or3_b32 v10, v11, v10, v2
	v_addc_co_u32_e64 v56, s[28:29], 0, v56, s[28:29]
	global_store_dwordx4 v[57:58], v[7:10], off glc slc
	v_add_co_u32_e64 v57, s[28:29], v57, v38
	v_addc_co_u32_e64 v58, s[28:29], 0, v58, s[28:29]
	v_sub_u32_e32 v6, v6, v38
	v_cmp_gt_i32_e64 s[28:29], 16, v6
	s_or_b64 s[34:35], s[28:29], s[34:35]
	v_sub_u32_e32 v26, v26, v17
	s_andn2_b64 exec, exec, s[34:35]
	s_cbranch_execz .LBB2_1253
.LBB2_805:                              ;   Parent Loop BB2_47 Depth=1
                                        ;     Parent Loop BB2_271 Depth=2
                                        ;       Parent Loop BB2_274 Depth=3
                                        ; =>      This Inner Loop Header: Depth=4
	global_load_dwordx4 v[12:15], v[46:47], off glc slc
	global_load_dwordx4 v[8:11], v[55:56], off glc slc
	v_mov_b32_e32 v2, 0
	s_waitcnt vmcnt(1)
	v_cmp_ne_u16_sdwa s[28:29], v12, v3 src0_sel:BYTE_0 src1_sel:DWORD
	s_and_saveexec_b64 s[40:41], s[28:29]
	s_cbranch_execz .LBB2_811
; %bb.806:                              ;   in Loop: Header=BB2_805 Depth=4
	v_cmp_ne_u16_sdwa s[28:29], v12, s70 src0_sel:BYTE_0 src1_sel:DWORD
	v_bfrev_b32_e32 v2, 1
	s_and_saveexec_b64 s[36:37], s[28:29]
	s_cbranch_execz .LBB2_810
; %bb.807:                              ;   in Loop: Header=BB2_805 Depth=4
	v_and_b32_e32 v7, 0x7f, v12
	v_cmp_ne_u32_e64 s[28:29], s71, v7
	v_mov_b32_e32 v2, 0x7f800001
	s_and_saveexec_b64 s[38:39], s[28:29]
	s_cbranch_execz .LBB2_809
; %bb.808:                              ;   in Loop: Header=BB2_805 Depth=4
	v_and_b32_e32 v2, 7, v12
	v_ffbh_u32_e32 v2, v2
	v_min_u32_e32 v2, 32, v2
	v_lshrrev_b32_e32 v16, 3, v7
	v_cmp_gt_u32_e64 s[28:29], 8, v7
	v_subrev_u32_e32 v7, 28, v2
	v_cndmask_b32_e64 v7, 0, v7, s[28:29]
	v_lshlrev_b64 v[18:19], v7, v[12:13]
	v_sub_u32_e32 v2, 29, v2
	v_cndmask_b32_e64 v2, v16, v2, s[28:29]
	v_lshlrev_b32_e32 v7, 20, v18
	v_lshlrev_b32_e32 v16, 24, v12
	v_and_b32_e32 v7, 0x700000, v7
	v_and_b32_e32 v16, 0x80000000, v16
	v_lshl_add_u32 v2, v2, 23, v49
	v_or3_b32 v2, v16, v2, v7
.LBB2_809:                              ;   in Loop: Header=BB2_805 Depth=4
	s_or_b64 exec, exec, s[38:39]
.LBB2_810:                              ;   in Loop: Header=BB2_805 Depth=4
	s_or_b64 exec, exec, s[36:37]
.LBB2_811:                              ;   in Loop: Header=BB2_805 Depth=4
	s_or_b64 exec, exec, s[40:41]
	s_waitcnt vmcnt(0)
	v_cmp_gt_i16_sdwa s[40:41], v8, s71 src0_sel:BYTE_0 src1_sel:DWORD
	s_mov_b64 s[28:29], 0
	s_and_saveexec_b64 s[44:45], s[40:41]
	s_xor_b64 s[40:41], exec, s[44:45]
	s_cbranch_execz .LBB2_1233
; %bb.812:                              ;   in Loop: Header=BB2_805 Depth=4
	v_cmp_eq_u16_sdwa s[44:45], v8, s70 src0_sel:BYTE_0 src1_sel:DWORD
	s_mov_b64 s[28:29], -1
	s_and_saveexec_b64 s[36:37], s[44:45]
; %bb.813:                              ;   in Loop: Header=BB2_805 Depth=4
	s_xor_b64 s[28:29], exec, -1
; %bb.814:                              ;   in Loop: Header=BB2_805 Depth=4
	s_or_b64 exec, exec, s[36:37]
	s_and_b64 s[28:29], s[28:29], exec
	s_or_saveexec_b64 s[40:41], s[40:41]
	v_bfrev_b32_e32 v7, 1
	s_xor_b64 exec, exec, s[40:41]
	s_cbranch_execnz .LBB2_1234
.LBB2_815:                              ;   in Loop: Header=BB2_805 Depth=4
	s_or_b64 exec, exec, s[40:41]
	s_and_saveexec_b64 s[40:41], s[28:29]
	s_cbranch_execz .LBB2_817
.LBB2_816:                              ;   in Loop: Header=BB2_805 Depth=4
	v_and_b32_e32 v7, 7, v8
	v_ffbh_u32_e32 v7, v7
	v_and_b32_e32 v16, 0x7f, v8
	v_min_u32_e32 v7, 32, v7
	v_bfe_u32 v18, v8, 3, 4
	v_subrev_u32_e32 v19, 28, v7
	v_sub_u32_e32 v7, 29, v7
	v_cmp_gt_u32_e64 s[28:29], 8, v16
	v_cndmask_b32_e64 v7, v18, v7, s[28:29]
	v_cndmask_b32_e64 v18, 0, v19, s[28:29]
	v_lshlrev_b64 v[18:19], v18, v[8:9]
	v_lshlrev_b32_e32 v19, 24, v8
	v_lshlrev_b32_e32 v18, 20, v18
	v_and_b32_e32 v18, 0x700000, v18
	v_and_b32_e32 v19, 0x80000000, v19
	v_lshl_add_u32 v7, v7, 23, v49
	v_or3_b32 v7, v19, v7, v18
	v_cmp_ne_u32_e64 s[28:29], s71, v16
	v_cndmask_b32_e64 v7, v5, v7, s[28:29]
.LBB2_817:                              ;   in Loop: Header=BB2_805 Depth=4
	s_or_b64 exec, exec, s[40:41]
	v_mul_f32_e32 v18, v2, v7
	v_and_b32_e32 v2, 0x7f800000, v18
	v_cmp_ne_u64_e64 s[28:29], s[62:63], v[2:3]
                                        ; implicit-def: $vgpr7
	s_and_saveexec_b64 s[40:41], s[28:29]
	s_xor_b64 s[36:37], exec, s[40:41]
	s_cbranch_execz .LBB2_831
; %bb.818:                              ;   in Loop: Header=BB2_805 Depth=4
	v_and_b32_e32 v2, 0x7fffffff, v18
	v_cmp_gt_u64_e64 s[28:29], s[72:73], v[2:3]
	v_and_b32_sdwa v16, v18, s70 dst_sel:DWORD dst_unused:UNUSED_PAD src0_sel:BYTE_3 src1_sel:DWORD
                                        ; implicit-def: $vgpr7
	s_and_saveexec_b64 s[40:41], s[28:29]
	s_xor_b64 s[38:39], exec, s[40:41]
	s_cbranch_execz .LBB2_828
; %bb.819:                              ;   in Loop: Header=BB2_805 Depth=4
	v_mov_b32_e32 v7, 0
	v_cmp_ne_u32_e64 s[28:29], 0, v18
	s_and_saveexec_b64 s[48:49], s[28:29]
	s_cbranch_execz .LBB2_827
; %bb.820:                              ;   in Loop: Header=BB2_805 Depth=4
	v_bfe_u32 v7, v18, 23, 8
	v_and_b32_e32 v2, 0x7fffff, v18
	v_cmp_gt_u32_e64 s[40:41], s80, v7
	v_sub_u32_e32 v18, 0x79, v7
	v_cmp_eq_u32_e64 s[28:29], 0, v7
	v_cndmask_b32_e64 v18, 0, v18, s[40:41]
	v_cndmask_b32_e64 v21, v18, v1, s[28:29]
	v_or_b32_e32 v19, 0x800000, v2
	v_add_u32_e32 v18, 20, v21
	v_cndmask_b32_e64 v2, v19, v2, s[28:29]
	v_lshlrev_b64 v[18:19], v18, -1
	v_add_u32_e32 v24, 19, v21
	v_lshlrev_b64 v[24:25], v24, 1
	v_bfi_b32 v19, v19, 0, 0
	v_bfi_b32 v18, v18, 0, v2
	v_lshrrev_b64 v[59:60], v21, v[2:3]
	v_cmp_eq_u64_e64 s[40:41], v[18:19], v[24:25]
	v_mov_b32_e32 v18, v59
	v_mov_b32_e32 v19, v60
	s_and_saveexec_b64 s[50:51], s[40:41]
; %bb.821:                              ;   in Loop: Header=BB2_805 Depth=4
	v_bfe_u32 v2, v59, 20, 1
	v_add_co_u32_e64 v2, s[40:41], v59, v2
	v_add_co_u32_e64 v18, s[40:41], -1, v2
; %bb.822:                              ;   in Loop: Header=BB2_805 Depth=4
	s_or_b64 exec, exec, s[50:51]
	v_add_u32_e32 v2, 0xffffff81, v7
	v_cndmask_b32_e64 v2, v2, v0, s[28:29]
	v_lshrrev_b32_e32 v7, 23, v59
	v_add3_u32 v21, v21, v2, v7
	v_add_u32_e32 v19, 6, v21
	v_and_b32_e32 v2, 0xfffff, v18
	v_add_u32_e32 v2, v2, v59
	v_cmp_ne_u32_e64 s[28:29], 0, v19
                                        ; implicit-def: $vgpr59_vgpr60
                                        ; implicit-def: $vgpr7
	s_and_saveexec_b64 s[40:41], s[28:29]
	s_xor_b64 s[40:41], exec, s[40:41]
; %bb.823:                              ;   in Loop: Header=BB2_805 Depth=4
	v_cmp_lt_u64_e64 s[28:29], s[88:89], v[2:3]
	v_add_u32_e32 v7, 7, v21
	v_cndmask_b32_e64 v18, 0, 1, s[28:29]
	v_cndmask_b32_e64 v7, v19, v7, s[28:29]
	v_lshrrev_b64 v[59:60], v18, v[2:3]
; %bb.824:                              ;   in Loop: Header=BB2_805 Depth=4
	s_andn2_saveexec_b64 s[28:29], s[40:41]
; %bb.825:                              ;   in Loop: Header=BB2_805 Depth=4
	v_mov_b32_e32 v60, v3
	v_bfe_u32 v7, v2, 23, 1
	v_mov_b32_e32 v59, v2
; %bb.826:                              ;   in Loop: Header=BB2_805 Depth=4
	s_or_b64 exec, exec, s[28:29]
	v_lshrrev_b64 v[18:19], 20, v[59:60]
	v_cmp_gt_i32_e64 s[28:29], 16, v7
	v_cndmask_b32_e64 v19, 0, v19, s[28:29]
	v_cndmask_b32_e64 v18, 7, v18, s[28:29]
	v_min_i32_e32 v2, 15, v7
	v_cmp_eq_u64_e64 s[40:41], 0, v[18:19]
	v_lshlrev_b32_e32 v2, 3, v2
	v_cmp_eq_u32_e64 s[28:29], 0, v7
	v_and_b32_e32 v2, 0xf8, v2
	v_and_or_b32 v2, v18, 7, v2
	s_and_b64 s[28:29], s[28:29], s[40:41]
	v_cndmask_b32_e64 v2, v2, 0, s[28:29]
	v_or_b32_e32 v7, v2, v16
.LBB2_827:                              ;   in Loop: Header=BB2_805 Depth=4
	s_or_b64 exec, exec, s[48:49]
                                        ; implicit-def: $vgpr16
.LBB2_828:                              ;   in Loop: Header=BB2_805 Depth=4
	s_andn2_saveexec_b64 s[28:29], s[38:39]
; %bb.829:                              ;   in Loop: Header=BB2_805 Depth=4
	v_or_b32_e32 v7, 0x7e, v16
; %bb.830:                              ;   in Loop: Header=BB2_805 Depth=4
	s_or_b64 exec, exec, s[28:29]
                                        ; implicit-def: $vgpr18
.LBB2_831:                              ;   in Loop: Header=BB2_805 Depth=4
	s_andn2_saveexec_b64 s[28:29], s[36:37]
; %bb.832:                              ;   in Loop: Header=BB2_805 Depth=4
	v_or_b32_sdwa v7, v18, s71 dst_sel:DWORD dst_unused:UNUSED_PAD src0_sel:BYTE_3 src1_sel:DWORD
; %bb.833:                              ;   in Loop: Header=BB2_805 Depth=4
	s_or_b64 exec, exec, s[28:29]
	v_lshrrev_b16_e32 v2, 8, v12
	v_cmp_ne_u16_e64 s[28:29], 0, v2
	v_mov_b32_e32 v16, 0
	s_and_saveexec_b64 s[40:41], s[28:29]
	s_cbranch_execz .LBB2_839
; %bb.834:                              ;   in Loop: Header=BB2_805 Depth=4
	v_cmp_ne_u16_e64 s[28:29], s70, v2
	v_bfrev_b32_e32 v16, 1
	s_and_saveexec_b64 s[36:37], s[28:29]
	s_cbranch_execz .LBB2_838
; %bb.835:                              ;   in Loop: Header=BB2_805 Depth=4
	v_and_b32_e32 v18, 0x7f, v2
	v_cmp_ne_u32_e64 s[28:29], s71, v18
	v_mov_b32_e32 v16, 0x7f800001
	s_and_saveexec_b64 s[38:39], s[28:29]
	s_cbranch_execz .LBB2_837
; %bb.836:                              ;   in Loop: Header=BB2_805 Depth=4
	v_and_b32_e32 v16, 7, v2
	v_lshrrev_b32_e32 v21, 3, v18
	v_cmp_gt_u32_e64 s[28:29], 8, v18
	v_ffbh_u32_e32 v18, v16
	v_min_u32_e32 v24, 32, v18
	v_subrev_u32_e32 v18, 28, v24
	v_lshlrev_b64 v[18:19], v18, v[2:3]
	v_sub_u32_e32 v2, 29, v24
	v_and_b32_e32 v18, 7, v18
	v_cndmask_b32_e64 v2, v21, v2, s[28:29]
	v_cndmask_b32_e64 v16, v16, v18, s[28:29]
	v_lshlrev_b32_e32 v18, 16, v12
	v_lshlrev_b32_e32 v16, 20, v16
	v_and_b32_e32 v18, 0x80000000, v18
	v_lshl_add_u32 v2, v2, 23, v49
	v_or3_b32 v16, v18, v2, v16
.LBB2_837:                              ;   in Loop: Header=BB2_805 Depth=4
	s_or_b64 exec, exec, s[38:39]
.LBB2_838:                              ;   in Loop: Header=BB2_805 Depth=4
	s_or_b64 exec, exec, s[36:37]
.LBB2_839:                              ;   in Loop: Header=BB2_805 Depth=4
	s_or_b64 exec, exec, s[40:41]
	v_lshrrev_b16_e32 v2, 8, v8
	v_cmp_lt_i16_e64 s[28:29], s71, v2
	s_mov_b64 s[40:41], 0
	s_and_saveexec_b64 s[44:45], s[28:29]
	s_xor_b64 s[36:37], exec, s[44:45]
	s_cbranch_execz .LBB2_1235
; %bb.840:                              ;   in Loop: Header=BB2_805 Depth=4
	v_cmp_eq_u16_e64 s[28:29], s70, v2
	s_mov_b64 s[40:41], -1
	s_and_saveexec_b64 s[38:39], s[28:29]
; %bb.841:                              ;   in Loop: Header=BB2_805 Depth=4
	s_xor_b64 s[40:41], exec, -1
; %bb.842:                              ;   in Loop: Header=BB2_805 Depth=4
	s_or_b64 exec, exec, s[38:39]
	s_and_b64 s[40:41], s[40:41], exec
	s_or_saveexec_b64 s[36:37], s[36:37]
	v_bfrev_b32_e32 v18, 1
	s_xor_b64 exec, exec, s[36:37]
	s_cbranch_execnz .LBB2_1236
.LBB2_843:                              ;   in Loop: Header=BB2_805 Depth=4
	s_or_b64 exec, exec, s[36:37]
	s_and_saveexec_b64 s[36:37], s[40:41]
	s_cbranch_execz .LBB2_845
.LBB2_844:                              ;   in Loop: Header=BB2_805 Depth=4
	v_and_b32_e32 v21, 7, v2
	v_ffbh_u32_e32 v18, v21
	v_min_u32_e32 v27, 32, v18
	v_subrev_u32_e32 v18, 28, v27
	v_lshlrev_b64 v[18:19], v18, v[2:3]
	v_and_b32_e32 v24, 0x7f, v2
	v_bfe_u32 v25, v2, 3, 4
	v_sub_u32_e32 v19, 29, v27
	v_and_b32_e32 v18, 7, v18
	v_cmp_gt_u32_e64 s[28:29], 8, v24
	v_cndmask_b32_e64 v19, v25, v19, s[28:29]
	v_cndmask_b32_e64 v18, v21, v18, s[28:29]
	v_lshlrev_b32_e32 v2, 24, v2
	v_lshlrev_b32_e32 v18, 20, v18
	v_and_b32_e32 v2, 0x80000000, v2
	v_lshl_add_u32 v19, v19, 23, v49
	v_or3_b32 v2, v2, v19, v18
	v_cmp_ne_u32_e64 s[28:29], s71, v24
	v_cndmask_b32_e64 v18, v5, v2, s[28:29]
.LBB2_845:                              ;   in Loop: Header=BB2_805 Depth=4
	s_or_b64 exec, exec, s[36:37]
	v_mul_f32_e32 v18, v16, v18
	v_and_b32_e32 v2, 0x7f800000, v18
	v_cmp_ne_u64_e64 s[28:29], s[62:63], v[2:3]
                                        ; implicit-def: $vgpr21
	s_and_saveexec_b64 s[40:41], s[28:29]
	s_xor_b64 s[36:37], exec, s[40:41]
	s_cbranch_execz .LBB2_859
; %bb.846:                              ;   in Loop: Header=BB2_805 Depth=4
	v_and_b32_e32 v2, 0x7fffffff, v18
	v_cmp_gt_u64_e64 s[28:29], s[72:73], v[2:3]
	v_and_b32_sdwa v16, v18, s70 dst_sel:DWORD dst_unused:UNUSED_PAD src0_sel:BYTE_3 src1_sel:DWORD
                                        ; implicit-def: $vgpr21
	s_and_saveexec_b64 s[40:41], s[28:29]
	s_xor_b64 s[38:39], exec, s[40:41]
	s_cbranch_execz .LBB2_856
; %bb.847:                              ;   in Loop: Header=BB2_805 Depth=4
	v_mov_b32_e32 v21, 0
	v_cmp_ne_u32_e64 s[28:29], 0, v18
	s_and_saveexec_b64 s[48:49], s[28:29]
	s_cbranch_execz .LBB2_855
; %bb.848:                              ;   in Loop: Header=BB2_805 Depth=4
	v_bfe_u32 v21, v18, 23, 8
	v_and_b32_e32 v2, 0x7fffff, v18
	v_cmp_gt_u32_e64 s[40:41], s80, v21
	v_sub_u32_e32 v18, 0x79, v21
	v_cmp_eq_u32_e64 s[28:29], 0, v21
	v_cndmask_b32_e64 v18, 0, v18, s[40:41]
	v_cndmask_b32_e64 v24, v18, v1, s[28:29]
	v_or_b32_e32 v19, 0x800000, v2
	v_add_u32_e32 v18, 20, v24
	v_cndmask_b32_e64 v2, v19, v2, s[28:29]
	v_lshlrev_b64 v[18:19], v18, -1
	v_add_u32_e32 v25, 19, v24
	v_lshlrev_b64 v[40:41], v25, 1
	v_bfi_b32 v19, v19, 0, 0
	v_bfi_b32 v18, v18, 0, v2
	v_lshrrev_b64 v[59:60], v24, v[2:3]
	v_cmp_eq_u64_e64 s[40:41], v[18:19], v[40:41]
	v_mov_b32_e32 v18, v59
	v_mov_b32_e32 v19, v60
	s_and_saveexec_b64 s[50:51], s[40:41]
; %bb.849:                              ;   in Loop: Header=BB2_805 Depth=4
	v_bfe_u32 v2, v59, 20, 1
	v_add_co_u32_e64 v2, s[40:41], v59, v2
	v_add_co_u32_e64 v18, s[40:41], -1, v2
; %bb.850:                              ;   in Loop: Header=BB2_805 Depth=4
	s_or_b64 exec, exec, s[50:51]
	v_add_u32_e32 v2, 0xffffff81, v21
	v_cndmask_b32_e64 v2, v2, v0, s[28:29]
	v_lshrrev_b32_e32 v19, 23, v59
	v_add3_u32 v21, v24, v2, v19
	v_add_u32_e32 v19, 6, v21
	v_and_b32_e32 v2, 0xfffff, v18
	v_add_u32_e32 v2, v2, v59
	v_cmp_ne_u32_e64 s[28:29], 0, v19
                                        ; implicit-def: $vgpr59_vgpr60
                                        ; implicit-def: $vgpr18
	s_and_saveexec_b64 s[40:41], s[28:29]
	s_xor_b64 s[40:41], exec, s[40:41]
; %bb.851:                              ;   in Loop: Header=BB2_805 Depth=4
	v_cmp_lt_u64_e64 s[28:29], s[88:89], v[2:3]
	v_add_u32_e32 v18, 7, v21
	v_cndmask_b32_e64 v18, v19, v18, s[28:29]
	v_cndmask_b32_e64 v19, 0, 1, s[28:29]
	v_lshrrev_b64 v[59:60], v19, v[2:3]
; %bb.852:                              ;   in Loop: Header=BB2_805 Depth=4
	s_andn2_saveexec_b64 s[28:29], s[40:41]
; %bb.853:                              ;   in Loop: Header=BB2_805 Depth=4
	v_mov_b32_e32 v60, v3
	v_bfe_u32 v18, v2, 23, 1
	v_mov_b32_e32 v59, v2
; %bb.854:                              ;   in Loop: Header=BB2_805 Depth=4
	s_or_b64 exec, exec, s[28:29]
	v_lshrrev_b64 v[24:25], 20, v[59:60]
	v_cmp_gt_i32_e64 s[28:29], 16, v18
	v_cndmask_b32_e64 v25, 0, v25, s[28:29]
	v_cndmask_b32_e64 v24, 7, v24, s[28:29]
	v_min_i32_e32 v2, 15, v18
	v_cmp_eq_u64_e64 s[40:41], 0, v[24:25]
	v_lshlrev_b32_e32 v2, 3, v2
	v_cmp_eq_u32_e64 s[28:29], 0, v18
	v_and_b32_e32 v2, 0xf8, v2
	v_and_or_b32 v2, v24, 7, v2
	s_and_b64 s[28:29], s[28:29], s[40:41]
	v_cndmask_b32_e64 v2, v2, 0, s[28:29]
	v_or_b32_e32 v21, v2, v16
.LBB2_855:                              ;   in Loop: Header=BB2_805 Depth=4
	s_or_b64 exec, exec, s[48:49]
                                        ; implicit-def: $vgpr16
.LBB2_856:                              ;   in Loop: Header=BB2_805 Depth=4
	s_andn2_saveexec_b64 s[28:29], s[38:39]
; %bb.857:                              ;   in Loop: Header=BB2_805 Depth=4
	v_or_b32_e32 v21, 0x7e, v16
; %bb.858:                              ;   in Loop: Header=BB2_805 Depth=4
	s_or_b64 exec, exec, s[28:29]
                                        ; implicit-def: $vgpr18
.LBB2_859:                              ;   in Loop: Header=BB2_805 Depth=4
	s_andn2_saveexec_b64 s[28:29], s[36:37]
; %bb.860:                              ;   in Loop: Header=BB2_805 Depth=4
	v_or_b32_sdwa v21, v18, s71 dst_sel:DWORD dst_unused:UNUSED_PAD src0_sel:BYTE_3 src1_sel:DWORD
; %bb.861:                              ;   in Loop: Header=BB2_805 Depth=4
	s_or_b64 exec, exec, s[28:29]
	v_lshrrev_b32_e32 v2, 16, v12
	v_cmp_ne_u16_sdwa s[28:29], v2, v3 src0_sel:BYTE_0 src1_sel:DWORD
	v_mov_b32_e32 v16, 0
	s_and_saveexec_b64 s[40:41], s[28:29]
	s_cbranch_execz .LBB2_867
; %bb.862:                              ;   in Loop: Header=BB2_805 Depth=4
	v_cmp_ne_u16_sdwa s[28:29], v2, s70 src0_sel:BYTE_0 src1_sel:DWORD
	v_bfrev_b32_e32 v16, 1
	s_and_saveexec_b64 s[36:37], s[28:29]
	s_cbranch_execz .LBB2_866
; %bb.863:                              ;   in Loop: Header=BB2_805 Depth=4
	v_bfe_u32 v18, v12, 16, 7
	v_cmp_ne_u32_e64 s[28:29], s71, v18
	v_mov_b32_e32 v16, 0x7f800001
	s_and_saveexec_b64 s[38:39], s[28:29]
	s_cbranch_execz .LBB2_865
; %bb.864:                              ;   in Loop: Header=BB2_805 Depth=4
	v_and_b32_e32 v16, 7, v2
	v_lshrrev_b32_e32 v24, 3, v18
	v_cmp_gt_u32_e64 s[28:29], 8, v18
	v_ffbh_u32_e32 v18, v16
	v_min_u32_e32 v25, 32, v18
	v_subrev_u32_e32 v18, 28, v25
	v_lshlrev_b64 v[18:19], v18, v[2:3]
	v_sub_u32_e32 v19, 29, v25
	v_and_b32_e32 v18, 7, v18
	v_cndmask_b32_e64 v19, v24, v19, s[28:29]
	v_cndmask_b32_e64 v16, v16, v18, s[28:29]
	v_lshlrev_b32_e32 v2, 24, v2
	v_lshlrev_b32_e32 v16, 20, v16
	v_and_b32_e32 v2, 0x80000000, v2
	v_lshl_add_u32 v18, v19, 23, v49
	v_or3_b32 v16, v2, v18, v16
.LBB2_865:                              ;   in Loop: Header=BB2_805 Depth=4
	s_or_b64 exec, exec, s[38:39]
.LBB2_866:                              ;   in Loop: Header=BB2_805 Depth=4
	s_or_b64 exec, exec, s[36:37]
.LBB2_867:                              ;   in Loop: Header=BB2_805 Depth=4
	s_or_b64 exec, exec, s[40:41]
	v_lshrrev_b32_e32 v2, 16, v8
	v_cmp_gt_i16_sdwa s[40:41], v2, s71 src0_sel:BYTE_0 src1_sel:DWORD
	s_mov_b64 s[28:29], 0
	s_and_saveexec_b64 s[44:45], s[40:41]
	s_xor_b64 s[40:41], exec, s[44:45]
	s_cbranch_execz .LBB2_1237
; %bb.868:                              ;   in Loop: Header=BB2_805 Depth=4
	v_cmp_eq_u16_sdwa s[44:45], v2, s70 src0_sel:BYTE_0 src1_sel:DWORD
	s_mov_b64 s[28:29], -1
	s_and_saveexec_b64 s[36:37], s[44:45]
; %bb.869:                              ;   in Loop: Header=BB2_805 Depth=4
	s_xor_b64 s[28:29], exec, -1
; %bb.870:                              ;   in Loop: Header=BB2_805 Depth=4
	s_or_b64 exec, exec, s[36:37]
	s_and_b64 s[28:29], s[28:29], exec
	s_or_saveexec_b64 s[40:41], s[40:41]
	v_bfrev_b32_e32 v18, 1
	s_xor_b64 exec, exec, s[40:41]
	s_cbranch_execnz .LBB2_1238
.LBB2_871:                              ;   in Loop: Header=BB2_805 Depth=4
	s_or_b64 exec, exec, s[40:41]
	s_and_saveexec_b64 s[40:41], s[28:29]
	s_cbranch_execz .LBB2_873
.LBB2_872:                              ;   in Loop: Header=BB2_805 Depth=4
	v_and_b32_e32 v24, 7, v2
	v_ffbh_u32_e32 v18, v24
	v_min_u32_e32 v30, 32, v18
	v_subrev_u32_e32 v18, 28, v30
	v_lshlrev_b64 v[18:19], v18, v[2:3]
	v_and_b32_e32 v25, 0x7f, v2
	v_bfe_u32 v27, v2, 3, 4
	v_sub_u32_e32 v19, 29, v30
	v_and_b32_e32 v18, 7, v18
	v_cmp_gt_u32_e64 s[28:29], 8, v25
	v_cndmask_b32_e64 v19, v27, v19, s[28:29]
	v_cndmask_b32_e64 v18, v24, v18, s[28:29]
	v_lshlrev_b32_e32 v2, 24, v2
	v_lshlrev_b32_e32 v18, 20, v18
	v_and_b32_e32 v2, 0x80000000, v2
	v_lshl_add_u32 v19, v19, 23, v49
	v_or3_b32 v2, v2, v19, v18
	v_cmp_ne_u32_e64 s[28:29], s71, v25
	v_cndmask_b32_e64 v18, v5, v2, s[28:29]
.LBB2_873:                              ;   in Loop: Header=BB2_805 Depth=4
	s_or_b64 exec, exec, s[40:41]
	v_mul_f32_e32 v18, v16, v18
	v_and_b32_e32 v2, 0x7f800000, v18
	v_cmp_ne_u64_e64 s[28:29], s[62:63], v[2:3]
                                        ; implicit-def: $vgpr34
	s_and_saveexec_b64 s[40:41], s[28:29]
	s_xor_b64 s[36:37], exec, s[40:41]
	s_cbranch_execz .LBB2_887
; %bb.874:                              ;   in Loop: Header=BB2_805 Depth=4
	v_and_b32_e32 v2, 0x7fffffff, v18
	v_cmp_gt_u64_e64 s[28:29], s[72:73], v[2:3]
	v_and_b32_sdwa v16, v18, s70 dst_sel:DWORD dst_unused:UNUSED_PAD src0_sel:BYTE_3 src1_sel:DWORD
                                        ; implicit-def: $vgpr34
	s_and_saveexec_b64 s[40:41], s[28:29]
	s_xor_b64 s[38:39], exec, s[40:41]
	s_cbranch_execz .LBB2_884
; %bb.875:                              ;   in Loop: Header=BB2_805 Depth=4
	v_mov_b32_e32 v34, 0
	v_cmp_ne_u32_e64 s[28:29], 0, v18
	s_and_saveexec_b64 s[48:49], s[28:29]
	s_cbranch_execz .LBB2_883
; %bb.876:                              ;   in Loop: Header=BB2_805 Depth=4
	v_bfe_u32 v24, v18, 23, 8
	v_and_b32_e32 v2, 0x7fffff, v18
	v_cmp_gt_u32_e64 s[40:41], s80, v24
	v_sub_u32_e32 v18, 0x79, v24
	v_cmp_eq_u32_e64 s[28:29], 0, v24
	v_cndmask_b32_e64 v18, 0, v18, s[40:41]
	v_cndmask_b32_e64 v25, v18, v1, s[28:29]
	v_or_b32_e32 v19, 0x800000, v2
	v_add_u32_e32 v18, 20, v25
	v_cndmask_b32_e64 v2, v19, v2, s[28:29]
	v_lshlrev_b64 v[18:19], v18, -1
	v_add_u32_e32 v27, 19, v25
	v_lshlrev_b64 v[40:41], v27, 1
	v_bfi_b32 v19, v19, 0, 0
	v_bfi_b32 v18, v18, 0, v2
	v_lshrrev_b64 v[59:60], v25, v[2:3]
	v_cmp_eq_u64_e64 s[40:41], v[18:19], v[40:41]
	v_mov_b32_e32 v18, v59
	v_mov_b32_e32 v19, v60
	s_and_saveexec_b64 s[50:51], s[40:41]
; %bb.877:                              ;   in Loop: Header=BB2_805 Depth=4
	v_bfe_u32 v2, v59, 20, 1
	v_add_co_u32_e64 v2, s[40:41], v59, v2
	v_add_co_u32_e64 v18, s[40:41], -1, v2
; %bb.878:                              ;   in Loop: Header=BB2_805 Depth=4
	s_or_b64 exec, exec, s[50:51]
	v_add_u32_e32 v2, 0xffffff81, v24
	v_cndmask_b32_e64 v2, v2, v0, s[28:29]
	v_lshrrev_b32_e32 v19, 23, v59
	v_add3_u32 v24, v25, v2, v19
	v_add_u32_e32 v19, 6, v24
	v_and_b32_e32 v2, 0xfffff, v18
	v_add_u32_e32 v2, v2, v59
	v_cmp_ne_u32_e64 s[28:29], 0, v19
                                        ; implicit-def: $vgpr59_vgpr60
                                        ; implicit-def: $vgpr18
	s_and_saveexec_b64 s[40:41], s[28:29]
	s_xor_b64 s[40:41], exec, s[40:41]
; %bb.879:                              ;   in Loop: Header=BB2_805 Depth=4
	v_cmp_lt_u64_e64 s[28:29], s[88:89], v[2:3]
	v_add_u32_e32 v18, 7, v24
	v_cndmask_b32_e64 v18, v19, v18, s[28:29]
	v_cndmask_b32_e64 v19, 0, 1, s[28:29]
	v_lshrrev_b64 v[59:60], v19, v[2:3]
; %bb.880:                              ;   in Loop: Header=BB2_805 Depth=4
	s_andn2_saveexec_b64 s[28:29], s[40:41]
; %bb.881:                              ;   in Loop: Header=BB2_805 Depth=4
	v_mov_b32_e32 v60, v3
	v_bfe_u32 v18, v2, 23, 1
	v_mov_b32_e32 v59, v2
; %bb.882:                              ;   in Loop: Header=BB2_805 Depth=4
	s_or_b64 exec, exec, s[28:29]
	v_lshrrev_b64 v[24:25], 20, v[59:60]
	v_cmp_gt_i32_e64 s[28:29], 16, v18
	v_cndmask_b32_e64 v25, 0, v25, s[28:29]
	v_cndmask_b32_e64 v24, 7, v24, s[28:29]
	v_min_i32_e32 v2, 15, v18
	v_cmp_eq_u64_e64 s[40:41], 0, v[24:25]
	v_lshlrev_b32_e32 v2, 3, v2
	v_cmp_eq_u32_e64 s[28:29], 0, v18
	v_and_b32_e32 v2, 0xf8, v2
	v_and_or_b32 v2, v24, 7, v2
	s_and_b64 s[28:29], s[28:29], s[40:41]
	v_cndmask_b32_e64 v2, v2, 0, s[28:29]
	v_or_b32_e32 v34, v2, v16
.LBB2_883:                              ;   in Loop: Header=BB2_805 Depth=4
	s_or_b64 exec, exec, s[48:49]
                                        ; implicit-def: $vgpr16
.LBB2_884:                              ;   in Loop: Header=BB2_805 Depth=4
	s_andn2_saveexec_b64 s[28:29], s[38:39]
; %bb.885:                              ;   in Loop: Header=BB2_805 Depth=4
	v_or_b32_e32 v34, 0x7e, v16
; %bb.886:                              ;   in Loop: Header=BB2_805 Depth=4
	s_or_b64 exec, exec, s[28:29]
                                        ; implicit-def: $vgpr18
.LBB2_887:                              ;   in Loop: Header=BB2_805 Depth=4
	s_andn2_saveexec_b64 s[28:29], s[36:37]
; %bb.888:                              ;   in Loop: Header=BB2_805 Depth=4
	v_or_b32_sdwa v34, v18, s71 dst_sel:DWORD dst_unused:UNUSED_PAD src0_sel:BYTE_3 src1_sel:DWORD
; %bb.889:                              ;   in Loop: Header=BB2_805 Depth=4
	s_or_b64 exec, exec, s[28:29]
	v_cmp_lt_u32_e64 s[28:29], s57, v12
	v_mov_b32_e32 v16, 0
	s_and_saveexec_b64 s[40:41], s[28:29]
	s_cbranch_execz .LBB2_895
; %bb.890:                              ;   in Loop: Header=BB2_805 Depth=4
	v_lshrrev_b32_e32 v2, 24, v12
	v_cmp_ne_u32_e64 s[28:29], s70, v2
	v_bfrev_b32_e32 v16, 1
	s_and_saveexec_b64 s[36:37], s[28:29]
	s_cbranch_execz .LBB2_894
; %bb.891:                              ;   in Loop: Header=BB2_805 Depth=4
	v_bfe_u32 v18, v12, 24, 7
	v_cmp_ne_u32_e64 s[28:29], s71, v18
	v_mov_b32_e32 v16, 0x7f800001
	s_and_saveexec_b64 s[38:39], s[28:29]
	s_cbranch_execz .LBB2_893
; %bb.892:                              ;   in Loop: Header=BB2_805 Depth=4
	v_and_b32_e32 v16, 7, v2
	v_lshrrev_b32_e32 v24, 3, v18
	v_cmp_gt_u32_e64 s[28:29], 8, v18
	v_ffbh_u32_e32 v18, v16
	v_min_u32_e32 v25, 32, v18
	v_subrev_u32_e32 v18, 28, v25
	v_lshlrev_b64 v[18:19], v18, v[2:3]
	v_sub_u32_e32 v19, 29, v25
	v_and_b32_e32 v18, 7, v18
	v_cndmask_b32_e64 v19, v24, v19, s[28:29]
	v_cndmask_b32_e64 v16, v16, v18, s[28:29]
	v_lshlrev_b32_e32 v2, 24, v2
	v_lshlrev_b32_e32 v16, 20, v16
	v_and_b32_e32 v2, 0x80000000, v2
	v_lshl_add_u32 v18, v19, 23, v49
	v_or3_b32 v16, v2, v18, v16
.LBB2_893:                              ;   in Loop: Header=BB2_805 Depth=4
	s_or_b64 exec, exec, s[38:39]
.LBB2_894:                              ;   in Loop: Header=BB2_805 Depth=4
	s_or_b64 exec, exec, s[36:37]
.LBB2_895:                              ;   in Loop: Header=BB2_805 Depth=4
	s_or_b64 exec, exec, s[40:41]
	v_bfe_u32 v24, v8, 24, 3
	v_ffbh_u32_e32 v18, v24
	v_min_u32_e32 v30, 32, v18
	v_lshrrev_b32_e32 v2, 24, v8
	v_subrev_u32_e32 v18, 28, v30
	v_lshlrev_b64 v[18:19], v18, v[2:3]
	v_bfe_u32 v25, v8, 24, 7
	v_bfe_u32 v27, v2, 3, 4
	v_sub_u32_e32 v19, 29, v30
	v_and_b32_e32 v18, 7, v18
	v_cmp_gt_u32_e64 s[28:29], 8, v25
	v_cndmask_b32_e64 v19, v27, v19, s[28:29]
	v_cndmask_b32_e64 v18, v24, v18, s[28:29]
	v_lshlrev_b32_e32 v18, 20, v18
	v_and_b32_e32 v24, 0x80000000, v8
	v_lshl_add_u32 v19, v19, 23, v49
	v_or3_b32 v18, v24, v19, v18
	v_cmp_ne_u32_e64 s[28:29], s71, v25
	v_cndmask_b32_e64 v18, v5, v18, s[28:29]
	v_cmp_ne_u32_e64 s[28:29], s70, v2
	v_cndmask_b32_e64 v2, v35, v18, s[28:29]
	v_cmp_lt_u32_e64 s[28:29], s57, v8
	v_cndmask_b32_e64 v2, 0, v2, s[28:29]
	v_mul_f32_e32 v18, v2, v16
	v_and_b32_e32 v2, 0x7f800000, v18
	v_cmp_ne_u64_e64 s[28:29], s[62:63], v[2:3]
                                        ; implicit-def: $vgpr52
	s_and_saveexec_b64 s[40:41], s[28:29]
	s_xor_b64 s[36:37], exec, s[40:41]
	s_cbranch_execz .LBB2_909
; %bb.896:                              ;   in Loop: Header=BB2_805 Depth=4
	v_and_b32_e32 v2, 0x7fffffff, v18
	v_cmp_gt_u64_e64 s[28:29], s[72:73], v[2:3]
	v_and_b32_sdwa v16, v18, s70 dst_sel:DWORD dst_unused:UNUSED_PAD src0_sel:BYTE_3 src1_sel:DWORD
                                        ; implicit-def: $vgpr52
	s_and_saveexec_b64 s[40:41], s[28:29]
	s_xor_b64 s[38:39], exec, s[40:41]
	s_cbranch_execz .LBB2_906
; %bb.897:                              ;   in Loop: Header=BB2_805 Depth=4
	v_mov_b32_e32 v52, 0
	v_cmp_ne_u32_e64 s[28:29], 0, v18
	s_and_saveexec_b64 s[48:49], s[28:29]
	s_cbranch_execz .LBB2_905
; %bb.898:                              ;   in Loop: Header=BB2_805 Depth=4
	v_bfe_u32 v24, v18, 23, 8
	v_and_b32_e32 v2, 0x7fffff, v18
	v_cmp_gt_u32_e64 s[40:41], s80, v24
	v_sub_u32_e32 v18, 0x79, v24
	v_cmp_eq_u32_e64 s[28:29], 0, v24
	v_cndmask_b32_e64 v18, 0, v18, s[40:41]
	v_cndmask_b32_e64 v25, v18, v1, s[28:29]
	v_or_b32_e32 v19, 0x800000, v2
	v_add_u32_e32 v18, 20, v25
	v_cndmask_b32_e64 v2, v19, v2, s[28:29]
	v_lshlrev_b64 v[18:19], v18, -1
	v_add_u32_e32 v27, 19, v25
	v_lshlrev_b64 v[40:41], v27, 1
	v_bfi_b32 v19, v19, 0, 0
	v_bfi_b32 v18, v18, 0, v2
	v_lshrrev_b64 v[59:60], v25, v[2:3]
	v_cmp_eq_u64_e64 s[40:41], v[18:19], v[40:41]
	v_mov_b32_e32 v18, v59
	v_mov_b32_e32 v19, v60
	s_and_saveexec_b64 s[50:51], s[40:41]
; %bb.899:                              ;   in Loop: Header=BB2_805 Depth=4
	v_bfe_u32 v2, v59, 20, 1
	v_add_co_u32_e64 v2, s[40:41], v59, v2
	v_add_co_u32_e64 v18, s[40:41], -1, v2
; %bb.900:                              ;   in Loop: Header=BB2_805 Depth=4
	s_or_b64 exec, exec, s[50:51]
	v_add_u32_e32 v2, 0xffffff81, v24
	v_cndmask_b32_e64 v2, v2, v0, s[28:29]
	v_lshrrev_b32_e32 v19, 23, v59
	v_add3_u32 v24, v25, v2, v19
	v_add_u32_e32 v19, 6, v24
	v_and_b32_e32 v2, 0xfffff, v18
	v_add_u32_e32 v2, v2, v59
	v_cmp_ne_u32_e64 s[28:29], 0, v19
                                        ; implicit-def: $vgpr59_vgpr60
                                        ; implicit-def: $vgpr18
	s_and_saveexec_b64 s[40:41], s[28:29]
	s_xor_b64 s[40:41], exec, s[40:41]
; %bb.901:                              ;   in Loop: Header=BB2_805 Depth=4
	v_cmp_lt_u64_e64 s[28:29], s[88:89], v[2:3]
	v_add_u32_e32 v18, 7, v24
	v_cndmask_b32_e64 v18, v19, v18, s[28:29]
	v_cndmask_b32_e64 v19, 0, 1, s[28:29]
	v_lshrrev_b64 v[59:60], v19, v[2:3]
; %bb.902:                              ;   in Loop: Header=BB2_805 Depth=4
	s_andn2_saveexec_b64 s[28:29], s[40:41]
; %bb.903:                              ;   in Loop: Header=BB2_805 Depth=4
	v_mov_b32_e32 v60, v3
	v_bfe_u32 v18, v2, 23, 1
	v_mov_b32_e32 v59, v2
; %bb.904:                              ;   in Loop: Header=BB2_805 Depth=4
	s_or_b64 exec, exec, s[28:29]
	v_lshrrev_b64 v[24:25], 20, v[59:60]
	v_cmp_gt_i32_e64 s[28:29], 16, v18
	v_cndmask_b32_e64 v25, 0, v25, s[28:29]
	v_cndmask_b32_e64 v24, 7, v24, s[28:29]
	v_min_i32_e32 v2, 15, v18
	v_cmp_eq_u64_e64 s[40:41], 0, v[24:25]
	v_lshlrev_b32_e32 v2, 3, v2
	v_cmp_eq_u32_e64 s[28:29], 0, v18
	v_and_b32_e32 v2, 0xf8, v2
	v_and_or_b32 v2, v24, 7, v2
	s_and_b64 s[28:29], s[28:29], s[40:41]
	v_cndmask_b32_e64 v2, v2, 0, s[28:29]
	v_or_b32_e32 v52, v2, v16
.LBB2_905:                              ;   in Loop: Header=BB2_805 Depth=4
	s_or_b64 exec, exec, s[48:49]
                                        ; implicit-def: $vgpr16
.LBB2_906:                              ;   in Loop: Header=BB2_805 Depth=4
	s_andn2_saveexec_b64 s[28:29], s[38:39]
; %bb.907:                              ;   in Loop: Header=BB2_805 Depth=4
	v_or_b32_e32 v52, 0x7e, v16
; %bb.908:                              ;   in Loop: Header=BB2_805 Depth=4
	s_or_b64 exec, exec, s[28:29]
                                        ; implicit-def: $vgpr18
.LBB2_909:                              ;   in Loop: Header=BB2_805 Depth=4
	s_andn2_saveexec_b64 s[28:29], s[36:37]
; %bb.910:                              ;   in Loop: Header=BB2_805 Depth=4
	v_or_b32_sdwa v52, v18, s71 dst_sel:DWORD dst_unused:UNUSED_PAD src0_sel:BYTE_3 src1_sel:DWORD
; %bb.911:                              ;   in Loop: Header=BB2_805 Depth=4
	s_or_b64 exec, exec, s[28:29]
	v_mov_b32_e32 v2, v13
	v_cmp_ne_u16_sdwa s[28:29], v13, v3 src0_sel:BYTE_0 src1_sel:DWORD
	v_mov_b32_e32 v16, 0
	s_and_saveexec_b64 s[40:41], s[28:29]
	s_cbranch_execz .LBB2_917
; %bb.912:                              ;   in Loop: Header=BB2_805 Depth=4
	v_cmp_ne_u16_sdwa s[28:29], v13, s70 src0_sel:BYTE_0 src1_sel:DWORD
	v_bfrev_b32_e32 v16, 1
	s_and_saveexec_b64 s[36:37], s[28:29]
	s_cbranch_execz .LBB2_916
; %bb.913:                              ;   in Loop: Header=BB2_805 Depth=4
	v_and_b32_e32 v18, 0x7f, v13
	v_cmp_ne_u32_e64 s[28:29], s71, v18
	v_mov_b32_e32 v16, 0x7f800001
	s_and_saveexec_b64 s[38:39], s[28:29]
	s_cbranch_execz .LBB2_915
; %bb.914:                              ;   in Loop: Header=BB2_805 Depth=4
	v_and_b32_e32 v16, 7, v13
	v_ffbh_u32_e32 v16, v16
	v_min_u32_e32 v16, 32, v16
	v_lshrrev_b32_e32 v19, 3, v18
	v_cmp_gt_u32_e64 s[28:29], 8, v18
	v_subrev_u32_e32 v18, 28, v16
	v_sub_u32_e32 v16, 29, v16
	v_cndmask_b32_e64 v18, 0, v18, s[28:29]
	v_cndmask_b32_e64 v16, v19, v16, s[28:29]
	v_lshlrev_b64 v[18:19], v18, v[2:3]
	v_lshlrev_b32_e32 v19, 24, v2
	v_lshlrev_b32_e32 v18, 20, v18
	v_and_b32_e32 v18, 0x700000, v18
	v_and_b32_e32 v19, 0x80000000, v19
	v_lshl_add_u32 v16, v16, 23, v49
	v_or3_b32 v16, v19, v16, v18
.LBB2_915:                              ;   in Loop: Header=BB2_805 Depth=4
	s_or_b64 exec, exec, s[38:39]
.LBB2_916:                              ;   in Loop: Header=BB2_805 Depth=4
	s_or_b64 exec, exec, s[36:37]
.LBB2_917:                              ;   in Loop: Header=BB2_805 Depth=4
	s_or_b64 exec, exec, s[40:41]
	v_cmp_gt_i16_sdwa s[40:41], v9, s71 src0_sel:BYTE_0 src1_sel:DWORD
	s_mov_b64 s[28:29], 0
	s_and_saveexec_b64 s[44:45], s[40:41]
	s_xor_b64 s[40:41], exec, s[44:45]
	s_cbranch_execz .LBB2_921
; %bb.918:                              ;   in Loop: Header=BB2_805 Depth=4
	v_cmp_eq_u16_sdwa s[44:45], v9, s70 src0_sel:BYTE_0 src1_sel:DWORD
	s_mov_b64 s[28:29], -1
	s_and_saveexec_b64 s[36:37], s[44:45]
; %bb.919:                              ;   in Loop: Header=BB2_805 Depth=4
	s_xor_b64 s[28:29], exec, -1
; %bb.920:                              ;   in Loop: Header=BB2_805 Depth=4
	s_or_b64 exec, exec, s[36:37]
	s_and_b64 s[28:29], s[28:29], exec
.LBB2_921:                              ;   in Loop: Header=BB2_805 Depth=4
	s_or_saveexec_b64 s[40:41], s[40:41]
	v_bfrev_b32_e32 v18, 1
	s_xor_b64 exec, exec, s[40:41]
; %bb.922:                              ;   in Loop: Header=BB2_805 Depth=4
	v_cmp_ne_u16_sdwa s[44:45], v9, v3 src0_sel:BYTE_0 src1_sel:DWORD
	s_andn2_b64 s[28:29], s[28:29], exec
	s_and_b64 s[44:45], s[44:45], exec
	v_mov_b32_e32 v18, 0
	s_or_b64 s[28:29], s[28:29], s[44:45]
; %bb.923:                              ;   in Loop: Header=BB2_805 Depth=4
	s_or_b64 exec, exec, s[40:41]
	v_mov_b32_e32 v59, v9
	v_mov_b32_e32 v60, v3
	s_and_saveexec_b64 s[40:41], s[28:29]
	s_cbranch_execz .LBB2_925
; %bb.924:                              ;   in Loop: Header=BB2_805 Depth=4
	v_and_b32_e32 v18, 7, v9
	v_ffbh_u32_e32 v18, v18
	v_and_b32_e32 v24, 0x7f, v9
	v_min_u32_e32 v18, 32, v18
	v_bfe_u32 v19, v9, 3, 4
	v_subrev_u32_e32 v25, 28, v18
	v_sub_u32_e32 v18, 29, v18
	v_cmp_gt_u32_e64 s[28:29], 8, v24
	v_cndmask_b32_e64 v27, v19, v18, s[28:29]
	v_cndmask_b32_e64 v18, 0, v25, s[28:29]
	v_lshlrev_b64 v[18:19], v18, v[59:60]
	v_lshlrev_b32_e32 v19, 24, v59
	v_lshlrev_b32_e32 v18, 20, v18
	v_and_b32_e32 v18, 0x700000, v18
	v_and_b32_e32 v19, 0x80000000, v19
	v_lshl_add_u32 v25, v27, 23, v49
	v_or3_b32 v18, v19, v25, v18
	v_cmp_ne_u32_e64 s[28:29], s71, v24
	v_cndmask_b32_e64 v18, v5, v18, s[28:29]
.LBB2_925:                              ;   in Loop: Header=BB2_805 Depth=4
	s_or_b64 exec, exec, s[40:41]
	v_mul_f32_e32 v18, v16, v18
	v_and_b32_e32 v24, 0x7f800000, v18
	v_mov_b32_e32 v25, v3
	v_cmp_ne_u64_e64 s[28:29], s[62:63], v[24:25]
                                        ; implicit-def: $vgpr61
	s_and_saveexec_b64 s[40:41], s[28:29]
	s_xor_b64 s[36:37], exec, s[40:41]
	s_cbranch_execz .LBB2_939
; %bb.926:                              ;   in Loop: Header=BB2_805 Depth=4
	v_and_b32_e32 v24, 0x7fffffff, v18
	v_mov_b32_e32 v25, v3
	v_cmp_gt_u64_e64 s[28:29], s[72:73], v[24:25]
	v_and_b32_sdwa v16, v18, s70 dst_sel:DWORD dst_unused:UNUSED_PAD src0_sel:BYTE_3 src1_sel:DWORD
                                        ; implicit-def: $vgpr61
	s_and_saveexec_b64 s[40:41], s[28:29]
	s_xor_b64 s[38:39], exec, s[40:41]
	s_cbranch_execz .LBB2_936
; %bb.927:                              ;   in Loop: Header=BB2_805 Depth=4
	v_mov_b32_e32 v61, 0
	v_cmp_ne_u32_e64 s[28:29], 0, v18
	s_and_saveexec_b64 s[48:49], s[28:29]
	s_cbranch_execz .LBB2_935
; %bb.928:                              ;   in Loop: Header=BB2_805 Depth=4
	v_bfe_u32 v24, v18, 23, 8
	v_and_b32_e32 v19, 0x7fffff, v18
	v_cmp_gt_u32_e64 s[40:41], s80, v24
	v_sub_u32_e32 v18, 0x79, v24
	v_cmp_eq_u32_e64 s[28:29], 0, v24
	v_cndmask_b32_e64 v18, 0, v18, s[40:41]
	v_or_b32_e32 v27, 0x800000, v19
	v_cndmask_b32_e64 v25, v18, v1, s[28:29]
	v_cndmask_b32_e64 v18, v27, v19, s[28:29]
	v_add_u32_e32 v27, 20, v25
	v_lshlrev_b64 v[40:41], v27, -1
	v_add_u32_e32 v27, 19, v25
	v_lshlrev_b64 v[60:61], v27, 1
	v_mov_b32_e32 v19, v3
	v_bfi_b32 v41, v41, 0, 0
	v_bfi_b32 v40, v40, 0, v18
	v_cmp_eq_u64_e64 s[40:41], v[40:41], v[60:61]
	v_lshrrev_b64 v[60:61], v25, v[18:19]
	v_mov_b32_e32 v18, v60
	v_mov_b32_e32 v19, v61
	s_and_saveexec_b64 s[50:51], s[40:41]
; %bb.929:                              ;   in Loop: Header=BB2_805 Depth=4
	v_bfe_u32 v18, v60, 20, 1
	v_add_co_u32_e64 v18, s[40:41], v60, v18
	v_add_co_u32_e64 v18, s[40:41], -1, v18
; %bb.930:                              ;   in Loop: Header=BB2_805 Depth=4
	s_or_b64 exec, exec, s[50:51]
	v_add_u32_e32 v19, 0xffffff81, v24
	v_cndmask_b32_e64 v19, v19, v0, s[28:29]
	v_lshrrev_b32_e32 v24, 23, v60
	v_add3_u32 v24, v25, v19, v24
	v_add_u32_e32 v19, 6, v24
	v_and_b32_e32 v18, 0xfffff, v18
	v_add_u32_e32 v60, v18, v60
	v_mov_b32_e32 v61, v3
	v_cmp_ne_u32_e64 s[28:29], 0, v19
                                        ; implicit-def: $vgpr18
	s_and_saveexec_b64 s[40:41], s[28:29]
	s_xor_b64 s[40:41], exec, s[40:41]
; %bb.931:                              ;   in Loop: Header=BB2_805 Depth=4
	v_cmp_lt_u64_e64 s[28:29], s[88:89], v[60:61]
	v_add_u32_e32 v18, 7, v24
	v_cndmask_b32_e64 v18, v19, v18, s[28:29]
	v_cndmask_b32_e64 v19, 0, 1, s[28:29]
	v_lshrrev_b64 v[60:61], v19, v[60:61]
; %bb.932:                              ;   in Loop: Header=BB2_805 Depth=4
	s_andn2_saveexec_b64 s[28:29], s[40:41]
; %bb.933:                              ;   in Loop: Header=BB2_805 Depth=4
	v_bfe_u32 v18, v60, 23, 1
; %bb.934:                              ;   in Loop: Header=BB2_805 Depth=4
	s_or_b64 exec, exec, s[28:29]
	v_lshrrev_b64 v[24:25], 20, v[60:61]
	v_cmp_gt_i32_e64 s[28:29], 16, v18
	v_cndmask_b32_e64 v25, 0, v25, s[28:29]
	v_cndmask_b32_e64 v24, 7, v24, s[28:29]
	v_cmp_eq_u32_e64 s[28:29], 0, v18
	v_min_i32_e32 v18, 15, v18
	v_cmp_eq_u64_e64 s[40:41], 0, v[24:25]
	v_lshlrev_b32_e32 v18, 3, v18
	v_and_b32_e32 v18, 0xf8, v18
	v_and_or_b32 v18, v24, 7, v18
	s_and_b64 s[28:29], s[28:29], s[40:41]
	v_cndmask_b32_e64 v18, v18, 0, s[28:29]
	v_or_b32_e32 v61, v18, v16
.LBB2_935:                              ;   in Loop: Header=BB2_805 Depth=4
	s_or_b64 exec, exec, s[48:49]
                                        ; implicit-def: $vgpr16
.LBB2_936:                              ;   in Loop: Header=BB2_805 Depth=4
	s_andn2_saveexec_b64 s[28:29], s[38:39]
; %bb.937:                              ;   in Loop: Header=BB2_805 Depth=4
	v_or_b32_e32 v61, 0x7e, v16
; %bb.938:                              ;   in Loop: Header=BB2_805 Depth=4
	s_or_b64 exec, exec, s[28:29]
                                        ; implicit-def: $vgpr18
.LBB2_939:                              ;   in Loop: Header=BB2_805 Depth=4
	s_andn2_saveexec_b64 s[28:29], s[36:37]
; %bb.940:                              ;   in Loop: Header=BB2_805 Depth=4
	v_or_b32_sdwa v61, v18, s71 dst_sel:DWORD dst_unused:UNUSED_PAD src0_sel:BYTE_3 src1_sel:DWORD
; %bb.941:                              ;   in Loop: Header=BB2_805 Depth=4
	s_or_b64 exec, exec, s[28:29]
	v_lshrrev_b16_e32 v30, 8, v2
	v_cmp_ne_u16_e64 s[28:29], 0, v30
	v_mov_b32_e32 v16, 0
	s_and_saveexec_b64 s[40:41], s[28:29]
	s_cbranch_execz .LBB2_947
; %bb.942:                              ;   in Loop: Header=BB2_805 Depth=4
	v_cmp_ne_u16_e64 s[28:29], s70, v30
	v_bfrev_b32_e32 v16, 1
	s_and_saveexec_b64 s[36:37], s[28:29]
	s_cbranch_execz .LBB2_946
; %bb.943:                              ;   in Loop: Header=BB2_805 Depth=4
	v_and_b32_e32 v18, 0x7f, v30
	v_cmp_ne_u32_e64 s[28:29], s71, v18
	v_mov_b32_e32 v16, 0x7f800001
	s_and_saveexec_b64 s[38:39], s[28:29]
	s_cbranch_execz .LBB2_945
; %bb.944:                              ;   in Loop: Header=BB2_805 Depth=4
	v_and_b32_e32 v16, 7, v30
	v_lshrrev_b32_e32 v24, 3, v18
	v_cmp_gt_u32_e64 s[28:29], 8, v18
	v_ffbh_u32_e32 v18, v16
	v_min_u32_e32 v25, 32, v18
	v_subrev_u32_e32 v18, 28, v25
	v_lshlrev_b64 v[18:19], v18, v[30:31]
	v_sub_u32_e32 v19, 29, v25
	v_and_b32_e32 v18, 7, v18
	v_cndmask_b32_e64 v19, v24, v19, s[28:29]
	v_cndmask_b32_e64 v16, v16, v18, s[28:29]
	v_lshlrev_b32_e32 v2, 16, v2
	v_lshlrev_b32_e32 v16, 20, v16
	v_and_b32_e32 v2, 0x80000000, v2
	v_lshl_add_u32 v18, v19, 23, v49
	v_or3_b32 v16, v2, v18, v16
.LBB2_945:                              ;   in Loop: Header=BB2_805 Depth=4
	s_or_b64 exec, exec, s[38:39]
.LBB2_946:                              ;   in Loop: Header=BB2_805 Depth=4
	s_or_b64 exec, exec, s[36:37]
.LBB2_947:                              ;   in Loop: Header=BB2_805 Depth=4
	s_or_b64 exec, exec, s[40:41]
	v_lshrrev_b16_e32 v2, 8, v59
	v_cmp_lt_i16_e64 s[28:29], s71, v2
	s_mov_b64 s[40:41], 0
	s_and_saveexec_b64 s[44:45], s[28:29]
	s_xor_b64 s[36:37], exec, s[44:45]
	s_cbranch_execz .LBB2_1239
; %bb.948:                              ;   in Loop: Header=BB2_805 Depth=4
	v_cmp_eq_u16_e64 s[28:29], s70, v2
	s_mov_b64 s[40:41], -1
	s_and_saveexec_b64 s[38:39], s[28:29]
; %bb.949:                              ;   in Loop: Header=BB2_805 Depth=4
	s_xor_b64 s[40:41], exec, -1
; %bb.950:                              ;   in Loop: Header=BB2_805 Depth=4
	s_or_b64 exec, exec, s[38:39]
	s_and_b64 s[40:41], s[40:41], exec
	s_or_saveexec_b64 s[36:37], s[36:37]
	v_bfrev_b32_e32 v18, 1
	s_xor_b64 exec, exec, s[36:37]
	s_cbranch_execnz .LBB2_1240
.LBB2_951:                              ;   in Loop: Header=BB2_805 Depth=4
	s_or_b64 exec, exec, s[36:37]
	s_and_saveexec_b64 s[36:37], s[40:41]
	s_cbranch_execz .LBB2_953
.LBB2_952:                              ;   in Loop: Header=BB2_805 Depth=4
	v_and_b32_e32 v24, 7, v2
	v_ffbh_u32_e32 v18, v24
	v_min_u32_e32 v30, 32, v18
	v_subrev_u32_e32 v18, 28, v30
	v_lshlrev_b64 v[18:19], v18, v[2:3]
	v_and_b32_e32 v25, 0x7f, v2
	v_bfe_u32 v27, v2, 3, 4
	v_sub_u32_e32 v19, 29, v30
	v_and_b32_e32 v18, 7, v18
	v_cmp_gt_u32_e64 s[28:29], 8, v25
	v_cndmask_b32_e64 v19, v27, v19, s[28:29]
	v_cndmask_b32_e64 v18, v24, v18, s[28:29]
	v_lshlrev_b32_e32 v2, 24, v2
	v_lshlrev_b32_e32 v18, 20, v18
	v_and_b32_e32 v2, 0x80000000, v2
	v_lshl_add_u32 v19, v19, 23, v49
	v_or3_b32 v2, v2, v19, v18
	v_cmp_ne_u32_e64 s[28:29], s71, v25
	v_cndmask_b32_e64 v18, v5, v2, s[28:29]
.LBB2_953:                              ;   in Loop: Header=BB2_805 Depth=4
	s_or_b64 exec, exec, s[36:37]
	v_mul_f32_e32 v18, v16, v18
	v_and_b32_e32 v2, 0x7f800000, v18
	v_cmp_ne_u64_e64 s[28:29], s[62:63], v[2:3]
                                        ; implicit-def: $vgpr30
	s_and_saveexec_b64 s[40:41], s[28:29]
	s_xor_b64 s[36:37], exec, s[40:41]
	s_cbranch_execz .LBB2_967
; %bb.954:                              ;   in Loop: Header=BB2_805 Depth=4
	v_and_b32_e32 v2, 0x7fffffff, v18
	v_cmp_gt_u64_e64 s[28:29], s[72:73], v[2:3]
	v_and_b32_sdwa v16, v18, s70 dst_sel:DWORD dst_unused:UNUSED_PAD src0_sel:BYTE_3 src1_sel:DWORD
                                        ; implicit-def: $vgpr30
	s_and_saveexec_b64 s[40:41], s[28:29]
	s_xor_b64 s[38:39], exec, s[40:41]
	s_cbranch_execz .LBB2_964
; %bb.955:                              ;   in Loop: Header=BB2_805 Depth=4
	v_mov_b32_e32 v30, 0
	v_cmp_ne_u32_e64 s[28:29], 0, v18
	s_and_saveexec_b64 s[48:49], s[28:29]
	s_cbranch_execz .LBB2_963
; %bb.956:                              ;   in Loop: Header=BB2_805 Depth=4
	v_bfe_u32 v24, v18, 23, 8
	v_and_b32_e32 v2, 0x7fffff, v18
	v_cmp_gt_u32_e64 s[40:41], s80, v24
	v_sub_u32_e32 v18, 0x79, v24
	v_cmp_eq_u32_e64 s[28:29], 0, v24
	v_cndmask_b32_e64 v18, 0, v18, s[40:41]
	v_cndmask_b32_e64 v25, v18, v1, s[28:29]
	v_or_b32_e32 v19, 0x800000, v2
	v_add_u32_e32 v18, 20, v25
	v_cndmask_b32_e64 v2, v19, v2, s[28:29]
	v_lshlrev_b64 v[18:19], v18, -1
	v_add_u32_e32 v27, 19, v25
	v_lshlrev_b64 v[40:41], v27, 1
	v_bfi_b32 v19, v19, 0, 0
	v_bfi_b32 v18, v18, 0, v2
	v_lshrrev_b64 v[59:60], v25, v[2:3]
	v_cmp_eq_u64_e64 s[40:41], v[18:19], v[40:41]
	v_mov_b32_e32 v18, v59
	v_mov_b32_e32 v19, v60
	s_and_saveexec_b64 s[50:51], s[40:41]
; %bb.957:                              ;   in Loop: Header=BB2_805 Depth=4
	v_bfe_u32 v2, v59, 20, 1
	v_add_co_u32_e64 v2, s[40:41], v59, v2
	v_add_co_u32_e64 v18, s[40:41], -1, v2
; %bb.958:                              ;   in Loop: Header=BB2_805 Depth=4
	s_or_b64 exec, exec, s[50:51]
	v_add_u32_e32 v2, 0xffffff81, v24
	v_cndmask_b32_e64 v2, v2, v0, s[28:29]
	v_lshrrev_b32_e32 v19, 23, v59
	v_add3_u32 v24, v25, v2, v19
	v_add_u32_e32 v19, 6, v24
	v_and_b32_e32 v2, 0xfffff, v18
	v_add_u32_e32 v2, v2, v59
	v_cmp_ne_u32_e64 s[28:29], 0, v19
                                        ; implicit-def: $vgpr59_vgpr60
                                        ; implicit-def: $vgpr18
	s_and_saveexec_b64 s[40:41], s[28:29]
	s_xor_b64 s[40:41], exec, s[40:41]
; %bb.959:                              ;   in Loop: Header=BB2_805 Depth=4
	v_cmp_lt_u64_e64 s[28:29], s[88:89], v[2:3]
	v_add_u32_e32 v18, 7, v24
	v_cndmask_b32_e64 v18, v19, v18, s[28:29]
	v_cndmask_b32_e64 v19, 0, 1, s[28:29]
	v_lshrrev_b64 v[59:60], v19, v[2:3]
; %bb.960:                              ;   in Loop: Header=BB2_805 Depth=4
	s_andn2_saveexec_b64 s[28:29], s[40:41]
; %bb.961:                              ;   in Loop: Header=BB2_805 Depth=4
	v_mov_b32_e32 v60, v3
	v_bfe_u32 v18, v2, 23, 1
	v_mov_b32_e32 v59, v2
; %bb.962:                              ;   in Loop: Header=BB2_805 Depth=4
	s_or_b64 exec, exec, s[28:29]
	v_lshrrev_b64 v[24:25], 20, v[59:60]
	v_cmp_gt_i32_e64 s[28:29], 16, v18
	v_cndmask_b32_e64 v25, 0, v25, s[28:29]
	v_cndmask_b32_e64 v24, 7, v24, s[28:29]
	v_min_i32_e32 v2, 15, v18
	v_cmp_eq_u64_e64 s[40:41], 0, v[24:25]
	v_lshlrev_b32_e32 v2, 3, v2
	v_cmp_eq_u32_e64 s[28:29], 0, v18
	v_and_b32_e32 v2, 0xf8, v2
	v_and_or_b32 v2, v24, 7, v2
	s_and_b64 s[28:29], s[28:29], s[40:41]
	v_cndmask_b32_e64 v2, v2, 0, s[28:29]
	v_or_b32_e32 v30, v2, v16
.LBB2_963:                              ;   in Loop: Header=BB2_805 Depth=4
	s_or_b64 exec, exec, s[48:49]
                                        ; implicit-def: $vgpr16
.LBB2_964:                              ;   in Loop: Header=BB2_805 Depth=4
	s_andn2_saveexec_b64 s[28:29], s[38:39]
; %bb.965:                              ;   in Loop: Header=BB2_805 Depth=4
	v_or_b32_e32 v30, 0x7e, v16
; %bb.966:                              ;   in Loop: Header=BB2_805 Depth=4
	s_or_b64 exec, exec, s[28:29]
                                        ; implicit-def: $vgpr18
.LBB2_967:                              ;   in Loop: Header=BB2_805 Depth=4
	s_andn2_saveexec_b64 s[28:29], s[36:37]
; %bb.968:                              ;   in Loop: Header=BB2_805 Depth=4
	v_or_b32_sdwa v30, v18, s71 dst_sel:DWORD dst_unused:UNUSED_PAD src0_sel:BYTE_3 src1_sel:DWORD
; %bb.969:                              ;   in Loop: Header=BB2_805 Depth=4
	s_or_b64 exec, exec, s[28:29]
	v_lshrrev_b32_e32 v2, 16, v13
	v_cmp_ne_u16_sdwa s[28:29], v2, v3 src0_sel:BYTE_0 src1_sel:DWORD
	v_mov_b32_e32 v16, 0
	s_and_saveexec_b64 s[40:41], s[28:29]
	s_cbranch_execz .LBB2_975
; %bb.970:                              ;   in Loop: Header=BB2_805 Depth=4
	v_cmp_ne_u16_sdwa s[28:29], v2, s70 src0_sel:BYTE_0 src1_sel:DWORD
	v_bfrev_b32_e32 v16, 1
	s_and_saveexec_b64 s[36:37], s[28:29]
	s_cbranch_execz .LBB2_974
; %bb.971:                              ;   in Loop: Header=BB2_805 Depth=4
	v_bfe_u32 v18, v13, 16, 7
	v_cmp_ne_u32_e64 s[28:29], s71, v18
	v_mov_b32_e32 v16, 0x7f800001
	s_and_saveexec_b64 s[38:39], s[28:29]
	s_cbranch_execz .LBB2_973
; %bb.972:                              ;   in Loop: Header=BB2_805 Depth=4
	v_and_b32_e32 v16, 7, v2
	v_lshrrev_b32_e32 v24, 3, v18
	v_cmp_gt_u32_e64 s[28:29], 8, v18
	v_ffbh_u32_e32 v18, v16
	v_min_u32_e32 v25, 32, v18
	v_subrev_u32_e32 v18, 28, v25
	v_lshlrev_b64 v[18:19], v18, v[2:3]
	v_sub_u32_e32 v19, 29, v25
	v_and_b32_e32 v18, 7, v18
	v_cndmask_b32_e64 v19, v24, v19, s[28:29]
	v_cndmask_b32_e64 v16, v16, v18, s[28:29]
	v_lshlrev_b32_e32 v2, 24, v2
	v_lshlrev_b32_e32 v16, 20, v16
	v_and_b32_e32 v2, 0x80000000, v2
	v_lshl_add_u32 v18, v19, 23, v49
	v_or3_b32 v16, v2, v18, v16
.LBB2_973:                              ;   in Loop: Header=BB2_805 Depth=4
	s_or_b64 exec, exec, s[38:39]
.LBB2_974:                              ;   in Loop: Header=BB2_805 Depth=4
	s_or_b64 exec, exec, s[36:37]
.LBB2_975:                              ;   in Loop: Header=BB2_805 Depth=4
	s_or_b64 exec, exec, s[40:41]
	v_lshrrev_b32_e32 v2, 16, v9
	v_cmp_gt_i16_sdwa s[40:41], v2, s71 src0_sel:BYTE_0 src1_sel:DWORD
	s_mov_b64 s[28:29], 0
	s_and_saveexec_b64 s[44:45], s[40:41]
	s_xor_b64 s[40:41], exec, s[44:45]
	s_cbranch_execz .LBB2_1241
; %bb.976:                              ;   in Loop: Header=BB2_805 Depth=4
	v_cmp_eq_u16_sdwa s[44:45], v2, s70 src0_sel:BYTE_0 src1_sel:DWORD
	s_mov_b64 s[28:29], -1
	s_and_saveexec_b64 s[36:37], s[44:45]
; %bb.977:                              ;   in Loop: Header=BB2_805 Depth=4
	s_xor_b64 s[28:29], exec, -1
; %bb.978:                              ;   in Loop: Header=BB2_805 Depth=4
	s_or_b64 exec, exec, s[36:37]
	s_and_b64 s[28:29], s[28:29], exec
	s_or_saveexec_b64 s[40:41], s[40:41]
	v_bfrev_b32_e32 v18, 1
	s_xor_b64 exec, exec, s[40:41]
	s_cbranch_execnz .LBB2_1242
.LBB2_979:                              ;   in Loop: Header=BB2_805 Depth=4
	s_or_b64 exec, exec, s[40:41]
	s_and_saveexec_b64 s[40:41], s[28:29]
	s_cbranch_execz .LBB2_981
.LBB2_980:                              ;   in Loop: Header=BB2_805 Depth=4
	v_and_b32_e32 v24, 7, v2
	v_ffbh_u32_e32 v18, v24
	v_min_u32_e32 v36, 32, v18
	v_subrev_u32_e32 v18, 28, v36
	v_lshlrev_b64 v[18:19], v18, v[2:3]
	v_and_b32_e32 v25, 0x7f, v2
	v_bfe_u32 v27, v2, 3, 4
	v_sub_u32_e32 v19, 29, v36
	v_and_b32_e32 v18, 7, v18
	v_cmp_gt_u32_e64 s[28:29], 8, v25
	v_cndmask_b32_e64 v19, v27, v19, s[28:29]
	v_cndmask_b32_e64 v18, v24, v18, s[28:29]
	v_lshlrev_b32_e32 v2, 24, v2
	v_lshlrev_b32_e32 v18, 20, v18
	v_and_b32_e32 v2, 0x80000000, v2
	v_lshl_add_u32 v19, v19, 23, v49
	v_or3_b32 v2, v2, v19, v18
	v_cmp_ne_u32_e64 s[28:29], s71, v25
	v_cndmask_b32_e64 v18, v5, v2, s[28:29]
.LBB2_981:                              ;   in Loop: Header=BB2_805 Depth=4
	s_or_b64 exec, exec, s[40:41]
	v_mul_f32_e32 v18, v16, v18
	v_and_b32_e32 v2, 0x7f800000, v18
	v_cmp_ne_u64_e64 s[28:29], s[62:63], v[2:3]
                                        ; implicit-def: $vgpr59
	s_and_saveexec_b64 s[40:41], s[28:29]
	s_xor_b64 s[36:37], exec, s[40:41]
	s_cbranch_execz .LBB2_995
; %bb.982:                              ;   in Loop: Header=BB2_805 Depth=4
	v_and_b32_e32 v2, 0x7fffffff, v18
	v_cmp_gt_u64_e64 s[28:29], s[72:73], v[2:3]
	v_and_b32_sdwa v16, v18, s70 dst_sel:DWORD dst_unused:UNUSED_PAD src0_sel:BYTE_3 src1_sel:DWORD
                                        ; implicit-def: $vgpr59
	s_and_saveexec_b64 s[40:41], s[28:29]
	s_xor_b64 s[38:39], exec, s[40:41]
	s_cbranch_execz .LBB2_992
; %bb.983:                              ;   in Loop: Header=BB2_805 Depth=4
	v_mov_b32_e32 v59, 0
	v_cmp_ne_u32_e64 s[28:29], 0, v18
	s_and_saveexec_b64 s[48:49], s[28:29]
	s_cbranch_execz .LBB2_991
; %bb.984:                              ;   in Loop: Header=BB2_805 Depth=4
	v_bfe_u32 v24, v18, 23, 8
	v_and_b32_e32 v2, 0x7fffff, v18
	v_cmp_gt_u32_e64 s[40:41], s80, v24
	v_sub_u32_e32 v18, 0x79, v24
	v_cmp_eq_u32_e64 s[28:29], 0, v24
	v_cndmask_b32_e64 v18, 0, v18, s[40:41]
	v_cndmask_b32_e64 v25, v18, v1, s[28:29]
	v_or_b32_e32 v19, 0x800000, v2
	v_add_u32_e32 v18, 20, v25
	v_cndmask_b32_e64 v2, v19, v2, s[28:29]
	v_lshlrev_b64 v[18:19], v18, -1
	v_add_u32_e32 v27, 19, v25
	v_lshlrev_b64 v[40:41], v27, 1
	v_bfi_b32 v19, v19, 0, 0
	v_bfi_b32 v18, v18, 0, v2
	v_lshrrev_b64 v[59:60], v25, v[2:3]
	v_cmp_eq_u64_e64 s[40:41], v[18:19], v[40:41]
	v_mov_b32_e32 v18, v59
	v_mov_b32_e32 v19, v60
	s_and_saveexec_b64 s[50:51], s[40:41]
; %bb.985:                              ;   in Loop: Header=BB2_805 Depth=4
	v_bfe_u32 v2, v59, 20, 1
	v_add_co_u32_e64 v2, s[40:41], v59, v2
	v_add_co_u32_e64 v18, s[40:41], -1, v2
; %bb.986:                              ;   in Loop: Header=BB2_805 Depth=4
	s_or_b64 exec, exec, s[50:51]
	v_add_u32_e32 v2, 0xffffff81, v24
	v_cndmask_b32_e64 v2, v2, v0, s[28:29]
	v_lshrrev_b32_e32 v19, 23, v59
	v_add3_u32 v24, v25, v2, v19
	v_add_u32_e32 v19, 6, v24
	v_and_b32_e32 v2, 0xfffff, v18
	v_add_u32_e32 v2, v2, v59
	v_cmp_ne_u32_e64 s[28:29], 0, v19
                                        ; implicit-def: $vgpr59_vgpr60
                                        ; implicit-def: $vgpr18
	s_and_saveexec_b64 s[40:41], s[28:29]
	s_xor_b64 s[40:41], exec, s[40:41]
; %bb.987:                              ;   in Loop: Header=BB2_805 Depth=4
	v_cmp_lt_u64_e64 s[28:29], s[88:89], v[2:3]
	v_add_u32_e32 v18, 7, v24
	v_cndmask_b32_e64 v18, v19, v18, s[28:29]
	v_cndmask_b32_e64 v19, 0, 1, s[28:29]
	v_lshrrev_b64 v[59:60], v19, v[2:3]
; %bb.988:                              ;   in Loop: Header=BB2_805 Depth=4
	s_andn2_saveexec_b64 s[28:29], s[40:41]
; %bb.989:                              ;   in Loop: Header=BB2_805 Depth=4
	v_mov_b32_e32 v60, v3
	v_bfe_u32 v18, v2, 23, 1
	v_mov_b32_e32 v59, v2
; %bb.990:                              ;   in Loop: Header=BB2_805 Depth=4
	s_or_b64 exec, exec, s[28:29]
	v_lshrrev_b64 v[24:25], 20, v[59:60]
	v_cmp_gt_i32_e64 s[28:29], 16, v18
	v_cndmask_b32_e64 v25, 0, v25, s[28:29]
	v_cndmask_b32_e64 v24, 7, v24, s[28:29]
	v_min_i32_e32 v2, 15, v18
	v_cmp_eq_u64_e64 s[40:41], 0, v[24:25]
	v_lshlrev_b32_e32 v2, 3, v2
	v_cmp_eq_u32_e64 s[28:29], 0, v18
	v_and_b32_e32 v2, 0xf8, v2
	v_and_or_b32 v2, v24, 7, v2
	s_and_b64 s[28:29], s[28:29], s[40:41]
	v_cndmask_b32_e64 v2, v2, 0, s[28:29]
	v_or_b32_e32 v59, v2, v16
.LBB2_991:                              ;   in Loop: Header=BB2_805 Depth=4
	s_or_b64 exec, exec, s[48:49]
                                        ; implicit-def: $vgpr16
.LBB2_992:                              ;   in Loop: Header=BB2_805 Depth=4
	s_andn2_saveexec_b64 s[28:29], s[38:39]
; %bb.993:                              ;   in Loop: Header=BB2_805 Depth=4
	v_or_b32_e32 v59, 0x7e, v16
; %bb.994:                              ;   in Loop: Header=BB2_805 Depth=4
	s_or_b64 exec, exec, s[28:29]
                                        ; implicit-def: $vgpr18
.LBB2_995:                              ;   in Loop: Header=BB2_805 Depth=4
	s_andn2_saveexec_b64 s[28:29], s[36:37]
; %bb.996:                              ;   in Loop: Header=BB2_805 Depth=4
	v_or_b32_sdwa v59, v18, s71 dst_sel:DWORD dst_unused:UNUSED_PAD src0_sel:BYTE_3 src1_sel:DWORD
; %bb.997:                              ;   in Loop: Header=BB2_805 Depth=4
	s_or_b64 exec, exec, s[28:29]
	v_cmp_lt_u64_e64 s[28:29], s[56:57], v[12:13]
	v_mov_b32_e32 v12, 0
	s_and_saveexec_b64 s[40:41], s[28:29]
	s_cbranch_execz .LBB2_1003
; %bb.998:                              ;   in Loop: Header=BB2_805 Depth=4
	v_lshrrev_b32_e32 v2, 24, v13
	v_cmp_ne_u32_e64 s[28:29], s70, v2
	v_bfrev_b32_e32 v12, 1
	s_and_saveexec_b64 s[36:37], s[28:29]
	s_cbranch_execz .LBB2_1002
; %bb.999:                              ;   in Loop: Header=BB2_805 Depth=4
	v_bfe_u32 v13, v13, 24, 7
	v_cmp_ne_u32_e64 s[28:29], s71, v13
	v_mov_b32_e32 v12, 0x7f800001
	s_and_saveexec_b64 s[38:39], s[28:29]
	s_cbranch_execz .LBB2_1001
; %bb.1000:                             ;   in Loop: Header=BB2_805 Depth=4
	v_and_b32_e32 v16, 7, v2
	v_ffbh_u32_e32 v12, v16
	v_min_u32_e32 v19, 32, v12
	v_subrev_u32_e32 v12, 28, v19
	v_lshrrev_b32_e32 v18, 3, v13
	v_cmp_gt_u32_e64 s[28:29], 8, v13
	v_lshlrev_b64 v[12:13], v12, v[2:3]
	v_sub_u32_e32 v13, 29, v19
	v_and_b32_e32 v12, 7, v12
	v_cndmask_b32_e64 v13, v18, v13, s[28:29]
	v_cndmask_b32_e64 v12, v16, v12, s[28:29]
	v_lshlrev_b32_e32 v2, 24, v2
	v_lshlrev_b32_e32 v12, 20, v12
	v_and_b32_e32 v2, 0x80000000, v2
	v_lshl_add_u32 v13, v13, 23, v49
	v_or3_b32 v12, v2, v13, v12
.LBB2_1001:                             ;   in Loop: Header=BB2_805 Depth=4
	s_or_b64 exec, exec, s[38:39]
.LBB2_1002:                             ;   in Loop: Header=BB2_805 Depth=4
	s_or_b64 exec, exec, s[36:37]
.LBB2_1003:                             ;   in Loop: Header=BB2_805 Depth=4
	s_or_b64 exec, exec, s[40:41]
	v_bfe_u32 v13, v9, 24, 3
	v_ffbh_u32_e32 v18, v13
	v_min_u32_e32 v25, 32, v18
	v_lshrrev_b32_e32 v2, 24, v9
	v_subrev_u32_e32 v18, 28, v25
	v_lshlrev_b64 v[18:19], v18, v[2:3]
	v_bfe_u32 v16, v9, 24, 7
	v_bfe_u32 v24, v2, 3, 4
	v_sub_u32_e32 v19, 29, v25
	v_and_b32_e32 v18, 7, v18
	v_cmp_gt_u32_e64 s[28:29], 8, v16
	v_cndmask_b32_e64 v19, v24, v19, s[28:29]
	v_cndmask_b32_e64 v13, v13, v18, s[28:29]
	v_lshlrev_b32_e32 v13, 20, v13
	v_and_b32_e32 v18, 0x80000000, v9
	v_lshl_add_u32 v19, v19, 23, v49
	v_or3_b32 v13, v18, v19, v13
	v_cmp_ne_u32_e64 s[28:29], s71, v16
	v_cndmask_b32_e64 v13, v5, v13, s[28:29]
	v_cmp_ne_u32_e64 s[28:29], s70, v2
	v_cndmask_b32_e64 v2, v35, v13, s[28:29]
	v_cmp_lt_u64_e64 s[28:29], s[56:57], v[8:9]
                                        ; implicit-def: $vgpr60
	v_cndmask_b32_e64 v2, 0, v2, s[28:29]
	v_mul_f32_e32 v8, v2, v12
	v_and_b32_e32 v2, 0x7f800000, v8
	v_cmp_ne_u64_e64 s[28:29], s[62:63], v[2:3]
	s_and_saveexec_b64 s[40:41], s[28:29]
	s_xor_b64 s[36:37], exec, s[40:41]
	s_cbranch_execz .LBB2_1017
; %bb.1004:                             ;   in Loop: Header=BB2_805 Depth=4
	v_and_b32_e32 v2, 0x7fffffff, v8
	v_cmp_gt_u64_e64 s[28:29], s[72:73], v[2:3]
	v_and_b32_sdwa v16, v8, s70 dst_sel:DWORD dst_unused:UNUSED_PAD src0_sel:BYTE_3 src1_sel:DWORD
                                        ; implicit-def: $vgpr60
	s_and_saveexec_b64 s[40:41], s[28:29]
	s_xor_b64 s[38:39], exec, s[40:41]
	s_cbranch_execz .LBB2_1014
; %bb.1005:                             ;   in Loop: Header=BB2_805 Depth=4
	v_mov_b32_e32 v60, 0
	v_cmp_ne_u32_e64 s[28:29], 0, v8
	s_and_saveexec_b64 s[48:49], s[28:29]
	s_cbranch_execz .LBB2_1013
; %bb.1006:                             ;   in Loop: Header=BB2_805 Depth=4
	v_bfe_u32 v18, v8, 23, 8
	v_and_b32_e32 v2, 0x7fffff, v8
	v_cmp_gt_u32_e64 s[40:41], s80, v18
	v_sub_u32_e32 v8, 0x79, v18
	v_cmp_eq_u32_e64 s[28:29], 0, v18
	v_cndmask_b32_e64 v8, 0, v8, s[40:41]
	v_cndmask_b32_e64 v19, v8, v1, s[28:29]
	v_or_b32_e32 v9, 0x800000, v2
	v_add_u32_e32 v8, 20, v19
	v_cndmask_b32_e64 v2, v9, v2, s[28:29]
	v_lshlrev_b64 v[8:9], v8, -1
	v_add_u32_e32 v12, 19, v19
	v_lshlrev_b64 v[12:13], v12, 1
	v_bfi_b32 v9, v9, 0, 0
	v_bfi_b32 v8, v8, 0, v2
	v_cmp_eq_u64_e64 s[40:41], v[8:9], v[12:13]
	v_lshrrev_b64 v[8:9], v19, v[2:3]
	v_mov_b32_e32 v13, v9
	v_mov_b32_e32 v12, v8
	s_and_saveexec_b64 s[50:51], s[40:41]
; %bb.1007:                             ;   in Loop: Header=BB2_805 Depth=4
	v_bfe_u32 v2, v8, 20, 1
	v_add_co_u32_e64 v2, s[40:41], v8, v2
	v_add_co_u32_e64 v12, s[40:41], -1, v2
; %bb.1008:                             ;   in Loop: Header=BB2_805 Depth=4
	s_or_b64 exec, exec, s[50:51]
	v_add_u32_e32 v2, 0xffffff81, v18
	v_cndmask_b32_e64 v2, v2, v0, s[28:29]
	v_lshrrev_b32_e32 v9, 23, v8
	v_add3_u32 v18, v19, v2, v9
	v_add_u32_e32 v13, 6, v18
	v_and_b32_e32 v2, 0xfffff, v12
	v_add_u32_e32 v2, v2, v8
	v_cmp_ne_u32_e64 s[28:29], 0, v13
                                        ; implicit-def: $vgpr8_vgpr9
                                        ; implicit-def: $vgpr12
	s_and_saveexec_b64 s[40:41], s[28:29]
	s_xor_b64 s[40:41], exec, s[40:41]
; %bb.1009:                             ;   in Loop: Header=BB2_805 Depth=4
	v_cmp_lt_u64_e64 s[28:29], s[88:89], v[2:3]
	v_add_u32_e32 v8, 7, v18
	v_cndmask_b32_e64 v12, v13, v8, s[28:29]
	v_cndmask_b32_e64 v8, 0, 1, s[28:29]
	v_lshrrev_b64 v[8:9], v8, v[2:3]
; %bb.1010:                             ;   in Loop: Header=BB2_805 Depth=4
	s_andn2_saveexec_b64 s[28:29], s[40:41]
; %bb.1011:                             ;   in Loop: Header=BB2_805 Depth=4
	v_mov_b32_e32 v9, v3
	v_bfe_u32 v12, v2, 23, 1
	v_mov_b32_e32 v8, v2
; %bb.1012:                             ;   in Loop: Header=BB2_805 Depth=4
	s_or_b64 exec, exec, s[28:29]
	v_lshrrev_b64 v[8:9], 20, v[8:9]
	v_cmp_gt_i32_e64 s[28:29], 16, v12
	v_cndmask_b32_e64 v9, 0, v9, s[28:29]
	v_cndmask_b32_e64 v8, 7, v8, s[28:29]
	v_min_i32_e32 v2, 15, v12
	v_cmp_eq_u64_e64 s[40:41], 0, v[8:9]
	v_lshlrev_b32_e32 v2, 3, v2
	v_cmp_eq_u32_e64 s[28:29], 0, v12
	v_and_b32_e32 v2, 0xf8, v2
	v_and_or_b32 v2, v8, 7, v2
	s_and_b64 s[28:29], s[28:29], s[40:41]
	v_cndmask_b32_e64 v2, v2, 0, s[28:29]
	v_or_b32_e32 v60, v2, v16
.LBB2_1013:                             ;   in Loop: Header=BB2_805 Depth=4
	s_or_b64 exec, exec, s[48:49]
                                        ; implicit-def: $vgpr16
.LBB2_1014:                             ;   in Loop: Header=BB2_805 Depth=4
	s_andn2_saveexec_b64 s[28:29], s[38:39]
; %bb.1015:                             ;   in Loop: Header=BB2_805 Depth=4
	v_or_b32_e32 v60, 0x7e, v16
; %bb.1016:                             ;   in Loop: Header=BB2_805 Depth=4
	s_or_b64 exec, exec, s[28:29]
                                        ; implicit-def: $vgpr8
.LBB2_1017:                             ;   in Loop: Header=BB2_805 Depth=4
	s_andn2_saveexec_b64 s[28:29], s[36:37]
; %bb.1018:                             ;   in Loop: Header=BB2_805 Depth=4
	v_or_b32_sdwa v60, v8, s71 dst_sel:DWORD dst_unused:UNUSED_PAD src0_sel:BYTE_3 src1_sel:DWORD
; %bb.1019:                             ;   in Loop: Header=BB2_805 Depth=4
	s_or_b64 exec, exec, s[28:29]
	v_cmp_ne_u16_sdwa s[28:29], v14, v3 src0_sel:BYTE_0 src1_sel:DWORD
	v_mov_b32_e32 v2, 0
	s_and_saveexec_b64 s[40:41], s[28:29]
	s_cbranch_execz .LBB2_1025
; %bb.1020:                             ;   in Loop: Header=BB2_805 Depth=4
	v_cmp_ne_u16_sdwa s[28:29], v14, s70 src0_sel:BYTE_0 src1_sel:DWORD
	v_bfrev_b32_e32 v2, 1
	s_and_saveexec_b64 s[36:37], s[28:29]
	s_cbranch_execz .LBB2_1024
; %bb.1021:                             ;   in Loop: Header=BB2_805 Depth=4
	v_and_b32_e32 v8, 0x7f, v14
	v_cmp_ne_u32_e64 s[28:29], s71, v8
	v_mov_b32_e32 v2, 0x7f800001
	s_and_saveexec_b64 s[38:39], s[28:29]
	s_cbranch_execz .LBB2_1023
; %bb.1022:                             ;   in Loop: Header=BB2_805 Depth=4
	v_and_b32_e32 v2, 7, v14
	v_ffbh_u32_e32 v2, v2
	v_min_u32_e32 v2, 32, v2
	v_lshrrev_b32_e32 v9, 3, v8
	v_cmp_gt_u32_e64 s[28:29], 8, v8
	v_subrev_u32_e32 v8, 28, v2
	v_sub_u32_e32 v2, 29, v2
	v_cndmask_b32_e64 v8, 0, v8, s[28:29]
	v_cndmask_b32_e64 v2, v9, v2, s[28:29]
	v_lshlrev_b64 v[8:9], v8, v[14:15]
	v_lshlrev_b32_e32 v9, 24, v14
	v_lshlrev_b32_e32 v8, 20, v8
	v_and_b32_e32 v8, 0x700000, v8
	v_and_b32_e32 v9, 0x80000000, v9
	v_lshl_add_u32 v2, v2, 23, v49
	v_or3_b32 v2, v9, v2, v8
.LBB2_1023:                             ;   in Loop: Header=BB2_805 Depth=4
	s_or_b64 exec, exec, s[38:39]
.LBB2_1024:                             ;   in Loop: Header=BB2_805 Depth=4
	s_or_b64 exec, exec, s[36:37]
.LBB2_1025:                             ;   in Loop: Header=BB2_805 Depth=4
	s_or_b64 exec, exec, s[40:41]
	v_cmp_gt_i16_sdwa s[40:41], v10, s71 src0_sel:BYTE_0 src1_sel:DWORD
	s_mov_b64 s[28:29], 0
	s_and_saveexec_b64 s[44:45], s[40:41]
	s_xor_b64 s[40:41], exec, s[44:45]
	s_cbranch_execz .LBB2_1243
; %bb.1026:                             ;   in Loop: Header=BB2_805 Depth=4
	v_cmp_eq_u16_sdwa s[44:45], v10, s70 src0_sel:BYTE_0 src1_sel:DWORD
	s_mov_b64 s[28:29], -1
	s_and_saveexec_b64 s[36:37], s[44:45]
; %bb.1027:                             ;   in Loop: Header=BB2_805 Depth=4
	s_xor_b64 s[28:29], exec, -1
; %bb.1028:                             ;   in Loop: Header=BB2_805 Depth=4
	s_or_b64 exec, exec, s[36:37]
	s_and_b64 s[28:29], s[28:29], exec
	s_or_saveexec_b64 s[40:41], s[40:41]
	v_bfrev_b32_e32 v8, 1
	s_xor_b64 exec, exec, s[40:41]
	s_cbranch_execnz .LBB2_1244
.LBB2_1029:                             ;   in Loop: Header=BB2_805 Depth=4
	s_or_b64 exec, exec, s[40:41]
	s_and_saveexec_b64 s[40:41], s[28:29]
	s_cbranch_execz .LBB2_1031
.LBB2_1030:                             ;   in Loop: Header=BB2_805 Depth=4
	v_and_b32_e32 v8, 7, v10
	v_ffbh_u32_e32 v8, v8
	v_and_b32_e32 v12, 0x7f, v10
	v_min_u32_e32 v8, 32, v8
	v_bfe_u32 v9, v10, 3, 4
	v_subrev_u32_e32 v13, 28, v8
	v_sub_u32_e32 v8, 29, v8
	v_cmp_gt_u32_e64 s[28:29], 8, v12
	v_cndmask_b32_e64 v16, v9, v8, s[28:29]
	v_cndmask_b32_e64 v8, 0, v13, s[28:29]
	v_lshlrev_b64 v[8:9], v8, v[10:11]
	v_lshlrev_b32_e32 v9, 24, v10
	v_lshlrev_b32_e32 v8, 20, v8
	v_and_b32_e32 v8, 0x700000, v8
	v_and_b32_e32 v9, 0x80000000, v9
	v_lshl_add_u32 v13, v16, 23, v49
	v_or3_b32 v8, v9, v13, v8
	v_cmp_ne_u32_e64 s[28:29], s71, v12
	v_cndmask_b32_e64 v8, v5, v8, s[28:29]
.LBB2_1031:                             ;   in Loop: Header=BB2_805 Depth=4
	s_or_b64 exec, exec, s[40:41]
	v_mul_f32_e32 v8, v2, v8
	v_and_b32_e32 v2, 0x7f800000, v8
	v_cmp_ne_u64_e64 s[28:29], s[62:63], v[2:3]
                                        ; implicit-def: $vgpr16
	s_and_saveexec_b64 s[40:41], s[28:29]
	s_xor_b64 s[36:37], exec, s[40:41]
	s_cbranch_execz .LBB2_1045
; %bb.1032:                             ;   in Loop: Header=BB2_805 Depth=4
	v_and_b32_e32 v2, 0x7fffffff, v8
	v_cmp_gt_u64_e64 s[28:29], s[72:73], v[2:3]
	v_and_b32_sdwa v18, v8, s70 dst_sel:DWORD dst_unused:UNUSED_PAD src0_sel:BYTE_3 src1_sel:DWORD
                                        ; implicit-def: $vgpr16
	s_and_saveexec_b64 s[40:41], s[28:29]
	s_xor_b64 s[38:39], exec, s[40:41]
	s_cbranch_execz .LBB2_1042
; %bb.1033:                             ;   in Loop: Header=BB2_805 Depth=4
	v_mov_b32_e32 v16, 0
	v_cmp_ne_u32_e64 s[28:29], 0, v8
	s_and_saveexec_b64 s[48:49], s[28:29]
	s_cbranch_execz .LBB2_1041
; %bb.1034:                             ;   in Loop: Header=BB2_805 Depth=4
	v_bfe_u32 v16, v8, 23, 8
	v_and_b32_e32 v2, 0x7fffff, v8
	v_cmp_gt_u32_e64 s[40:41], s80, v16
	v_sub_u32_e32 v8, 0x79, v16
	v_cmp_eq_u32_e64 s[28:29], 0, v16
	v_cndmask_b32_e64 v8, 0, v8, s[40:41]
	v_cndmask_b32_e64 v19, v8, v1, s[28:29]
	v_or_b32_e32 v9, 0x800000, v2
	v_add_u32_e32 v8, 20, v19
	v_cndmask_b32_e64 v2, v9, v2, s[28:29]
	v_lshlrev_b64 v[8:9], v8, -1
	v_add_u32_e32 v12, 19, v19
	v_lshlrev_b64 v[12:13], v12, 1
	v_bfi_b32 v9, v9, 0, 0
	v_bfi_b32 v8, v8, 0, v2
	v_cmp_eq_u64_e64 s[40:41], v[8:9], v[12:13]
	v_lshrrev_b64 v[8:9], v19, v[2:3]
	v_mov_b32_e32 v13, v9
	v_mov_b32_e32 v12, v8
	s_and_saveexec_b64 s[50:51], s[40:41]
; %bb.1035:                             ;   in Loop: Header=BB2_805 Depth=4
	v_bfe_u32 v2, v8, 20, 1
	v_add_co_u32_e64 v2, s[40:41], v8, v2
	v_add_co_u32_e64 v12, s[40:41], -1, v2
; %bb.1036:                             ;   in Loop: Header=BB2_805 Depth=4
	s_or_b64 exec, exec, s[50:51]
	v_add_u32_e32 v2, 0xffffff81, v16
	v_cndmask_b32_e64 v2, v2, v0, s[28:29]
	v_lshrrev_b32_e32 v9, 23, v8
	v_add3_u32 v16, v19, v2, v9
	v_add_u32_e32 v13, 6, v16
	v_and_b32_e32 v2, 0xfffff, v12
	v_add_u32_e32 v2, v2, v8
	v_cmp_ne_u32_e64 s[28:29], 0, v13
                                        ; implicit-def: $vgpr8_vgpr9
                                        ; implicit-def: $vgpr12
	s_and_saveexec_b64 s[40:41], s[28:29]
	s_xor_b64 s[40:41], exec, s[40:41]
; %bb.1037:                             ;   in Loop: Header=BB2_805 Depth=4
	v_cmp_lt_u64_e64 s[28:29], s[88:89], v[2:3]
	v_add_u32_e32 v8, 7, v16
	v_cndmask_b32_e64 v12, v13, v8, s[28:29]
	v_cndmask_b32_e64 v8, 0, 1, s[28:29]
	v_lshrrev_b64 v[8:9], v8, v[2:3]
; %bb.1038:                             ;   in Loop: Header=BB2_805 Depth=4
	s_andn2_saveexec_b64 s[28:29], s[40:41]
; %bb.1039:                             ;   in Loop: Header=BB2_805 Depth=4
	v_mov_b32_e32 v9, v3
	v_bfe_u32 v12, v2, 23, 1
	v_mov_b32_e32 v8, v2
; %bb.1040:                             ;   in Loop: Header=BB2_805 Depth=4
	s_or_b64 exec, exec, s[28:29]
	v_lshrrev_b64 v[8:9], 20, v[8:9]
	v_cmp_gt_i32_e64 s[28:29], 16, v12
	v_cndmask_b32_e64 v9, 0, v9, s[28:29]
	v_cndmask_b32_e64 v8, 7, v8, s[28:29]
	v_min_i32_e32 v2, 15, v12
	v_cmp_eq_u64_e64 s[40:41], 0, v[8:9]
	v_lshlrev_b32_e32 v2, 3, v2
	v_cmp_eq_u32_e64 s[28:29], 0, v12
	v_and_b32_e32 v2, 0xf8, v2
	v_and_or_b32 v2, v8, 7, v2
	s_and_b64 s[28:29], s[28:29], s[40:41]
	v_cndmask_b32_e64 v2, v2, 0, s[28:29]
	v_or_b32_e32 v16, v2, v18
.LBB2_1041:                             ;   in Loop: Header=BB2_805 Depth=4
	s_or_b64 exec, exec, s[48:49]
                                        ; implicit-def: $vgpr18
.LBB2_1042:                             ;   in Loop: Header=BB2_805 Depth=4
	s_andn2_saveexec_b64 s[28:29], s[38:39]
; %bb.1043:                             ;   in Loop: Header=BB2_805 Depth=4
	v_or_b32_e32 v16, 0x7e, v18
; %bb.1044:                             ;   in Loop: Header=BB2_805 Depth=4
	s_or_b64 exec, exec, s[28:29]
                                        ; implicit-def: $vgpr8
.LBB2_1045:                             ;   in Loop: Header=BB2_805 Depth=4
	s_andn2_saveexec_b64 s[28:29], s[36:37]
; %bb.1046:                             ;   in Loop: Header=BB2_805 Depth=4
	v_or_b32_sdwa v16, v8, s71 dst_sel:DWORD dst_unused:UNUSED_PAD src0_sel:BYTE_3 src1_sel:DWORD
; %bb.1047:                             ;   in Loop: Header=BB2_805 Depth=4
	s_or_b64 exec, exec, s[28:29]
	v_lshrrev_b16_e32 v2, 8, v14
	v_cmp_ne_u16_e64 s[28:29], 0, v2
	v_mov_b32_e32 v8, 0
	s_and_saveexec_b64 s[40:41], s[28:29]
	s_cbranch_execz .LBB2_1053
; %bb.1048:                             ;   in Loop: Header=BB2_805 Depth=4
	v_cmp_ne_u16_e64 s[28:29], s70, v2
	v_bfrev_b32_e32 v8, 1
	s_and_saveexec_b64 s[36:37], s[28:29]
	s_cbranch_execz .LBB2_1052
; %bb.1049:                             ;   in Loop: Header=BB2_805 Depth=4
	v_and_b32_e32 v9, 0x7f, v2
	v_cmp_ne_u32_e64 s[28:29], s71, v9
	v_mov_b32_e32 v8, 0x7f800001
	s_and_saveexec_b64 s[38:39], s[28:29]
	s_cbranch_execz .LBB2_1051
; %bb.1050:                             ;   in Loop: Header=BB2_805 Depth=4
	v_and_b32_e32 v12, 7, v2
	v_ffbh_u32_e32 v8, v12
	v_min_u32_e32 v18, 32, v8
	v_subrev_u32_e32 v8, 28, v18
	v_lshrrev_b32_e32 v13, 3, v9
	v_cmp_gt_u32_e64 s[28:29], 8, v9
	v_lshlrev_b64 v[8:9], v8, v[2:3]
	v_sub_u32_e32 v2, 29, v18
	v_and_b32_e32 v8, 7, v8
	v_cndmask_b32_e64 v2, v13, v2, s[28:29]
	v_cndmask_b32_e64 v8, v12, v8, s[28:29]
	v_lshlrev_b32_e32 v9, 16, v14
	v_lshlrev_b32_e32 v8, 20, v8
	v_and_b32_e32 v9, 0x80000000, v9
	v_lshl_add_u32 v2, v2, 23, v49
	v_or3_b32 v8, v9, v2, v8
.LBB2_1051:                             ;   in Loop: Header=BB2_805 Depth=4
	s_or_b64 exec, exec, s[38:39]
.LBB2_1052:                             ;   in Loop: Header=BB2_805 Depth=4
	s_or_b64 exec, exec, s[36:37]
.LBB2_1053:                             ;   in Loop: Header=BB2_805 Depth=4
	s_or_b64 exec, exec, s[40:41]
	v_lshrrev_b16_e32 v2, 8, v10
	v_cmp_lt_i16_e64 s[28:29], s71, v2
	s_mov_b64 s[40:41], 0
	s_and_saveexec_b64 s[44:45], s[28:29]
	s_xor_b64 s[36:37], exec, s[44:45]
	s_cbranch_execz .LBB2_1245
; %bb.1054:                             ;   in Loop: Header=BB2_805 Depth=4
	v_cmp_eq_u16_e64 s[28:29], s70, v2
	s_mov_b64 s[40:41], -1
	s_and_saveexec_b64 s[38:39], s[28:29]
; %bb.1055:                             ;   in Loop: Header=BB2_805 Depth=4
	s_xor_b64 s[40:41], exec, -1
; %bb.1056:                             ;   in Loop: Header=BB2_805 Depth=4
	s_or_b64 exec, exec, s[38:39]
	s_and_b64 s[40:41], s[40:41], exec
	s_or_saveexec_b64 s[36:37], s[36:37]
	v_bfrev_b32_e32 v9, 1
	s_xor_b64 exec, exec, s[36:37]
	s_cbranch_execnz .LBB2_1246
.LBB2_1057:                             ;   in Loop: Header=BB2_805 Depth=4
	s_or_b64 exec, exec, s[36:37]
	s_and_saveexec_b64 s[36:37], s[40:41]
	s_cbranch_execz .LBB2_1059
.LBB2_1058:                             ;   in Loop: Header=BB2_805 Depth=4
	v_and_b32_e32 v9, 7, v2
	v_ffbh_u32_e32 v12, v9
	v_min_u32_e32 v24, 32, v12
	v_subrev_u32_e32 v12, 28, v24
	v_lshlrev_b64 v[12:13], v12, v[2:3]
	v_and_b32_e32 v18, 0x7f, v2
	v_bfe_u32 v19, v2, 3, 4
	v_sub_u32_e32 v13, 29, v24
	v_and_b32_e32 v12, 7, v12
	v_cmp_gt_u32_e64 s[28:29], 8, v18
	v_cndmask_b32_e64 v13, v19, v13, s[28:29]
	v_cndmask_b32_e64 v9, v9, v12, s[28:29]
	v_lshlrev_b32_e32 v2, 24, v2
	v_lshlrev_b32_e32 v9, 20, v9
	v_and_b32_e32 v2, 0x80000000, v2
	v_lshl_add_u32 v12, v13, 23, v49
	v_or3_b32 v2, v2, v12, v9
	v_cmp_ne_u32_e64 s[28:29], s71, v18
	v_cndmask_b32_e64 v9, v5, v2, s[28:29]
.LBB2_1059:                             ;   in Loop: Header=BB2_805 Depth=4
	s_or_b64 exec, exec, s[36:37]
	v_mul_f32_e32 v8, v8, v9
	v_and_b32_e32 v2, 0x7f800000, v8
	v_cmp_ne_u64_e64 s[28:29], s[62:63], v[2:3]
                                        ; implicit-def: $vgpr48
	s_and_saveexec_b64 s[40:41], s[28:29]
	s_xor_b64 s[36:37], exec, s[40:41]
	s_cbranch_execz .LBB2_1073
; %bb.1060:                             ;   in Loop: Header=BB2_805 Depth=4
	v_and_b32_e32 v2, 0x7fffffff, v8
	v_cmp_gt_u64_e64 s[28:29], s[72:73], v[2:3]
	v_and_b32_sdwa v18, v8, s70 dst_sel:DWORD dst_unused:UNUSED_PAD src0_sel:BYTE_3 src1_sel:DWORD
                                        ; implicit-def: $vgpr48
	s_and_saveexec_b64 s[40:41], s[28:29]
	s_xor_b64 s[38:39], exec, s[40:41]
	s_cbranch_execz .LBB2_1070
; %bb.1061:                             ;   in Loop: Header=BB2_805 Depth=4
	v_mov_b32_e32 v48, 0
	v_cmp_ne_u32_e64 s[28:29], 0, v8
	s_and_saveexec_b64 s[48:49], s[28:29]
	s_cbranch_execz .LBB2_1069
; %bb.1062:                             ;   in Loop: Header=BB2_805 Depth=4
	v_bfe_u32 v19, v8, 23, 8
	v_and_b32_e32 v2, 0x7fffff, v8
	v_cmp_gt_u32_e64 s[40:41], s80, v19
	v_sub_u32_e32 v8, 0x79, v19
	v_cmp_eq_u32_e64 s[28:29], 0, v19
	v_cndmask_b32_e64 v8, 0, v8, s[40:41]
	v_cndmask_b32_e64 v24, v8, v1, s[28:29]
	v_or_b32_e32 v9, 0x800000, v2
	v_add_u32_e32 v8, 20, v24
	v_cndmask_b32_e64 v2, v9, v2, s[28:29]
	v_lshlrev_b64 v[8:9], v8, -1
	v_add_u32_e32 v12, 19, v24
	v_lshlrev_b64 v[12:13], v12, 1
	v_bfi_b32 v9, v9, 0, 0
	v_bfi_b32 v8, v8, 0, v2
	v_cmp_eq_u64_e64 s[40:41], v[8:9], v[12:13]
	v_lshrrev_b64 v[8:9], v24, v[2:3]
	v_mov_b32_e32 v13, v9
	v_mov_b32_e32 v12, v8
	s_and_saveexec_b64 s[50:51], s[40:41]
; %bb.1063:                             ;   in Loop: Header=BB2_805 Depth=4
	v_bfe_u32 v2, v8, 20, 1
	v_add_co_u32_e64 v2, s[40:41], v8, v2
	v_add_co_u32_e64 v12, s[40:41], -1, v2
; %bb.1064:                             ;   in Loop: Header=BB2_805 Depth=4
	s_or_b64 exec, exec, s[50:51]
	v_add_u32_e32 v2, 0xffffff81, v19
	v_cndmask_b32_e64 v2, v2, v0, s[28:29]
	v_lshrrev_b32_e32 v9, 23, v8
	v_add3_u32 v19, v24, v2, v9
	v_add_u32_e32 v13, 6, v19
	v_and_b32_e32 v2, 0xfffff, v12
	v_add_u32_e32 v2, v2, v8
	v_cmp_ne_u32_e64 s[28:29], 0, v13
                                        ; implicit-def: $vgpr8_vgpr9
                                        ; implicit-def: $vgpr12
	s_and_saveexec_b64 s[40:41], s[28:29]
	s_xor_b64 s[40:41], exec, s[40:41]
; %bb.1065:                             ;   in Loop: Header=BB2_805 Depth=4
	v_cmp_lt_u64_e64 s[28:29], s[88:89], v[2:3]
	v_add_u32_e32 v8, 7, v19
	v_cndmask_b32_e64 v12, v13, v8, s[28:29]
	v_cndmask_b32_e64 v8, 0, 1, s[28:29]
	v_lshrrev_b64 v[8:9], v8, v[2:3]
; %bb.1066:                             ;   in Loop: Header=BB2_805 Depth=4
	s_andn2_saveexec_b64 s[28:29], s[40:41]
; %bb.1067:                             ;   in Loop: Header=BB2_805 Depth=4
	v_mov_b32_e32 v9, v3
	v_bfe_u32 v12, v2, 23, 1
	v_mov_b32_e32 v8, v2
; %bb.1068:                             ;   in Loop: Header=BB2_805 Depth=4
	s_or_b64 exec, exec, s[28:29]
	v_lshrrev_b64 v[8:9], 20, v[8:9]
	v_cmp_gt_i32_e64 s[28:29], 16, v12
	v_cndmask_b32_e64 v9, 0, v9, s[28:29]
	v_cndmask_b32_e64 v8, 7, v8, s[28:29]
	v_min_i32_e32 v2, 15, v12
	v_cmp_eq_u64_e64 s[40:41], 0, v[8:9]
	v_lshlrev_b32_e32 v2, 3, v2
	v_cmp_eq_u32_e64 s[28:29], 0, v12
	v_and_b32_e32 v2, 0xf8, v2
	v_and_or_b32 v2, v8, 7, v2
	s_and_b64 s[28:29], s[28:29], s[40:41]
	v_cndmask_b32_e64 v2, v2, 0, s[28:29]
	v_or_b32_e32 v48, v2, v18
.LBB2_1069:                             ;   in Loop: Header=BB2_805 Depth=4
	s_or_b64 exec, exec, s[48:49]
                                        ; implicit-def: $vgpr18
.LBB2_1070:                             ;   in Loop: Header=BB2_805 Depth=4
	s_andn2_saveexec_b64 s[28:29], s[38:39]
; %bb.1071:                             ;   in Loop: Header=BB2_805 Depth=4
	v_or_b32_e32 v48, 0x7e, v18
; %bb.1072:                             ;   in Loop: Header=BB2_805 Depth=4
	s_or_b64 exec, exec, s[28:29]
                                        ; implicit-def: $vgpr8
.LBB2_1073:                             ;   in Loop: Header=BB2_805 Depth=4
	s_andn2_saveexec_b64 s[28:29], s[36:37]
; %bb.1074:                             ;   in Loop: Header=BB2_805 Depth=4
	v_or_b32_sdwa v48, v8, s71 dst_sel:DWORD dst_unused:UNUSED_PAD src0_sel:BYTE_3 src1_sel:DWORD
; %bb.1075:                             ;   in Loop: Header=BB2_805 Depth=4
	s_or_b64 exec, exec, s[28:29]
	v_lshrrev_b32_e32 v2, 16, v14
	v_cmp_ne_u16_sdwa s[28:29], v2, v3 src0_sel:BYTE_0 src1_sel:DWORD
	v_mov_b32_e32 v8, 0
	s_and_saveexec_b64 s[40:41], s[28:29]
	s_cbranch_execz .LBB2_1081
; %bb.1076:                             ;   in Loop: Header=BB2_805 Depth=4
	v_cmp_ne_u16_sdwa s[28:29], v2, s70 src0_sel:BYTE_0 src1_sel:DWORD
	v_bfrev_b32_e32 v8, 1
	s_and_saveexec_b64 s[36:37], s[28:29]
	s_cbranch_execz .LBB2_1080
; %bb.1077:                             ;   in Loop: Header=BB2_805 Depth=4
	v_bfe_u32 v9, v14, 16, 7
	v_cmp_ne_u32_e64 s[28:29], s71, v9
	v_mov_b32_e32 v8, 0x7f800001
	s_and_saveexec_b64 s[38:39], s[28:29]
	s_cbranch_execz .LBB2_1079
; %bb.1078:                             ;   in Loop: Header=BB2_805 Depth=4
	v_and_b32_e32 v12, 7, v2
	v_ffbh_u32_e32 v8, v12
	v_min_u32_e32 v18, 32, v8
	v_subrev_u32_e32 v8, 28, v18
	v_lshrrev_b32_e32 v13, 3, v9
	v_cmp_gt_u32_e64 s[28:29], 8, v9
	v_lshlrev_b64 v[8:9], v8, v[2:3]
	v_sub_u32_e32 v9, 29, v18
	v_and_b32_e32 v8, 7, v8
	v_cndmask_b32_e64 v9, v13, v9, s[28:29]
	v_cndmask_b32_e64 v8, v12, v8, s[28:29]
	v_lshlrev_b32_e32 v2, 24, v2
	v_lshlrev_b32_e32 v8, 20, v8
	v_and_b32_e32 v2, 0x80000000, v2
	v_lshl_add_u32 v9, v9, 23, v49
	v_or3_b32 v8, v2, v9, v8
.LBB2_1079:                             ;   in Loop: Header=BB2_805 Depth=4
	s_or_b64 exec, exec, s[38:39]
.LBB2_1080:                             ;   in Loop: Header=BB2_805 Depth=4
	s_or_b64 exec, exec, s[36:37]
.LBB2_1081:                             ;   in Loop: Header=BB2_805 Depth=4
	s_or_b64 exec, exec, s[40:41]
	v_lshrrev_b32_e32 v2, 16, v10
	v_cmp_gt_i16_sdwa s[40:41], v2, s71 src0_sel:BYTE_0 src1_sel:DWORD
	s_mov_b64 s[28:29], 0
	s_and_saveexec_b64 s[44:45], s[40:41]
	s_xor_b64 s[40:41], exec, s[44:45]
	s_cbranch_execz .LBB2_1247
; %bb.1082:                             ;   in Loop: Header=BB2_805 Depth=4
	v_cmp_eq_u16_sdwa s[44:45], v2, s70 src0_sel:BYTE_0 src1_sel:DWORD
	s_mov_b64 s[28:29], -1
	s_and_saveexec_b64 s[36:37], s[44:45]
; %bb.1083:                             ;   in Loop: Header=BB2_805 Depth=4
	s_xor_b64 s[28:29], exec, -1
; %bb.1084:                             ;   in Loop: Header=BB2_805 Depth=4
	s_or_b64 exec, exec, s[36:37]
	s_and_b64 s[28:29], s[28:29], exec
	s_or_saveexec_b64 s[40:41], s[40:41]
	v_bfrev_b32_e32 v9, 1
	s_xor_b64 exec, exec, s[40:41]
	s_cbranch_execnz .LBB2_1248
.LBB2_1085:                             ;   in Loop: Header=BB2_805 Depth=4
	s_or_b64 exec, exec, s[40:41]
	s_and_saveexec_b64 s[40:41], s[28:29]
	s_cbranch_execz .LBB2_1087
.LBB2_1086:                             ;   in Loop: Header=BB2_805 Depth=4
	v_and_b32_e32 v9, 7, v2
	v_ffbh_u32_e32 v12, v9
	v_min_u32_e32 v24, 32, v12
	v_subrev_u32_e32 v12, 28, v24
	v_lshlrev_b64 v[12:13], v12, v[2:3]
	v_and_b32_e32 v18, 0x7f, v2
	v_bfe_u32 v19, v2, 3, 4
	v_sub_u32_e32 v13, 29, v24
	v_and_b32_e32 v12, 7, v12
	v_cmp_gt_u32_e64 s[28:29], 8, v18
	v_cndmask_b32_e64 v13, v19, v13, s[28:29]
	v_cndmask_b32_e64 v9, v9, v12, s[28:29]
	v_lshlrev_b32_e32 v2, 24, v2
	v_lshlrev_b32_e32 v9, 20, v9
	v_and_b32_e32 v2, 0x80000000, v2
	v_lshl_add_u32 v12, v13, 23, v49
	v_or3_b32 v2, v2, v12, v9
	v_cmp_ne_u32_e64 s[28:29], s71, v18
	v_cndmask_b32_e64 v9, v5, v2, s[28:29]
.LBB2_1087:                             ;   in Loop: Header=BB2_805 Depth=4
	s_or_b64 exec, exec, s[40:41]
	v_mul_f32_e32 v8, v8, v9
	v_and_b32_e32 v2, 0x7f800000, v8
	v_cmp_ne_u64_e64 s[28:29], s[62:63], v[2:3]
                                        ; implicit-def: $vgpr27
	s_and_saveexec_b64 s[40:41], s[28:29]
	s_xor_b64 s[36:37], exec, s[40:41]
	s_cbranch_execz .LBB2_1101
; %bb.1088:                             ;   in Loop: Header=BB2_805 Depth=4
	v_and_b32_e32 v2, 0x7fffffff, v8
	v_cmp_gt_u64_e64 s[28:29], s[72:73], v[2:3]
	v_and_b32_sdwa v18, v8, s70 dst_sel:DWORD dst_unused:UNUSED_PAD src0_sel:BYTE_3 src1_sel:DWORD
                                        ; implicit-def: $vgpr27
	s_and_saveexec_b64 s[40:41], s[28:29]
	s_xor_b64 s[38:39], exec, s[40:41]
	s_cbranch_execz .LBB2_1098
; %bb.1089:                             ;   in Loop: Header=BB2_805 Depth=4
	v_mov_b32_e32 v27, 0
	v_cmp_ne_u32_e64 s[28:29], 0, v8
	s_and_saveexec_b64 s[48:49], s[28:29]
	s_cbranch_execz .LBB2_1097
; %bb.1090:                             ;   in Loop: Header=BB2_805 Depth=4
	v_bfe_u32 v19, v8, 23, 8
	v_and_b32_e32 v2, 0x7fffff, v8
	v_cmp_gt_u32_e64 s[40:41], s80, v19
	v_sub_u32_e32 v8, 0x79, v19
	v_cmp_eq_u32_e64 s[28:29], 0, v19
	v_cndmask_b32_e64 v8, 0, v8, s[40:41]
	v_cndmask_b32_e64 v24, v8, v1, s[28:29]
	v_or_b32_e32 v9, 0x800000, v2
	v_add_u32_e32 v8, 20, v24
	v_cndmask_b32_e64 v2, v9, v2, s[28:29]
	v_lshlrev_b64 v[8:9], v8, -1
	v_add_u32_e32 v12, 19, v24
	v_lshlrev_b64 v[12:13], v12, 1
	v_bfi_b32 v9, v9, 0, 0
	v_bfi_b32 v8, v8, 0, v2
	v_cmp_eq_u64_e64 s[40:41], v[8:9], v[12:13]
	v_lshrrev_b64 v[8:9], v24, v[2:3]
	v_mov_b32_e32 v13, v9
	v_mov_b32_e32 v12, v8
	s_and_saveexec_b64 s[50:51], s[40:41]
; %bb.1091:                             ;   in Loop: Header=BB2_805 Depth=4
	v_bfe_u32 v2, v8, 20, 1
	v_add_co_u32_e64 v2, s[40:41], v8, v2
	v_add_co_u32_e64 v12, s[40:41], -1, v2
; %bb.1092:                             ;   in Loop: Header=BB2_805 Depth=4
	s_or_b64 exec, exec, s[50:51]
	v_add_u32_e32 v2, 0xffffff81, v19
	v_cndmask_b32_e64 v2, v2, v0, s[28:29]
	v_lshrrev_b32_e32 v9, 23, v8
	v_add3_u32 v19, v24, v2, v9
	v_add_u32_e32 v13, 6, v19
	v_and_b32_e32 v2, 0xfffff, v12
	v_add_u32_e32 v2, v2, v8
	v_cmp_ne_u32_e64 s[28:29], 0, v13
                                        ; implicit-def: $vgpr8_vgpr9
                                        ; implicit-def: $vgpr12
	s_and_saveexec_b64 s[40:41], s[28:29]
	s_xor_b64 s[40:41], exec, s[40:41]
; %bb.1093:                             ;   in Loop: Header=BB2_805 Depth=4
	v_cmp_lt_u64_e64 s[28:29], s[88:89], v[2:3]
	v_add_u32_e32 v8, 7, v19
	v_cndmask_b32_e64 v12, v13, v8, s[28:29]
	v_cndmask_b32_e64 v8, 0, 1, s[28:29]
	v_lshrrev_b64 v[8:9], v8, v[2:3]
; %bb.1094:                             ;   in Loop: Header=BB2_805 Depth=4
	s_andn2_saveexec_b64 s[28:29], s[40:41]
; %bb.1095:                             ;   in Loop: Header=BB2_805 Depth=4
	v_mov_b32_e32 v9, v3
	v_bfe_u32 v12, v2, 23, 1
	v_mov_b32_e32 v8, v2
; %bb.1096:                             ;   in Loop: Header=BB2_805 Depth=4
	s_or_b64 exec, exec, s[28:29]
	v_lshrrev_b64 v[8:9], 20, v[8:9]
	v_cmp_gt_i32_e64 s[28:29], 16, v12
	v_cndmask_b32_e64 v9, 0, v9, s[28:29]
	v_cndmask_b32_e64 v8, 7, v8, s[28:29]
	v_min_i32_e32 v2, 15, v12
	v_cmp_eq_u64_e64 s[40:41], 0, v[8:9]
	v_lshlrev_b32_e32 v2, 3, v2
	v_cmp_eq_u32_e64 s[28:29], 0, v12
	v_and_b32_e32 v2, 0xf8, v2
	v_and_or_b32 v2, v8, 7, v2
	s_and_b64 s[28:29], s[28:29], s[40:41]
	v_cndmask_b32_e64 v2, v2, 0, s[28:29]
	v_or_b32_e32 v27, v2, v18
.LBB2_1097:                             ;   in Loop: Header=BB2_805 Depth=4
	s_or_b64 exec, exec, s[48:49]
                                        ; implicit-def: $vgpr18
.LBB2_1098:                             ;   in Loop: Header=BB2_805 Depth=4
	s_andn2_saveexec_b64 s[28:29], s[38:39]
; %bb.1099:                             ;   in Loop: Header=BB2_805 Depth=4
	v_or_b32_e32 v27, 0x7e, v18
; %bb.1100:                             ;   in Loop: Header=BB2_805 Depth=4
	s_or_b64 exec, exec, s[28:29]
                                        ; implicit-def: $vgpr8
.LBB2_1101:                             ;   in Loop: Header=BB2_805 Depth=4
	s_andn2_saveexec_b64 s[28:29], s[36:37]
; %bb.1102:                             ;   in Loop: Header=BB2_805 Depth=4
	v_or_b32_sdwa v27, v8, s71 dst_sel:DWORD dst_unused:UNUSED_PAD src0_sel:BYTE_3 src1_sel:DWORD
; %bb.1103:                             ;   in Loop: Header=BB2_805 Depth=4
	s_or_b64 exec, exec, s[28:29]
	v_cmp_lt_u32_e64 s[28:29], s57, v14
	v_mov_b32_e32 v8, 0
	s_and_saveexec_b64 s[40:41], s[28:29]
	s_cbranch_execz .LBB2_1109
; %bb.1104:                             ;   in Loop: Header=BB2_805 Depth=4
	v_lshrrev_b32_e32 v2, 24, v14
	v_cmp_ne_u32_e64 s[28:29], s70, v2
	v_bfrev_b32_e32 v8, 1
	s_and_saveexec_b64 s[36:37], s[28:29]
	s_cbranch_execz .LBB2_1108
; %bb.1105:                             ;   in Loop: Header=BB2_805 Depth=4
	v_bfe_u32 v9, v14, 24, 7
	v_cmp_ne_u32_e64 s[28:29], s71, v9
	v_mov_b32_e32 v8, 0x7f800001
	s_and_saveexec_b64 s[38:39], s[28:29]
	s_cbranch_execz .LBB2_1107
; %bb.1106:                             ;   in Loop: Header=BB2_805 Depth=4
	v_and_b32_e32 v12, 7, v2
	v_ffbh_u32_e32 v8, v12
	v_min_u32_e32 v18, 32, v8
	v_subrev_u32_e32 v8, 28, v18
	v_lshrrev_b32_e32 v13, 3, v9
	v_cmp_gt_u32_e64 s[28:29], 8, v9
	v_lshlrev_b64 v[8:9], v8, v[2:3]
	v_sub_u32_e32 v9, 29, v18
	v_and_b32_e32 v8, 7, v8
	v_cndmask_b32_e64 v9, v13, v9, s[28:29]
	v_cndmask_b32_e64 v8, v12, v8, s[28:29]
	v_lshlrev_b32_e32 v2, 24, v2
	v_lshlrev_b32_e32 v8, 20, v8
	v_and_b32_e32 v2, 0x80000000, v2
	v_lshl_add_u32 v9, v9, 23, v49
	v_or3_b32 v8, v2, v9, v8
.LBB2_1107:                             ;   in Loop: Header=BB2_805 Depth=4
	s_or_b64 exec, exec, s[38:39]
.LBB2_1108:                             ;   in Loop: Header=BB2_805 Depth=4
	s_or_b64 exec, exec, s[36:37]
.LBB2_1109:                             ;   in Loop: Header=BB2_805 Depth=4
	s_or_b64 exec, exec, s[40:41]
	v_bfe_u32 v9, v10, 24, 3
	v_ffbh_u32_e32 v12, v9
	v_min_u32_e32 v24, 32, v12
	v_lshrrev_b32_e32 v2, 24, v10
	v_subrev_u32_e32 v12, 28, v24
	v_lshlrev_b64 v[12:13], v12, v[2:3]
	v_bfe_u32 v18, v10, 24, 7
	v_bfe_u32 v19, v2, 3, 4
	v_sub_u32_e32 v13, 29, v24
	v_and_b32_e32 v12, 7, v12
	v_cmp_gt_u32_e64 s[28:29], 8, v18
	v_cndmask_b32_e64 v13, v19, v13, s[28:29]
	v_cndmask_b32_e64 v9, v9, v12, s[28:29]
	v_lshlrev_b32_e32 v9, 20, v9
	v_and_b32_e32 v12, 0x80000000, v10
	v_lshl_add_u32 v13, v13, 23, v49
	v_or3_b32 v9, v12, v13, v9
	v_cmp_ne_u32_e64 s[28:29], s71, v18
	v_cndmask_b32_e64 v9, v5, v9, s[28:29]
	v_cmp_ne_u32_e64 s[28:29], s70, v2
	v_cndmask_b32_e64 v2, v35, v9, s[28:29]
	v_cmp_lt_u32_e64 s[28:29], s57, v10
	v_cndmask_b32_e64 v2, 0, v2, s[28:29]
	v_mul_f32_e32 v8, v2, v8
	v_and_b32_e32 v2, 0x7f800000, v8
	v_cmp_ne_u64_e64 s[28:29], s[62:63], v[2:3]
                                        ; implicit-def: $vgpr24
	s_and_saveexec_b64 s[40:41], s[28:29]
	s_xor_b64 s[36:37], exec, s[40:41]
	s_cbranch_execz .LBB2_1123
; %bb.1110:                             ;   in Loop: Header=BB2_805 Depth=4
	v_and_b32_e32 v2, 0x7fffffff, v8
	v_cmp_gt_u64_e64 s[28:29], s[72:73], v[2:3]
	v_and_b32_sdwa v18, v8, s70 dst_sel:DWORD dst_unused:UNUSED_PAD src0_sel:BYTE_3 src1_sel:DWORD
                                        ; implicit-def: $vgpr24
	s_and_saveexec_b64 s[40:41], s[28:29]
	s_xor_b64 s[38:39], exec, s[40:41]
	s_cbranch_execz .LBB2_1120
; %bb.1111:                             ;   in Loop: Header=BB2_805 Depth=4
	v_mov_b32_e32 v24, 0
	v_cmp_ne_u32_e64 s[28:29], 0, v8
	s_and_saveexec_b64 s[48:49], s[28:29]
	s_cbranch_execz .LBB2_1119
; %bb.1112:                             ;   in Loop: Header=BB2_805 Depth=4
	v_bfe_u32 v19, v8, 23, 8
	v_and_b32_e32 v2, 0x7fffff, v8
	v_cmp_gt_u32_e64 s[40:41], s80, v19
	v_sub_u32_e32 v8, 0x79, v19
	v_cmp_eq_u32_e64 s[28:29], 0, v19
	v_cndmask_b32_e64 v8, 0, v8, s[40:41]
	v_cndmask_b32_e64 v24, v8, v1, s[28:29]
	v_or_b32_e32 v9, 0x800000, v2
	v_add_u32_e32 v8, 20, v24
	v_cndmask_b32_e64 v2, v9, v2, s[28:29]
	v_lshlrev_b64 v[8:9], v8, -1
	v_add_u32_e32 v12, 19, v24
	v_lshlrev_b64 v[12:13], v12, 1
	v_bfi_b32 v9, v9, 0, 0
	v_bfi_b32 v8, v8, 0, v2
	v_cmp_eq_u64_e64 s[40:41], v[8:9], v[12:13]
	v_lshrrev_b64 v[8:9], v24, v[2:3]
	v_mov_b32_e32 v13, v9
	v_mov_b32_e32 v12, v8
	s_and_saveexec_b64 s[50:51], s[40:41]
; %bb.1113:                             ;   in Loop: Header=BB2_805 Depth=4
	v_bfe_u32 v2, v8, 20, 1
	v_add_co_u32_e64 v2, s[40:41], v8, v2
	v_add_co_u32_e64 v12, s[40:41], -1, v2
; %bb.1114:                             ;   in Loop: Header=BB2_805 Depth=4
	s_or_b64 exec, exec, s[50:51]
	v_add_u32_e32 v2, 0xffffff81, v19
	v_cndmask_b32_e64 v2, v2, v0, s[28:29]
	v_lshrrev_b32_e32 v9, 23, v8
	v_add3_u32 v19, v24, v2, v9
	v_add_u32_e32 v13, 6, v19
	v_and_b32_e32 v2, 0xfffff, v12
	v_add_u32_e32 v2, v2, v8
	v_cmp_ne_u32_e64 s[28:29], 0, v13
                                        ; implicit-def: $vgpr8_vgpr9
                                        ; implicit-def: $vgpr12
	s_and_saveexec_b64 s[40:41], s[28:29]
	s_xor_b64 s[40:41], exec, s[40:41]
; %bb.1115:                             ;   in Loop: Header=BB2_805 Depth=4
	v_cmp_lt_u64_e64 s[28:29], s[88:89], v[2:3]
	v_add_u32_e32 v8, 7, v19
	v_cndmask_b32_e64 v12, v13, v8, s[28:29]
	v_cndmask_b32_e64 v8, 0, 1, s[28:29]
	v_lshrrev_b64 v[8:9], v8, v[2:3]
; %bb.1116:                             ;   in Loop: Header=BB2_805 Depth=4
	s_andn2_saveexec_b64 s[28:29], s[40:41]
; %bb.1117:                             ;   in Loop: Header=BB2_805 Depth=4
	v_mov_b32_e32 v9, v3
	v_bfe_u32 v12, v2, 23, 1
	v_mov_b32_e32 v8, v2
; %bb.1118:                             ;   in Loop: Header=BB2_805 Depth=4
	s_or_b64 exec, exec, s[28:29]
	v_lshrrev_b64 v[8:9], 20, v[8:9]
	v_cmp_gt_i32_e64 s[28:29], 16, v12
	v_cndmask_b32_e64 v9, 0, v9, s[28:29]
	v_cndmask_b32_e64 v8, 7, v8, s[28:29]
	v_min_i32_e32 v2, 15, v12
	v_cmp_eq_u64_e64 s[40:41], 0, v[8:9]
	v_lshlrev_b32_e32 v2, 3, v2
	v_cmp_eq_u32_e64 s[28:29], 0, v12
	v_and_b32_e32 v2, 0xf8, v2
	v_and_or_b32 v2, v8, 7, v2
	s_and_b64 s[28:29], s[28:29], s[40:41]
	v_cndmask_b32_e64 v2, v2, 0, s[28:29]
	v_or_b32_e32 v24, v2, v18
.LBB2_1119:                             ;   in Loop: Header=BB2_805 Depth=4
	s_or_b64 exec, exec, s[48:49]
                                        ; implicit-def: $vgpr18
.LBB2_1120:                             ;   in Loop: Header=BB2_805 Depth=4
	s_andn2_saveexec_b64 s[28:29], s[38:39]
; %bb.1121:                             ;   in Loop: Header=BB2_805 Depth=4
	v_or_b32_e32 v24, 0x7e, v18
; %bb.1122:                             ;   in Loop: Header=BB2_805 Depth=4
	s_or_b64 exec, exec, s[28:29]
                                        ; implicit-def: $vgpr8
.LBB2_1123:                             ;   in Loop: Header=BB2_805 Depth=4
	s_andn2_saveexec_b64 s[28:29], s[36:37]
; %bb.1124:                             ;   in Loop: Header=BB2_805 Depth=4
	v_or_b32_sdwa v24, v8, s71 dst_sel:DWORD dst_unused:UNUSED_PAD src0_sel:BYTE_3 src1_sel:DWORD
; %bb.1125:                             ;   in Loop: Header=BB2_805 Depth=4
	s_or_b64 exec, exec, s[28:29]
	v_mov_b32_e32 v2, v15
	v_cmp_ne_u16_sdwa s[28:29], v15, v3 src0_sel:BYTE_0 src1_sel:DWORD
	v_mov_b32_e32 v12, 0
	s_and_saveexec_b64 s[40:41], s[28:29]
	s_cbranch_execz .LBB2_1131
; %bb.1126:                             ;   in Loop: Header=BB2_805 Depth=4
	v_cmp_ne_u16_sdwa s[28:29], v15, s70 src0_sel:BYTE_0 src1_sel:DWORD
	v_bfrev_b32_e32 v12, 1
	s_and_saveexec_b64 s[36:37], s[28:29]
	s_cbranch_execz .LBB2_1130
; %bb.1127:                             ;   in Loop: Header=BB2_805 Depth=4
	v_and_b32_e32 v8, 0x7f, v15
	v_cmp_ne_u32_e64 s[28:29], s71, v8
	v_mov_b32_e32 v12, 0x7f800001
	s_and_saveexec_b64 s[38:39], s[28:29]
	s_cbranch_execz .LBB2_1129
; %bb.1128:                             ;   in Loop: Header=BB2_805 Depth=4
	v_and_b32_e32 v9, 7, v15
	v_lshrrev_b32_e32 v12, 3, v8
	v_cmp_gt_u32_e64 s[28:29], 8, v8
	v_ffbh_u32_e32 v8, v9
	v_min_u32_e32 v8, 32, v8
	v_subrev_u32_e32 v9, 28, v8
	v_sub_u32_e32 v8, 29, v8
	v_cndmask_b32_e64 v12, v12, v8, s[28:29]
	v_cndmask_b32_e64 v8, 0, v9, s[28:29]
	v_lshlrev_b64 v[8:9], v8, v[2:3]
	v_lshlrev_b32_e32 v9, 24, v2
	v_lshlrev_b32_e32 v8, 20, v8
	v_and_b32_e32 v8, 0x700000, v8
	v_and_b32_e32 v9, 0x80000000, v9
	v_lshl_add_u32 v12, v12, 23, v49
	v_or3_b32 v12, v9, v12, v8
.LBB2_1129:                             ;   in Loop: Header=BB2_805 Depth=4
	s_or_b64 exec, exec, s[38:39]
.LBB2_1130:                             ;   in Loop: Header=BB2_805 Depth=4
	s_or_b64 exec, exec, s[36:37]
.LBB2_1131:                             ;   in Loop: Header=BB2_805 Depth=4
	s_or_b64 exec, exec, s[40:41]
	v_cmp_gt_i16_sdwa s[40:41], v11, s71 src0_sel:BYTE_0 src1_sel:DWORD
	s_mov_b64 s[28:29], 0
	s_and_saveexec_b64 s[44:45], s[40:41]
	s_xor_b64 s[40:41], exec, s[44:45]
	s_cbranch_execz .LBB2_1135
; %bb.1132:                             ;   in Loop: Header=BB2_805 Depth=4
	v_cmp_eq_u16_sdwa s[44:45], v11, s70 src0_sel:BYTE_0 src1_sel:DWORD
	s_mov_b64 s[28:29], -1
	s_and_saveexec_b64 s[36:37], s[44:45]
; %bb.1133:                             ;   in Loop: Header=BB2_805 Depth=4
	s_xor_b64 s[28:29], exec, -1
; %bb.1134:                             ;   in Loop: Header=BB2_805 Depth=4
	s_or_b64 exec, exec, s[36:37]
	s_and_b64 s[28:29], s[28:29], exec
.LBB2_1135:                             ;   in Loop: Header=BB2_805 Depth=4
	s_or_saveexec_b64 s[40:41], s[40:41]
	v_bfrev_b32_e32 v13, 1
	s_xor_b64 exec, exec, s[40:41]
; %bb.1136:                             ;   in Loop: Header=BB2_805 Depth=4
	v_cmp_ne_u16_sdwa s[44:45], v11, v3 src0_sel:BYTE_0 src1_sel:DWORD
	s_andn2_b64 s[28:29], s[28:29], exec
	s_and_b64 s[44:45], s[44:45], exec
	v_mov_b32_e32 v13, 0
	s_or_b64 s[28:29], s[28:29], s[44:45]
; %bb.1137:                             ;   in Loop: Header=BB2_805 Depth=4
	s_or_b64 exec, exec, s[40:41]
	v_mov_b32_e32 v8, v11
	v_mov_b32_e32 v9, v3
	s_and_saveexec_b64 s[40:41], s[28:29]
	s_cbranch_execz .LBB2_1139
; %bb.1138:                             ;   in Loop: Header=BB2_805 Depth=4
	v_and_b32_e32 v13, 7, v11
	v_ffbh_u32_e32 v13, v13
	v_and_b32_e32 v25, 0x7f, v11
	v_min_u32_e32 v13, 32, v13
	v_bfe_u32 v18, v11, 3, 4
	v_subrev_u32_e32 v19, 28, v13
	v_sub_u32_e32 v13, 29, v13
	v_cmp_gt_u32_e64 s[28:29], 8, v25
	v_cndmask_b32_e64 v13, v18, v13, s[28:29]
	v_cndmask_b32_e64 v18, 0, v19, s[28:29]
	v_lshlrev_b64 v[18:19], v18, v[8:9]
	v_lshl_add_u32 v13, v13, 23, v49
	v_lshlrev_b32_e32 v9, 20, v18
	v_lshlrev_b32_e32 v18, 24, v8
	v_and_b32_e32 v9, 0x700000, v9
	v_and_b32_e32 v18, 0x80000000, v18
	v_or3_b32 v9, v18, v13, v9
	v_cmp_ne_u32_e64 s[28:29], s71, v25
	v_cndmask_b32_e64 v13, v5, v9, s[28:29]
.LBB2_1139:                             ;   in Loop: Header=BB2_805 Depth=4
	s_or_b64 exec, exec, s[40:41]
	v_mul_f32_e32 v12, v12, v13
	v_and_b32_e32 v18, 0x7f800000, v12
	v_mov_b32_e32 v19, v3
	v_cmp_ne_u64_e64 s[28:29], s[62:63], v[18:19]
                                        ; implicit-def: $vgpr18
	s_and_saveexec_b64 s[40:41], s[28:29]
	s_xor_b64 s[36:37], exec, s[40:41]
	s_cbranch_execz .LBB2_1153
; %bb.1140:                             ;   in Loop: Header=BB2_805 Depth=4
	v_and_b32_e32 v18, 0x7fffffff, v12
	v_mov_b32_e32 v19, v3
	v_cmp_gt_u64_e64 s[28:29], s[72:73], v[18:19]
	v_and_b32_sdwa v9, v12, s70 dst_sel:DWORD dst_unused:UNUSED_PAD src0_sel:BYTE_3 src1_sel:DWORD
                                        ; implicit-def: $vgpr18
	s_and_saveexec_b64 s[40:41], s[28:29]
	s_xor_b64 s[38:39], exec, s[40:41]
	s_cbranch_execz .LBB2_1150
; %bb.1141:                             ;   in Loop: Header=BB2_805 Depth=4
	v_mov_b32_e32 v18, 0
	v_cmp_ne_u32_e64 s[28:29], 0, v12
	s_and_saveexec_b64 s[48:49], s[28:29]
	s_cbranch_execz .LBB2_1149
; %bb.1142:                             ;   in Loop: Header=BB2_805 Depth=4
	v_bfe_u32 v25, v12, 23, 8
	v_and_b32_e32 v13, 0x7fffff, v12
	v_cmp_gt_u32_e64 s[40:41], s80, v25
	v_sub_u32_e32 v12, 0x79, v25
	v_cmp_eq_u32_e64 s[28:29], 0, v25
	v_cndmask_b32_e64 v12, 0, v12, s[40:41]
	v_or_b32_e32 v18, 0x800000, v13
	v_cndmask_b32_e64 v36, v12, v1, s[28:29]
	v_cndmask_b32_e64 v12, v18, v13, s[28:29]
	v_add_u32_e32 v18, 20, v36
	v_lshlrev_b64 v[18:19], v18, -1
	v_mov_b32_e32 v13, v3
	v_add_u32_e32 v40, 19, v36
	v_bfi_b32 v18, v18, 0, v12
	v_lshlrev_b64 v[40:41], v40, 1
	v_lshrrev_b64 v[12:13], v36, v[12:13]
	v_bfi_b32 v19, v19, 0, 0
	v_cmp_eq_u64_e64 s[40:41], v[18:19], v[40:41]
	v_mov_b32_e32 v19, v13
	v_mov_b32_e32 v18, v12
	s_and_saveexec_b64 s[50:51], s[40:41]
; %bb.1143:                             ;   in Loop: Header=BB2_805 Depth=4
	v_bfe_u32 v13, v12, 20, 1
	v_add_co_u32_e64 v13, s[40:41], v12, v13
	v_add_co_u32_e64 v18, s[40:41], -1, v13
; %bb.1144:                             ;   in Loop: Header=BB2_805 Depth=4
	s_or_b64 exec, exec, s[50:51]
	v_add_u32_e32 v13, 0xffffff81, v25
	v_cndmask_b32_e64 v13, v13, v0, s[28:29]
	v_lshrrev_b32_e32 v19, 23, v12
	v_add3_u32 v25, v36, v13, v19
	v_add_u32_e32 v19, 6, v25
	v_and_b32_e32 v13, 0xfffff, v18
	v_add_u32_e32 v12, v13, v12
	v_mov_b32_e32 v13, v3
	v_cmp_ne_u32_e64 s[28:29], 0, v19
                                        ; implicit-def: $vgpr18
	s_and_saveexec_b64 s[40:41], s[28:29]
	s_xor_b64 s[40:41], exec, s[40:41]
; %bb.1145:                             ;   in Loop: Header=BB2_805 Depth=4
	v_cmp_lt_u64_e64 s[28:29], s[88:89], v[12:13]
	v_add_u32_e32 v18, 7, v25
	v_cndmask_b32_e64 v18, v19, v18, s[28:29]
	v_cndmask_b32_e64 v19, 0, 1, s[28:29]
	v_lshrrev_b64 v[12:13], v19, v[12:13]
; %bb.1146:                             ;   in Loop: Header=BB2_805 Depth=4
	s_andn2_saveexec_b64 s[28:29], s[40:41]
; %bb.1147:                             ;   in Loop: Header=BB2_805 Depth=4
	v_bfe_u32 v18, v12, 23, 1
; %bb.1148:                             ;   in Loop: Header=BB2_805 Depth=4
	s_or_b64 exec, exec, s[28:29]
	v_lshrrev_b64 v[12:13], 20, v[12:13]
	v_cmp_gt_i32_e64 s[28:29], 16, v18
	v_cndmask_b32_e64 v13, 0, v13, s[28:29]
	v_cndmask_b32_e64 v12, 7, v12, s[28:29]
	v_cmp_eq_u64_e64 s[40:41], 0, v[12:13]
	v_min_i32_e32 v13, 15, v18
	v_lshlrev_b32_e32 v13, 3, v13
	v_cmp_eq_u32_e64 s[28:29], 0, v18
	v_and_b32_e32 v13, 0xf8, v13
	v_and_or_b32 v12, v12, 7, v13
	s_and_b64 s[28:29], s[28:29], s[40:41]
	v_cndmask_b32_e64 v12, v12, 0, s[28:29]
	v_or_b32_e32 v18, v12, v9
.LBB2_1149:                             ;   in Loop: Header=BB2_805 Depth=4
	s_or_b64 exec, exec, s[48:49]
                                        ; implicit-def: $vgpr9
.LBB2_1150:                             ;   in Loop: Header=BB2_805 Depth=4
	s_andn2_saveexec_b64 s[28:29], s[38:39]
; %bb.1151:                             ;   in Loop: Header=BB2_805 Depth=4
	v_or_b32_e32 v18, 0x7e, v9
; %bb.1152:                             ;   in Loop: Header=BB2_805 Depth=4
	s_or_b64 exec, exec, s[28:29]
                                        ; implicit-def: $vgpr12
.LBB2_1153:                             ;   in Loop: Header=BB2_805 Depth=4
	s_andn2_saveexec_b64 s[28:29], s[36:37]
; %bb.1154:                             ;   in Loop: Header=BB2_805 Depth=4
	v_or_b32_sdwa v18, v12, s71 dst_sel:DWORD dst_unused:UNUSED_PAD src0_sel:BYTE_3 src1_sel:DWORD
; %bb.1155:                             ;   in Loop: Header=BB2_805 Depth=4
	s_or_b64 exec, exec, s[28:29]
	v_lshrrev_b16_e32 v9, 8, v2
	v_cmp_ne_u16_e64 s[28:29], 0, v9
	v_mov_b32_e32 v12, 0
	s_and_saveexec_b64 s[40:41], s[28:29]
	s_cbranch_execz .LBB2_1161
; %bb.1156:                             ;   in Loop: Header=BB2_805 Depth=4
	v_cmp_ne_u16_e64 s[28:29], s70, v9
	v_bfrev_b32_e32 v12, 1
	s_and_saveexec_b64 s[36:37], s[28:29]
	s_cbranch_execz .LBB2_1160
; %bb.1157:                             ;   in Loop: Header=BB2_805 Depth=4
	v_and_b32_e32 v13, 0x7f, v9
	v_cmp_ne_u32_e64 s[28:29], s71, v13
	v_mov_b32_e32 v12, 0x7f800001
	s_and_saveexec_b64 s[38:39], s[28:29]
	s_cbranch_execz .LBB2_1159
; %bb.1158:                             ;   in Loop: Header=BB2_805 Depth=4
	v_and_b32_e32 v19, 7, v9
	v_ffbh_u32_e32 v12, v19
	v_min_u32_e32 v36, 32, v12
	v_subrev_u32_e32 v12, 28, v36
	v_lshrrev_b32_e32 v25, 3, v13
	v_cmp_gt_u32_e64 s[28:29], 8, v13
	v_lshlrev_b64 v[12:13], v12, v[9:10]
	v_sub_u32_e32 v9, 29, v36
	v_and_b32_e32 v12, 7, v12
	v_cndmask_b32_e64 v9, v25, v9, s[28:29]
	v_cndmask_b32_e64 v12, v19, v12, s[28:29]
	v_lshlrev_b32_e32 v2, 16, v2
	v_lshlrev_b32_e32 v12, 20, v12
	v_and_b32_e32 v2, 0x80000000, v2
	v_lshl_add_u32 v9, v9, 23, v49
	v_or3_b32 v12, v2, v9, v12
.LBB2_1159:                             ;   in Loop: Header=BB2_805 Depth=4
	s_or_b64 exec, exec, s[38:39]
.LBB2_1160:                             ;   in Loop: Header=BB2_805 Depth=4
	s_or_b64 exec, exec, s[36:37]
.LBB2_1161:                             ;   in Loop: Header=BB2_805 Depth=4
	s_or_b64 exec, exec, s[40:41]
	v_lshrrev_b16_e32 v2, 8, v8
	v_cmp_lt_i16_e64 s[28:29], s71, v2
	s_mov_b64 s[40:41], 0
	s_and_saveexec_b64 s[44:45], s[28:29]
	s_xor_b64 s[36:37], exec, s[44:45]
	s_cbranch_execz .LBB2_1249
; %bb.1162:                             ;   in Loop: Header=BB2_805 Depth=4
	v_cmp_eq_u16_e64 s[28:29], s70, v2
	s_mov_b64 s[40:41], -1
	s_and_saveexec_b64 s[38:39], s[28:29]
; %bb.1163:                             ;   in Loop: Header=BB2_805 Depth=4
	s_xor_b64 s[40:41], exec, -1
; %bb.1164:                             ;   in Loop: Header=BB2_805 Depth=4
	s_or_b64 exec, exec, s[38:39]
	s_and_b64 s[40:41], s[40:41], exec
	s_or_saveexec_b64 s[36:37], s[36:37]
	v_bfrev_b32_e32 v8, 1
	s_xor_b64 exec, exec, s[36:37]
	s_cbranch_execnz .LBB2_1250
.LBB2_1165:                             ;   in Loop: Header=BB2_805 Depth=4
	s_or_b64 exec, exec, s[36:37]
	s_and_saveexec_b64 s[36:37], s[40:41]
	s_cbranch_execz .LBB2_1167
.LBB2_1166:                             ;   in Loop: Header=BB2_805 Depth=4
	v_and_b32_e32 v13, 7, v2
	v_ffbh_u32_e32 v8, v13
	v_min_u32_e32 v36, 32, v8
	v_subrev_u32_e32 v8, 28, v36
	v_lshlrev_b64 v[8:9], v8, v[2:3]
	v_and_b32_e32 v19, 0x7f, v2
	v_bfe_u32 v25, v2, 3, 4
	v_sub_u32_e32 v9, 29, v36
	v_and_b32_e32 v8, 7, v8
	v_cmp_gt_u32_e64 s[28:29], 8, v19
	v_cndmask_b32_e64 v9, v25, v9, s[28:29]
	v_cndmask_b32_e64 v8, v13, v8, s[28:29]
	v_lshlrev_b32_e32 v2, 24, v2
	v_lshlrev_b32_e32 v8, 20, v8
	v_and_b32_e32 v2, 0x80000000, v2
	v_lshl_add_u32 v9, v9, 23, v49
	v_or3_b32 v2, v2, v9, v8
	v_cmp_ne_u32_e64 s[28:29], s71, v19
	v_cndmask_b32_e64 v8, v5, v2, s[28:29]
.LBB2_1167:                             ;   in Loop: Header=BB2_805 Depth=4
	s_or_b64 exec, exec, s[36:37]
	v_mul_f32_e32 v8, v12, v8
	v_and_b32_e32 v2, 0x7f800000, v8
	v_cmp_ne_u64_e64 s[28:29], s[62:63], v[2:3]
                                        ; implicit-def: $vgpr19
	s_and_saveexec_b64 s[40:41], s[28:29]
	s_xor_b64 s[36:37], exec, s[40:41]
	s_cbranch_execz .LBB2_1181
; %bb.1168:                             ;   in Loop: Header=BB2_805 Depth=4
	v_and_b32_e32 v2, 0x7fffffff, v8
	v_cmp_gt_u64_e64 s[28:29], s[72:73], v[2:3]
	v_and_b32_sdwa v25, v8, s70 dst_sel:DWORD dst_unused:UNUSED_PAD src0_sel:BYTE_3 src1_sel:DWORD
                                        ; implicit-def: $vgpr19
	s_and_saveexec_b64 s[40:41], s[28:29]
	s_xor_b64 s[38:39], exec, s[40:41]
	s_cbranch_execz .LBB2_1178
; %bb.1169:                             ;   in Loop: Header=BB2_805 Depth=4
	v_mov_b32_e32 v19, 0
	v_cmp_ne_u32_e64 s[28:29], 0, v8
	s_and_saveexec_b64 s[48:49], s[28:29]
	s_cbranch_execz .LBB2_1177
; %bb.1170:                             ;   in Loop: Header=BB2_805 Depth=4
	v_bfe_u32 v19, v8, 23, 8
	v_and_b32_e32 v2, 0x7fffff, v8
	v_cmp_gt_u32_e64 s[40:41], s80, v19
	v_sub_u32_e32 v8, 0x79, v19
	v_cmp_eq_u32_e64 s[28:29], 0, v19
	v_cndmask_b32_e64 v8, 0, v8, s[40:41]
	v_cndmask_b32_e64 v36, v8, v1, s[28:29]
	v_or_b32_e32 v9, 0x800000, v2
	v_add_u32_e32 v8, 20, v36
	v_cndmask_b32_e64 v2, v9, v2, s[28:29]
	v_lshlrev_b64 v[8:9], v8, -1
	v_add_u32_e32 v12, 19, v36
	v_lshlrev_b64 v[12:13], v12, 1
	v_bfi_b32 v9, v9, 0, 0
	v_bfi_b32 v8, v8, 0, v2
	v_cmp_eq_u64_e64 s[40:41], v[8:9], v[12:13]
	v_lshrrev_b64 v[8:9], v36, v[2:3]
	v_mov_b32_e32 v13, v9
	v_mov_b32_e32 v12, v8
	s_and_saveexec_b64 s[50:51], s[40:41]
; %bb.1171:                             ;   in Loop: Header=BB2_805 Depth=4
	v_bfe_u32 v2, v8, 20, 1
	v_add_co_u32_e64 v2, s[40:41], v8, v2
	v_add_co_u32_e64 v12, s[40:41], -1, v2
; %bb.1172:                             ;   in Loop: Header=BB2_805 Depth=4
	s_or_b64 exec, exec, s[50:51]
	v_add_u32_e32 v2, 0xffffff81, v19
	v_cndmask_b32_e64 v2, v2, v0, s[28:29]
	v_lshrrev_b32_e32 v9, 23, v8
	v_add3_u32 v19, v36, v2, v9
	v_add_u32_e32 v13, 6, v19
	v_and_b32_e32 v2, 0xfffff, v12
	v_add_u32_e32 v2, v2, v8
	v_cmp_ne_u32_e64 s[28:29], 0, v13
                                        ; implicit-def: $vgpr8_vgpr9
                                        ; implicit-def: $vgpr12
	s_and_saveexec_b64 s[40:41], s[28:29]
	s_xor_b64 s[40:41], exec, s[40:41]
; %bb.1173:                             ;   in Loop: Header=BB2_805 Depth=4
	v_cmp_lt_u64_e64 s[28:29], s[88:89], v[2:3]
	v_add_u32_e32 v8, 7, v19
	v_cndmask_b32_e64 v12, v13, v8, s[28:29]
	v_cndmask_b32_e64 v8, 0, 1, s[28:29]
	v_lshrrev_b64 v[8:9], v8, v[2:3]
; %bb.1174:                             ;   in Loop: Header=BB2_805 Depth=4
	s_andn2_saveexec_b64 s[28:29], s[40:41]
; %bb.1175:                             ;   in Loop: Header=BB2_805 Depth=4
	v_mov_b32_e32 v9, v3
	v_bfe_u32 v12, v2, 23, 1
	v_mov_b32_e32 v8, v2
; %bb.1176:                             ;   in Loop: Header=BB2_805 Depth=4
	s_or_b64 exec, exec, s[28:29]
	v_lshrrev_b64 v[8:9], 20, v[8:9]
	v_cmp_gt_i32_e64 s[28:29], 16, v12
	v_cndmask_b32_e64 v9, 0, v9, s[28:29]
	v_cndmask_b32_e64 v8, 7, v8, s[28:29]
	v_min_i32_e32 v2, 15, v12
	v_cmp_eq_u64_e64 s[40:41], 0, v[8:9]
	v_lshlrev_b32_e32 v2, 3, v2
	v_cmp_eq_u32_e64 s[28:29], 0, v12
	v_and_b32_e32 v2, 0xf8, v2
	v_and_or_b32 v2, v8, 7, v2
	s_and_b64 s[28:29], s[28:29], s[40:41]
	v_cndmask_b32_e64 v2, v2, 0, s[28:29]
	v_or_b32_e32 v19, v2, v25
.LBB2_1177:                             ;   in Loop: Header=BB2_805 Depth=4
	s_or_b64 exec, exec, s[48:49]
                                        ; implicit-def: $vgpr25
.LBB2_1178:                             ;   in Loop: Header=BB2_805 Depth=4
	s_andn2_saveexec_b64 s[28:29], s[38:39]
; %bb.1179:                             ;   in Loop: Header=BB2_805 Depth=4
	v_or_b32_e32 v19, 0x7e, v25
; %bb.1180:                             ;   in Loop: Header=BB2_805 Depth=4
	s_or_b64 exec, exec, s[28:29]
                                        ; implicit-def: $vgpr8
.LBB2_1181:                             ;   in Loop: Header=BB2_805 Depth=4
	s_andn2_saveexec_b64 s[28:29], s[36:37]
; %bb.1182:                             ;   in Loop: Header=BB2_805 Depth=4
	v_or_b32_sdwa v19, v8, s71 dst_sel:DWORD dst_unused:UNUSED_PAD src0_sel:BYTE_3 src1_sel:DWORD
; %bb.1183:                             ;   in Loop: Header=BB2_805 Depth=4
	s_or_b64 exec, exec, s[28:29]
	v_lshrrev_b32_e32 v2, 16, v15
	v_cmp_ne_u16_sdwa s[28:29], v2, v3 src0_sel:BYTE_0 src1_sel:DWORD
	v_mov_b32_e32 v8, 0
	s_and_saveexec_b64 s[40:41], s[28:29]
	s_cbranch_execz .LBB2_1189
; %bb.1184:                             ;   in Loop: Header=BB2_805 Depth=4
	v_cmp_ne_u16_sdwa s[28:29], v2, s70 src0_sel:BYTE_0 src1_sel:DWORD
	v_bfrev_b32_e32 v8, 1
	s_and_saveexec_b64 s[36:37], s[28:29]
	s_cbranch_execz .LBB2_1188
; %bb.1185:                             ;   in Loop: Header=BB2_805 Depth=4
	v_bfe_u32 v9, v15, 16, 7
	v_cmp_ne_u32_e64 s[28:29], s71, v9
	v_mov_b32_e32 v8, 0x7f800001
	s_and_saveexec_b64 s[38:39], s[28:29]
	s_cbranch_execz .LBB2_1187
; %bb.1186:                             ;   in Loop: Header=BB2_805 Depth=4
	v_and_b32_e32 v12, 7, v2
	v_ffbh_u32_e32 v8, v12
	v_min_u32_e32 v25, 32, v8
	v_subrev_u32_e32 v8, 28, v25
	v_lshrrev_b32_e32 v13, 3, v9
	v_cmp_gt_u32_e64 s[28:29], 8, v9
	v_lshlrev_b64 v[8:9], v8, v[2:3]
	v_sub_u32_e32 v9, 29, v25
	v_and_b32_e32 v8, 7, v8
	v_cndmask_b32_e64 v9, v13, v9, s[28:29]
	v_cndmask_b32_e64 v8, v12, v8, s[28:29]
	v_lshlrev_b32_e32 v2, 24, v2
	v_lshlrev_b32_e32 v8, 20, v8
	v_and_b32_e32 v2, 0x80000000, v2
	v_lshl_add_u32 v9, v9, 23, v49
	v_or3_b32 v8, v2, v9, v8
.LBB2_1187:                             ;   in Loop: Header=BB2_805 Depth=4
	s_or_b64 exec, exec, s[38:39]
.LBB2_1188:                             ;   in Loop: Header=BB2_805 Depth=4
	s_or_b64 exec, exec, s[36:37]
.LBB2_1189:                             ;   in Loop: Header=BB2_805 Depth=4
	s_or_b64 exec, exec, s[40:41]
	v_lshrrev_b32_e32 v2, 16, v11
	v_cmp_gt_i16_sdwa s[40:41], v2, s71 src0_sel:BYTE_0 src1_sel:DWORD
	s_mov_b64 s[28:29], 0
	s_and_saveexec_b64 s[44:45], s[40:41]
	s_xor_b64 s[40:41], exec, s[44:45]
	s_cbranch_execz .LBB2_1251
; %bb.1190:                             ;   in Loop: Header=BB2_805 Depth=4
	v_cmp_eq_u16_sdwa s[44:45], v2, s70 src0_sel:BYTE_0 src1_sel:DWORD
	s_mov_b64 s[28:29], -1
	s_and_saveexec_b64 s[36:37], s[44:45]
; %bb.1191:                             ;   in Loop: Header=BB2_805 Depth=4
	s_xor_b64 s[28:29], exec, -1
; %bb.1192:                             ;   in Loop: Header=BB2_805 Depth=4
	s_or_b64 exec, exec, s[36:37]
	s_and_b64 s[28:29], s[28:29], exec
	s_or_saveexec_b64 s[40:41], s[40:41]
	v_bfrev_b32_e32 v9, 1
	s_xor_b64 exec, exec, s[40:41]
	s_cbranch_execnz .LBB2_1252
.LBB2_1193:                             ;   in Loop: Header=BB2_805 Depth=4
	s_or_b64 exec, exec, s[40:41]
	s_and_saveexec_b64 s[40:41], s[28:29]
	s_cbranch_execz .LBB2_1195
.LBB2_1194:                             ;   in Loop: Header=BB2_805 Depth=4
	v_and_b32_e32 v9, 7, v2
	v_ffbh_u32_e32 v12, v9
	v_min_u32_e32 v40, 32, v12
	v_subrev_u32_e32 v12, 28, v40
	v_lshlrev_b64 v[12:13], v12, v[2:3]
	v_and_b32_e32 v25, 0x7f, v2
	v_bfe_u32 v36, v2, 3, 4
	v_sub_u32_e32 v13, 29, v40
	v_and_b32_e32 v12, 7, v12
	v_cmp_gt_u32_e64 s[28:29], 8, v25
	v_cndmask_b32_e64 v13, v36, v13, s[28:29]
	v_cndmask_b32_e64 v9, v9, v12, s[28:29]
	v_lshlrev_b32_e32 v2, 24, v2
	v_lshlrev_b32_e32 v9, 20, v9
	v_and_b32_e32 v2, 0x80000000, v2
	v_lshl_add_u32 v12, v13, 23, v49
	v_or3_b32 v2, v2, v12, v9
	v_cmp_ne_u32_e64 s[28:29], s71, v25
	v_cndmask_b32_e64 v9, v5, v2, s[28:29]
.LBB2_1195:                             ;   in Loop: Header=BB2_805 Depth=4
	s_or_b64 exec, exec, s[40:41]
	v_mul_f32_e32 v8, v8, v9
	v_and_b32_e32 v2, 0x7f800000, v8
	v_cmp_ne_u64_e64 s[28:29], s[62:63], v[2:3]
                                        ; implicit-def: $vgpr12
	s_and_saveexec_b64 s[40:41], s[28:29]
	s_xor_b64 s[36:37], exec, s[40:41]
	s_cbranch_execz .LBB2_1209
; %bb.1196:                             ;   in Loop: Header=BB2_805 Depth=4
	v_and_b32_e32 v2, 0x7fffffff, v8
	v_cmp_gt_u64_e64 s[28:29], s[72:73], v[2:3]
	v_and_b32_sdwa v25, v8, s70 dst_sel:DWORD dst_unused:UNUSED_PAD src0_sel:BYTE_3 src1_sel:DWORD
                                        ; implicit-def: $vgpr12
	s_and_saveexec_b64 s[40:41], s[28:29]
	s_xor_b64 s[38:39], exec, s[40:41]
	s_cbranch_execz .LBB2_1206
; %bb.1197:                             ;   in Loop: Header=BB2_805 Depth=4
	v_mov_b32_e32 v12, 0
	v_cmp_ne_u32_e64 s[28:29], 0, v8
	s_and_saveexec_b64 s[48:49], s[28:29]
	s_cbranch_execz .LBB2_1205
; %bb.1198:                             ;   in Loop: Header=BB2_805 Depth=4
	v_bfe_u32 v36, v8, 23, 8
	v_and_b32_e32 v2, 0x7fffff, v8
	v_cmp_gt_u32_e64 s[40:41], s80, v36
	v_sub_u32_e32 v8, 0x79, v36
	v_cmp_eq_u32_e64 s[28:29], 0, v36
	v_cndmask_b32_e64 v8, 0, v8, s[40:41]
	v_cndmask_b32_e64 v40, v8, v1, s[28:29]
	v_or_b32_e32 v9, 0x800000, v2
	v_add_u32_e32 v8, 20, v40
	v_cndmask_b32_e64 v2, v9, v2, s[28:29]
	v_lshlrev_b64 v[8:9], v8, -1
	v_add_u32_e32 v12, 19, v40
	v_lshlrev_b64 v[12:13], v12, 1
	v_bfi_b32 v9, v9, 0, 0
	v_bfi_b32 v8, v8, 0, v2
	v_cmp_eq_u64_e64 s[40:41], v[8:9], v[12:13]
	v_lshrrev_b64 v[8:9], v40, v[2:3]
	v_mov_b32_e32 v13, v9
	v_mov_b32_e32 v12, v8
	s_and_saveexec_b64 s[50:51], s[40:41]
; %bb.1199:                             ;   in Loop: Header=BB2_805 Depth=4
	v_bfe_u32 v2, v8, 20, 1
	v_add_co_u32_e64 v2, s[40:41], v8, v2
	v_add_co_u32_e64 v12, s[40:41], -1, v2
; %bb.1200:                             ;   in Loop: Header=BB2_805 Depth=4
	s_or_b64 exec, exec, s[50:51]
	v_add_u32_e32 v2, 0xffffff81, v36
	v_cndmask_b32_e64 v2, v2, v0, s[28:29]
	v_lshrrev_b32_e32 v9, 23, v8
	v_add3_u32 v36, v40, v2, v9
	v_add_u32_e32 v13, 6, v36
	v_and_b32_e32 v2, 0xfffff, v12
	v_add_u32_e32 v2, v2, v8
	v_cmp_ne_u32_e64 s[28:29], 0, v13
                                        ; implicit-def: $vgpr8_vgpr9
                                        ; implicit-def: $vgpr12
	s_and_saveexec_b64 s[40:41], s[28:29]
	s_xor_b64 s[40:41], exec, s[40:41]
; %bb.1201:                             ;   in Loop: Header=BB2_805 Depth=4
	v_cmp_lt_u64_e64 s[28:29], s[88:89], v[2:3]
	v_add_u32_e32 v8, 7, v36
	v_cndmask_b32_e64 v12, v13, v8, s[28:29]
	v_cndmask_b32_e64 v8, 0, 1, s[28:29]
	v_lshrrev_b64 v[8:9], v8, v[2:3]
; %bb.1202:                             ;   in Loop: Header=BB2_805 Depth=4
	s_andn2_saveexec_b64 s[28:29], s[40:41]
; %bb.1203:                             ;   in Loop: Header=BB2_805 Depth=4
	v_mov_b32_e32 v9, v3
	v_bfe_u32 v12, v2, 23, 1
	v_mov_b32_e32 v8, v2
; %bb.1204:                             ;   in Loop: Header=BB2_805 Depth=4
	s_or_b64 exec, exec, s[28:29]
	v_lshrrev_b64 v[8:9], 20, v[8:9]
	v_cmp_gt_i32_e64 s[28:29], 16, v12
	v_cndmask_b32_e64 v9, 0, v9, s[28:29]
	v_cndmask_b32_e64 v8, 7, v8, s[28:29]
	v_min_i32_e32 v2, 15, v12
	v_cmp_eq_u64_e64 s[40:41], 0, v[8:9]
	v_lshlrev_b32_e32 v2, 3, v2
	v_cmp_eq_u32_e64 s[28:29], 0, v12
	v_and_b32_e32 v2, 0xf8, v2
	v_and_or_b32 v2, v8, 7, v2
	s_and_b64 s[28:29], s[28:29], s[40:41]
	v_cndmask_b32_e64 v2, v2, 0, s[28:29]
	v_or_b32_e32 v12, v2, v25
.LBB2_1205:                             ;   in Loop: Header=BB2_805 Depth=4
	s_or_b64 exec, exec, s[48:49]
                                        ; implicit-def: $vgpr25
.LBB2_1206:                             ;   in Loop: Header=BB2_805 Depth=4
	s_andn2_saveexec_b64 s[28:29], s[38:39]
; %bb.1207:                             ;   in Loop: Header=BB2_805 Depth=4
	v_or_b32_e32 v12, 0x7e, v25
; %bb.1208:                             ;   in Loop: Header=BB2_805 Depth=4
	s_or_b64 exec, exec, s[28:29]
                                        ; implicit-def: $vgpr8
.LBB2_1209:                             ;   in Loop: Header=BB2_805 Depth=4
	s_andn2_saveexec_b64 s[28:29], s[36:37]
; %bb.1210:                             ;   in Loop: Header=BB2_805 Depth=4
	v_or_b32_sdwa v12, v8, s71 dst_sel:DWORD dst_unused:UNUSED_PAD src0_sel:BYTE_3 src1_sel:DWORD
; %bb.1211:                             ;   in Loop: Header=BB2_805 Depth=4
	s_or_b64 exec, exec, s[28:29]
	v_cmp_lt_u64_e64 s[28:29], s[56:57], v[14:15]
	v_mov_b32_e32 v8, 0
	s_and_saveexec_b64 s[40:41], s[28:29]
	s_cbranch_execz .LBB2_1217
; %bb.1212:                             ;   in Loop: Header=BB2_805 Depth=4
	v_lshrrev_b32_e32 v2, 24, v15
	v_cmp_ne_u32_e64 s[28:29], s70, v2
	v_bfrev_b32_e32 v8, 1
	s_and_saveexec_b64 s[36:37], s[28:29]
	s_cbranch_execz .LBB2_1216
; %bb.1213:                             ;   in Loop: Header=BB2_805 Depth=4
	v_bfe_u32 v9, v15, 24, 7
	v_cmp_ne_u32_e64 s[28:29], s71, v9
	v_mov_b32_e32 v8, 0x7f800001
	s_and_saveexec_b64 s[38:39], s[28:29]
	s_cbranch_execz .LBB2_1215
; %bb.1214:                             ;   in Loop: Header=BB2_805 Depth=4
	v_and_b32_e32 v13, 7, v2
	v_ffbh_u32_e32 v8, v13
	v_min_u32_e32 v15, 32, v8
	v_subrev_u32_e32 v8, 28, v15
	v_lshrrev_b32_e32 v14, 3, v9
	v_cmp_gt_u32_e64 s[28:29], 8, v9
	v_lshlrev_b64 v[8:9], v8, v[2:3]
	v_sub_u32_e32 v9, 29, v15
	v_and_b32_e32 v8, 7, v8
	v_cndmask_b32_e64 v9, v14, v9, s[28:29]
	v_cndmask_b32_e64 v8, v13, v8, s[28:29]
	v_lshlrev_b32_e32 v2, 24, v2
	v_lshlrev_b32_e32 v8, 20, v8
	v_and_b32_e32 v2, 0x80000000, v2
	v_lshl_add_u32 v9, v9, 23, v49
	v_or3_b32 v8, v2, v9, v8
.LBB2_1215:                             ;   in Loop: Header=BB2_805 Depth=4
	s_or_b64 exec, exec, s[38:39]
.LBB2_1216:                             ;   in Loop: Header=BB2_805 Depth=4
	s_or_b64 exec, exec, s[36:37]
.LBB2_1217:                             ;   in Loop: Header=BB2_805 Depth=4
	s_or_b64 exec, exec, s[40:41]
	v_bfe_u32 v9, v11, 24, 3
	v_ffbh_u32_e32 v13, v9
	v_min_u32_e32 v36, 32, v13
	v_lshrrev_b32_e32 v2, 24, v11
	v_subrev_u32_e32 v13, 28, v36
	v_lshlrev_b64 v[13:14], v13, v[2:3]
	v_bfe_u32 v15, v11, 24, 7
	v_bfe_u32 v25, v2, 3, 4
	v_sub_u32_e32 v14, 29, v36
	v_and_b32_e32 v13, 7, v13
	v_cmp_gt_u32_e64 s[28:29], 8, v15
	v_cndmask_b32_e64 v14, v25, v14, s[28:29]
	v_cndmask_b32_e64 v9, v9, v13, s[28:29]
	v_lshlrev_b32_e32 v9, 20, v9
	v_and_b32_e32 v13, 0x80000000, v11
	v_lshl_add_u32 v14, v14, 23, v49
	v_or3_b32 v9, v13, v14, v9
	v_cmp_ne_u32_e64 s[28:29], s71, v15
	v_cndmask_b32_e64 v9, v5, v9, s[28:29]
	v_cmp_ne_u32_e64 s[28:29], s70, v2
	v_cndmask_b32_e64 v2, v35, v9, s[28:29]
	v_cmp_lt_u64_e64 s[28:29], s[56:57], v[10:11]
	v_cndmask_b32_e64 v2, 0, v2, s[28:29]
	v_mul_f32_e32 v8, v2, v8
	v_and_b32_e32 v2, 0x7f800000, v8
	v_cmp_ne_u64_e64 s[28:29], s[62:63], v[2:3]
                                        ; implicit-def: $vgpr2
	s_and_saveexec_b64 s[40:41], s[28:29]
	s_xor_b64 s[36:37], exec, s[40:41]
	s_cbranch_execz .LBB2_1231
; %bb.1218:                             ;   in Loop: Header=BB2_805 Depth=4
	v_and_b32_e32 v2, 0x7fffffff, v8
	v_cmp_gt_u64_e64 s[28:29], s[72:73], v[2:3]
	v_and_b32_sdwa v11, v8, s70 dst_sel:DWORD dst_unused:UNUSED_PAD src0_sel:BYTE_3 src1_sel:DWORD
                                        ; implicit-def: $vgpr2
	s_and_saveexec_b64 s[40:41], s[28:29]
	s_xor_b64 s[38:39], exec, s[40:41]
	s_cbranch_execz .LBB2_1228
; %bb.1219:                             ;   in Loop: Header=BB2_805 Depth=4
	v_mov_b32_e32 v2, 0
	v_cmp_ne_u32_e64 s[28:29], 0, v8
	s_and_saveexec_b64 s[48:49], s[28:29]
	s_cbranch_execz .LBB2_1227
; %bb.1220:                             ;   in Loop: Header=BB2_805 Depth=4
	v_bfe_u32 v13, v8, 23, 8
	v_and_b32_e32 v2, 0x7fffff, v8
	v_cmp_gt_u32_e64 s[40:41], s80, v13
	v_sub_u32_e32 v8, 0x79, v13
	v_cmp_eq_u32_e64 s[28:29], 0, v13
	v_cndmask_b32_e64 v8, 0, v8, s[40:41]
	v_cndmask_b32_e64 v14, v8, v1, s[28:29]
	v_or_b32_e32 v9, 0x800000, v2
	v_add_u32_e32 v8, 20, v14
	v_cndmask_b32_e64 v2, v9, v2, s[28:29]
	v_lshlrev_b64 v[8:9], v8, -1
	v_add_u32_e32 v10, 19, v14
	v_lshlrev_b64 v[40:41], v10, 1
	v_bfi_b32 v9, v9, 0, 0
	v_bfi_b32 v8, v8, 0, v2
	v_cmp_eq_u64_e64 s[40:41], v[8:9], v[40:41]
	v_lshrrev_b64 v[8:9], v14, v[2:3]
	v_mov_b32_e32 v10, v9
	v_mov_b32_e32 v9, v8
	s_and_saveexec_b64 s[50:51], s[40:41]
; %bb.1221:                             ;   in Loop: Header=BB2_805 Depth=4
	v_bfe_u32 v2, v8, 20, 1
	v_add_co_u32_e64 v2, s[40:41], v8, v2
	v_add_co_u32_e64 v9, s[40:41], -1, v2
; %bb.1222:                             ;   in Loop: Header=BB2_805 Depth=4
	s_or_b64 exec, exec, s[50:51]
	v_add_u32_e32 v2, 0xffffff81, v13
	v_cndmask_b32_e64 v2, v2, v0, s[28:29]
	v_lshrrev_b32_e32 v10, 23, v8
	v_add3_u32 v14, v14, v2, v10
	v_add_u32_e32 v13, 6, v14
	v_and_b32_e32 v2, 0xfffff, v9
	v_add_u32_e32 v2, v2, v8
	v_cmp_ne_u32_e64 s[28:29], 0, v13
                                        ; implicit-def: $vgpr8_vgpr9
                                        ; implicit-def: $vgpr10
	s_and_saveexec_b64 s[40:41], s[28:29]
	s_xor_b64 s[40:41], exec, s[40:41]
; %bb.1223:                             ;   in Loop: Header=BB2_805 Depth=4
	v_cmp_lt_u64_e64 s[28:29], s[88:89], v[2:3]
	v_add_u32_e32 v8, 7, v14
	v_cndmask_b32_e64 v10, v13, v8, s[28:29]
	v_cndmask_b32_e64 v8, 0, 1, s[28:29]
	v_lshrrev_b64 v[8:9], v8, v[2:3]
; %bb.1224:                             ;   in Loop: Header=BB2_805 Depth=4
	s_andn2_saveexec_b64 s[28:29], s[40:41]
; %bb.1225:                             ;   in Loop: Header=BB2_805 Depth=4
	v_mov_b32_e32 v9, v3
	v_bfe_u32 v10, v2, 23, 1
	v_mov_b32_e32 v8, v2
; %bb.1226:                             ;   in Loop: Header=BB2_805 Depth=4
	s_or_b64 exec, exec, s[28:29]
	v_lshrrev_b64 v[8:9], 20, v[8:9]
	v_cmp_gt_i32_e64 s[28:29], 16, v10
	v_cndmask_b32_e64 v9, 0, v9, s[28:29]
	v_cndmask_b32_e64 v8, 7, v8, s[28:29]
	v_min_i32_e32 v2, 15, v10
	v_cmp_eq_u64_e64 s[40:41], 0, v[8:9]
	v_lshlrev_b32_e32 v2, 3, v2
	v_cmp_eq_u32_e64 s[28:29], 0, v10
	v_and_b32_e32 v2, 0xf8, v2
	v_and_or_b32 v2, v8, 7, v2
	s_and_b64 s[28:29], s[28:29], s[40:41]
	v_cndmask_b32_e64 v2, v2, 0, s[28:29]
	v_or_b32_e32 v2, v2, v11
.LBB2_1227:                             ;   in Loop: Header=BB2_805 Depth=4
	s_or_b64 exec, exec, s[48:49]
                                        ; implicit-def: $vgpr11
.LBB2_1228:                             ;   in Loop: Header=BB2_805 Depth=4
	s_andn2_saveexec_b64 s[28:29], s[38:39]
; %bb.1229:                             ;   in Loop: Header=BB2_805 Depth=4
	v_or_b32_e32 v2, 0x7e, v11
; %bb.1230:                             ;   in Loop: Header=BB2_805 Depth=4
	s_or_b64 exec, exec, s[28:29]
                                        ; implicit-def: $vgpr8
.LBB2_1231:                             ;   in Loop: Header=BB2_805 Depth=4
	s_andn2_saveexec_b64 s[28:29], s[36:37]
	s_cbranch_execz .LBB2_804
; %bb.1232:                             ;   in Loop: Header=BB2_805 Depth=4
	v_or_b32_sdwa v2, v8, s71 dst_sel:DWORD dst_unused:UNUSED_PAD src0_sel:BYTE_3 src1_sel:DWORD
	s_branch .LBB2_804
.LBB2_1233:                             ;   in Loop: Header=BB2_805 Depth=4
	s_or_saveexec_b64 s[40:41], s[40:41]
	v_bfrev_b32_e32 v7, 1
	s_xor_b64 exec, exec, s[40:41]
	s_cbranch_execz .LBB2_815
.LBB2_1234:                             ;   in Loop: Header=BB2_805 Depth=4
	v_cmp_ne_u16_sdwa s[44:45], v8, v3 src0_sel:BYTE_0 src1_sel:DWORD
	s_andn2_b64 s[28:29], s[28:29], exec
	s_and_b64 s[44:45], s[44:45], exec
	v_mov_b32_e32 v7, 0
	s_or_b64 s[28:29], s[28:29], s[44:45]
	s_or_b64 exec, exec, s[40:41]
	s_and_saveexec_b64 s[40:41], s[28:29]
	s_cbranch_execnz .LBB2_816
	s_branch .LBB2_817
.LBB2_1235:                             ;   in Loop: Header=BB2_805 Depth=4
	s_or_saveexec_b64 s[36:37], s[36:37]
	v_bfrev_b32_e32 v18, 1
	s_xor_b64 exec, exec, s[36:37]
	s_cbranch_execz .LBB2_843
.LBB2_1236:                             ;   in Loop: Header=BB2_805 Depth=4
	v_cmp_ne_u16_e64 s[28:29], 0, v2
	s_andn2_b64 s[40:41], s[40:41], exec
	s_and_b64 s[28:29], s[28:29], exec
	v_mov_b32_e32 v18, 0
	s_or_b64 s[40:41], s[40:41], s[28:29]
	s_or_b64 exec, exec, s[36:37]
	s_and_saveexec_b64 s[36:37], s[40:41]
	s_cbranch_execnz .LBB2_844
	s_branch .LBB2_845
.LBB2_1237:                             ;   in Loop: Header=BB2_805 Depth=4
	s_or_saveexec_b64 s[40:41], s[40:41]
	v_bfrev_b32_e32 v18, 1
	s_xor_b64 exec, exec, s[40:41]
	s_cbranch_execz .LBB2_871
.LBB2_1238:                             ;   in Loop: Header=BB2_805 Depth=4
	v_cmp_ne_u16_sdwa s[44:45], v2, v3 src0_sel:BYTE_0 src1_sel:DWORD
	s_andn2_b64 s[28:29], s[28:29], exec
	s_and_b64 s[44:45], s[44:45], exec
	v_mov_b32_e32 v18, 0
	s_or_b64 s[28:29], s[28:29], s[44:45]
	s_or_b64 exec, exec, s[40:41]
	s_and_saveexec_b64 s[40:41], s[28:29]
	s_cbranch_execnz .LBB2_872
	s_branch .LBB2_873
.LBB2_1239:                             ;   in Loop: Header=BB2_805 Depth=4
	s_or_saveexec_b64 s[36:37], s[36:37]
	v_bfrev_b32_e32 v18, 1
	s_xor_b64 exec, exec, s[36:37]
	s_cbranch_execz .LBB2_951
.LBB2_1240:                             ;   in Loop: Header=BB2_805 Depth=4
	v_cmp_ne_u16_e64 s[28:29], 0, v2
	s_andn2_b64 s[40:41], s[40:41], exec
	s_and_b64 s[28:29], s[28:29], exec
	v_mov_b32_e32 v18, 0
	s_or_b64 s[40:41], s[40:41], s[28:29]
	s_or_b64 exec, exec, s[36:37]
	s_and_saveexec_b64 s[36:37], s[40:41]
	s_cbranch_execnz .LBB2_952
	s_branch .LBB2_953
.LBB2_1241:                             ;   in Loop: Header=BB2_805 Depth=4
	s_or_saveexec_b64 s[40:41], s[40:41]
	v_bfrev_b32_e32 v18, 1
	s_xor_b64 exec, exec, s[40:41]
	s_cbranch_execz .LBB2_979
.LBB2_1242:                             ;   in Loop: Header=BB2_805 Depth=4
	v_cmp_ne_u16_sdwa s[44:45], v2, v3 src0_sel:BYTE_0 src1_sel:DWORD
	s_andn2_b64 s[28:29], s[28:29], exec
	s_and_b64 s[44:45], s[44:45], exec
	v_mov_b32_e32 v18, 0
	s_or_b64 s[28:29], s[28:29], s[44:45]
	s_or_b64 exec, exec, s[40:41]
	s_and_saveexec_b64 s[40:41], s[28:29]
	s_cbranch_execnz .LBB2_980
	s_branch .LBB2_981
.LBB2_1243:                             ;   in Loop: Header=BB2_805 Depth=4
	s_or_saveexec_b64 s[40:41], s[40:41]
	v_bfrev_b32_e32 v8, 1
	s_xor_b64 exec, exec, s[40:41]
	s_cbranch_execz .LBB2_1029
.LBB2_1244:                             ;   in Loop: Header=BB2_805 Depth=4
	v_cmp_ne_u16_sdwa s[44:45], v10, v3 src0_sel:BYTE_0 src1_sel:DWORD
	s_andn2_b64 s[28:29], s[28:29], exec
	s_and_b64 s[44:45], s[44:45], exec
	v_mov_b32_e32 v8, 0
	s_or_b64 s[28:29], s[28:29], s[44:45]
	s_or_b64 exec, exec, s[40:41]
	s_and_saveexec_b64 s[40:41], s[28:29]
	s_cbranch_execnz .LBB2_1030
	s_branch .LBB2_1031
.LBB2_1245:                             ;   in Loop: Header=BB2_805 Depth=4
	s_or_saveexec_b64 s[36:37], s[36:37]
	v_bfrev_b32_e32 v9, 1
	s_xor_b64 exec, exec, s[36:37]
	s_cbranch_execz .LBB2_1057
.LBB2_1246:                             ;   in Loop: Header=BB2_805 Depth=4
	v_cmp_ne_u16_e64 s[28:29], 0, v2
	s_andn2_b64 s[40:41], s[40:41], exec
	s_and_b64 s[28:29], s[28:29], exec
	v_mov_b32_e32 v9, 0
	s_or_b64 s[40:41], s[40:41], s[28:29]
	s_or_b64 exec, exec, s[36:37]
	s_and_saveexec_b64 s[36:37], s[40:41]
	s_cbranch_execnz .LBB2_1058
	s_branch .LBB2_1059
.LBB2_1247:                             ;   in Loop: Header=BB2_805 Depth=4
	s_or_saveexec_b64 s[40:41], s[40:41]
	v_bfrev_b32_e32 v9, 1
	s_xor_b64 exec, exec, s[40:41]
	s_cbranch_execz .LBB2_1085
.LBB2_1248:                             ;   in Loop: Header=BB2_805 Depth=4
	v_cmp_ne_u16_sdwa s[44:45], v2, v3 src0_sel:BYTE_0 src1_sel:DWORD
	s_andn2_b64 s[28:29], s[28:29], exec
	s_and_b64 s[44:45], s[44:45], exec
	v_mov_b32_e32 v9, 0
	s_or_b64 s[28:29], s[28:29], s[44:45]
	s_or_b64 exec, exec, s[40:41]
	s_and_saveexec_b64 s[40:41], s[28:29]
	s_cbranch_execnz .LBB2_1086
	s_branch .LBB2_1087
.LBB2_1249:                             ;   in Loop: Header=BB2_805 Depth=4
	s_or_saveexec_b64 s[36:37], s[36:37]
	v_bfrev_b32_e32 v8, 1
	s_xor_b64 exec, exec, s[36:37]
	s_cbranch_execz .LBB2_1165
.LBB2_1250:                             ;   in Loop: Header=BB2_805 Depth=4
	v_cmp_ne_u16_e64 s[28:29], 0, v2
	s_andn2_b64 s[40:41], s[40:41], exec
	s_and_b64 s[28:29], s[28:29], exec
	v_mov_b32_e32 v8, 0
	s_or_b64 s[40:41], s[40:41], s[28:29]
	s_or_b64 exec, exec, s[36:37]
	s_and_saveexec_b64 s[36:37], s[40:41]
	s_cbranch_execnz .LBB2_1166
	s_branch .LBB2_1167
.LBB2_1251:                             ;   in Loop: Header=BB2_805 Depth=4
	s_or_saveexec_b64 s[40:41], s[40:41]
	v_bfrev_b32_e32 v9, 1
	s_xor_b64 exec, exec, s[40:41]
	s_cbranch_execz .LBB2_1193
.LBB2_1252:                             ;   in Loop: Header=BB2_805 Depth=4
	v_cmp_ne_u16_sdwa s[44:45], v2, v3 src0_sel:BYTE_0 src1_sel:DWORD
	s_andn2_b64 s[28:29], s[28:29], exec
	s_and_b64 s[44:45], s[44:45], exec
	v_mov_b32_e32 v9, 0
	s_or_b64 s[28:29], s[28:29], s[44:45]
	s_or_b64 exec, exec, s[40:41]
	s_and_saveexec_b64 s[40:41], s[28:29]
	s_cbranch_execnz .LBB2_1194
	s_branch .LBB2_1195
.LBB2_1253:                             ;   in Loop: Header=BB2_274 Depth=3
	s_or_b64 exec, exec, s[34:35]
	buffer_load_dword v56, off, s[0:3], s33 offset:148 ; 4-byte Folded Reload
	buffer_load_dword v47, off, s[0:3], s33 offset:144 ; 4-byte Folded Reload
	;; [unrolled: 1-line block ×8, first 2 shown]
.LBB2_1254:                             ;   in Loop: Header=BB2_274 Depth=3
	s_or_b64 exec, exec, s[30:31]
	v_and_b32_e32 v4, 15, v4
	s_waitcnt vmcnt(0)
	v_cndmask_b32_e32 v21, v13, v4, vcc
	v_mov_b32_e32 v7, 0
	v_cmp_ne_u32_e64 s[28:29], 0, v21
	s_mov_b64 s[30:31], 0
                                        ; implicit-def: $vgpr30
                                        ; implicit-def: $vgpr2
	s_and_saveexec_b64 s[40:41], s[28:29]
	s_cbranch_execz .LBB2_1256
; %bb.1255:                             ;   in Loop: Header=BB2_274 Depth=3
	v_sub_u32_e32 v2, v13, v4
	v_cndmask_b32_e32 v2, 0, v2, vcc
	v_cmp_lt_i32_e32 vcc, 0, v26
	v_add3_u32 v7, v12, v10, v2
	v_cndmask_b32_e32 v2, 0, v17, vcc
	v_sub_u32_e32 v2, v2, v26
	v_lshl_add_u32 v30, v2, 6, v11
	v_ashrrev_i32_e32 v2, 31, v30
	v_lshrrev_b32_e32 v2, 26, v2
	v_add_u32_e32 v2, v30, v2
	v_ashrrev_i32_e32 v2, 6, v2
	s_mov_b64 s[30:31], exec
.LBB2_1256:                             ;   in Loop: Header=BB2_274 Depth=3
	s_or_b64 exec, exec, s[40:41]
	s_and_b64 s[30:31], s[30:31], exec
.LBB2_1257:                             ;   in Loop: Header=BB2_274 Depth=3
	s_or_b64 exec, exec, s[94:95]
	buffer_load_dword v24, off, s[0:3], s33 offset:112 ; 4-byte Folded Reload
	buffer_load_dword v25, off, s[0:3], s33 offset:116 ; 4-byte Folded Reload
	;; [unrolled: 1-line block ×4, first 2 shown]
	s_and_saveexec_b64 s[40:41], s[30:31]
	s_cbranch_execz .LBB2_1554
.LBB2_1258:                             ;   in Loop: Header=BB2_274 Depth=3
	v_ashrrev_i32_e32 v4, 31, v21
	v_lshrrev_b32_e32 v4, 23, v4
	v_add_u32_e32 v4, v21, v4
	s_waitcnt vmcnt(0)
	v_ashrrev_i32_e32 v26, 9, v4
	s_waitcnt vmcnt(0)
	v_sub_u32_e32 v4, v26, v2
	v_ashrrev_i32_e32 v6, 31, v30
	v_cmp_lt_i32_e32 vcc, 0, v4
	v_lshrrev_b32_e32 v6, 26, v6
	s_and_saveexec_b64 s[94:95], vcc
	s_cbranch_execz .LBB2_1518
; %bb.1259:                             ;   in Loop: Header=BB2_274 Depth=3
	v_add_u32_e32 v8, v30, v6
	v_and_b32_e32 v8, 0xffffffc0, v8
	s_trap 2
	ds_read_b64 v[10:11], v0
	v_sub_u32_e32 v8, v30, v8
	v_lshlrev_b32_e32 v2, 9, v2
	v_add3_u32 v2, v7, v8, v2
	v_ashrrev_i32_e32 v13, 31, v2
	v_add_co_u32_e32 v8, vcc, v2, v44
	v_addc_co_u32_e32 v9, vcc, v13, v45, vcc
	s_waitcnt lgkmcnt(0)
	v_add_co_u32_e32 v10, vcc, v10, v2
	v_addc_co_u32_e32 v11, vcc, v11, v13, vcc
	v_add_co_u32_e32 v12, vcc, 0x1c0, v42
	v_addc_co_u32_e32 v14, vcc, 0, v43, vcc
	;; [unrolled: 2-line block ×3, first 2 shown]
	s_mov_b64 s[30:31], 0
	s_branch .LBB2_1261
.LBB2_1260:                             ;   in Loop: Header=BB2_1261 Depth=4
	s_or_b64 exec, exec, s[28:29]
	v_add_co_u32_e32 v14, vcc, 0xfffffe40, v12
	v_addc_co_u32_e32 v15, vcc, -1, v13, vcc
	flat_store_byte v[14:15], v34 glc slc
	v_add_co_u32_e32 v14, vcc, 0xfffffe80, v12
	v_addc_co_u32_e32 v15, vcc, -1, v13, vcc
	flat_store_byte v[14:15], v55 glc slc
	;; [unrolled: 3-line block ×6, first 2 shown]
	v_add_co_u32_e32 v14, vcc, s68, v12
	v_addc_co_u32_e32 v15, vcc, -1, v13, vcc
	v_add_co_u32_e32 v8, vcc, v8, v39
	v_addc_co_u32_e32 v9, vcc, 0, v9, vcc
	v_add_co_u32_e32 v10, vcc, v10, v39
	v_addc_co_u32_e32 v11, vcc, 0, v11, vcc
	v_sub_u32_e32 v4, v4, v17
	v_cmp_gt_i32_e32 vcc, 1, v4
	flat_store_byte v[14:15], v16 glc slc
	flat_store_byte v[12:13], v2 glc slc
	s_or_b64 s[30:31], vcc, s[30:31]
	v_add_co_u32_e32 v12, vcc, v12, v39
	v_addc_co_u32_e32 v13, vcc, 0, v13, vcc
	s_andn2_b64 exec, exec, s[30:31]
	s_cbranch_execz .LBB2_1517
.LBB2_1261:                             ;   Parent Loop BB2_47 Depth=1
                                        ;     Parent Loop BB2_271 Depth=2
                                        ;       Parent Loop BB2_274 Depth=3
                                        ; =>      This Inner Loop Header: Depth=4
	flat_load_ubyte v19, v[8:9] glc slc
	flat_load_ubyte v56, v[8:9] offset:64 glc slc
	flat_load_ubyte v45, v[8:9] offset:128 glc slc
	;; [unrolled: 1-line block ×7, first 2 shown]
	flat_load_ubyte v14, v[10:11] glc slc
	flat_load_ubyte v55, v[10:11] offset:64 glc slc
	flat_load_ubyte v43, v[10:11] offset:128 glc slc
	;; [unrolled: 1-line block ×7, first 2 shown]
	v_mov_b32_e32 v15, 0
	v_mov_b32_e32 v18, 0
	s_waitcnt vmcnt(0) lgkmcnt(0)
	v_cmp_ne_u16_e32 vcc, 0, v19
	s_and_saveexec_b64 s[28:29], vcc
	s_cbranch_execz .LBB2_1267
; %bb.1262:                             ;   in Loop: Header=BB2_1261 Depth=4
	v_cmp_ne_u16_e32 vcc, s70, v19
	v_bfrev_b32_e32 v18, 1
	s_and_saveexec_b64 s[34:35], vcc
	s_cbranch_execz .LBB2_1266
; %bb.1263:                             ;   in Loop: Header=BB2_1261 Depth=4
	v_and_b32_e32 v2, 0xffff, v19
	v_and_b32_e32 v34, 0x7f, v2
	v_cmp_ne_u32_e32 vcc, s71, v34
	v_mov_b32_e32 v18, 0x7f800001
	s_and_saveexec_b64 s[36:37], vcc
	s_cbranch_execz .LBB2_1265
; %bb.1264:                             ;   in Loop: Header=BB2_1261 Depth=4
	v_and_b32_e32 v18, 7, v2
	v_lshrrev_b32_e32 v36, 3, v34
	v_cmp_gt_u32_e32 vcc, 8, v34
	v_ffbh_u32_e32 v34, v18
	v_min_u32_e32 v34, 32, v34
	v_subrev_u32_e32 v40, 28, v34
	v_lshlrev_b64 v[40:41], v40, v[2:3]
	v_sub_u32_e32 v2, 29, v34
	v_and_b32_e32 v34, 7, v40
	v_cndmask_b32_e32 v2, v36, v2, vcc
	v_cndmask_b32_e32 v18, v18, v34, vcc
	v_lshlrev_b32_e32 v19, 24, v19
	v_lshlrev_b32_e32 v18, 20, v18
	v_and_b32_e32 v19, 0x80000000, v19
	v_lshl_add_u32 v2, v2, 23, v49
	v_or3_b32 v18, v19, v2, v18
.LBB2_1265:                             ;   in Loop: Header=BB2_1261 Depth=4
	s_or_b64 exec, exec, s[36:37]
.LBB2_1266:                             ;   in Loop: Header=BB2_1261 Depth=4
	s_or_b64 exec, exec, s[34:35]
.LBB2_1267:                             ;   in Loop: Header=BB2_1261 Depth=4
	s_or_b64 exec, exec, s[28:29]
	v_and_b32_e32 v2, 0xff, v14
	v_cmp_ne_u16_e32 vcc, 0, v2
	s_and_saveexec_b64 s[28:29], vcc
	s_cbranch_execz .LBB2_1273
; %bb.1268:                             ;   in Loop: Header=BB2_1261 Depth=4
	v_cmp_ne_u16_e32 vcc, s70, v2
	v_bfrev_b32_e32 v15, 1
	s_and_saveexec_b64 s[34:35], vcc
	s_cbranch_execz .LBB2_1272
; %bb.1269:                             ;   in Loop: Header=BB2_1261 Depth=4
	v_and_b32_e32 v19, 0x7f, v14
	v_cmp_ne_u32_e32 vcc, s71, v19
	v_mov_b32_e32 v15, 0x7f800001
	s_and_saveexec_b64 s[36:37], vcc
	s_cbranch_execz .LBB2_1271
; %bb.1270:                             ;   in Loop: Header=BB2_1261 Depth=4
	v_and_b32_e32 v15, 7, v2
	v_lshrrev_b32_e32 v34, 3, v19
	v_cmp_gt_u32_e32 vcc, 8, v19
	v_ffbh_u32_e32 v19, v15
	v_min_u32_e32 v19, 32, v19
	v_subrev_u32_e32 v36, 28, v19
	v_lshlrev_b64 v[40:41], v36, v[2:3]
	v_sub_u32_e32 v2, 29, v19
	v_and_b32_e32 v19, 7, v40
	v_cndmask_b32_e32 v2, v34, v2, vcc
	v_cndmask_b32_e32 v15, v15, v19, vcc
	v_lshlrev_b32_e32 v14, 24, v14
	v_lshlrev_b32_e32 v15, 20, v15
	v_and_b32_e32 v14, 0x80000000, v14
	v_lshl_add_u32 v2, v2, 23, v49
	v_or3_b32 v15, v14, v2, v15
.LBB2_1271:                             ;   in Loop: Header=BB2_1261 Depth=4
	s_or_b64 exec, exec, s[36:37]
.LBB2_1272:                             ;   in Loop: Header=BB2_1261 Depth=4
	s_or_b64 exec, exec, s[34:35]
.LBB2_1273:                             ;   in Loop: Header=BB2_1261 Depth=4
	s_or_b64 exec, exec, s[28:29]
	v_mul_f32_e32 v14, v18, v15
	v_and_b32_e32 v2, 0x7f800000, v14
	v_cmp_ne_u64_e32 vcc, s[62:63], v[2:3]
                                        ; implicit-def: $vgpr34
	s_and_saveexec_b64 s[28:29], vcc
	s_xor_b64 s[34:35], exec, s[28:29]
	s_cbranch_execz .LBB2_1291
; %bb.1274:                             ;   in Loop: Header=BB2_1261 Depth=4
	v_and_b32_e32 v2, 0x7fffffff, v14
	v_cmp_gt_u64_e32 vcc, s[72:73], v[2:3]
	v_and_b32_sdwa v57, v14, s70 dst_sel:DWORD dst_unused:UNUSED_PAD src0_sel:BYTE_3 src1_sel:DWORD
                                        ; implicit-def: $vgpr34
	s_and_saveexec_b64 s[28:29], vcc
	s_xor_b64 s[36:37], exec, s[28:29]
	s_cbranch_execz .LBB2_1288
; %bb.1275:                             ;   in Loop: Header=BB2_1261 Depth=4
	v_cmp_ne_u32_e32 vcc, 0, v14
	v_mov_b32_e32 v34, 0
	s_and_saveexec_b64 s[38:39], vcc
	s_cbranch_execz .LBB2_1287
; %bb.1276:                             ;   in Loop: Header=BB2_1261 Depth=4
	v_bfe_u32 v34, v14, 23, 8
	v_and_b32_e32 v2, 0x7fffff, v14
	v_cmp_gt_u32_e64 s[28:29], s80, v34
	v_sub_u32_e32 v14, 0x79, v34
	v_cmp_eq_u32_e32 vcc, 0, v34
	v_cndmask_b32_e64 v14, 0, v14, s[28:29]
	v_cndmask_b32_e32 v36, v14, v1, vcc
	v_or_b32_e32 v15, 0x800000, v2
	v_add_u32_e32 v14, 20, v36
	v_cndmask_b32_e32 v2, v15, v2, vcc
	v_lshlrev_b64 v[14:15], v14, -1
	v_add_u32_e32 v18, 19, v36
	v_lshlrev_b64 v[18:19], v18, 1
	v_bfi_b32 v15, v15, 0, 0
	v_bfi_b32 v14, v14, 0, v2
	v_cmp_eq_u64_e64 s[28:29], v[14:15], v[18:19]
	v_lshrrev_b64 v[14:15], v36, v[2:3]
	v_mov_b32_e32 v19, v15
	v_mov_b32_e32 v18, v14
	s_and_saveexec_b64 s[48:49], s[28:29]
; %bb.1277:                             ;   in Loop: Header=BB2_1261 Depth=4
	v_bfe_u32 v2, v14, 20, 1
	v_add_co_u32_e64 v2, s[28:29], v14, v2
	v_add_co_u32_e64 v18, s[28:29], -1, v2
; %bb.1278:                             ;   in Loop: Header=BB2_1261 Depth=4
	s_or_b64 exec, exec, s[48:49]
	v_add_u32_e32 v2, 0xffffff81, v34
	v_cndmask_b32_e32 v2, v2, v0, vcc
	v_lshrrev_b32_e32 v15, 23, v14
	v_add3_u32 v34, v36, v2, v15
	v_add_u32_e32 v19, 6, v34
	v_and_b32_e32 v2, 0xfffff, v18
	v_add_u32_e32 v2, v2, v14
	v_cmp_ne_u32_e32 vcc, 0, v19
                                        ; implicit-def: $vgpr14_vgpr15
                                        ; implicit-def: $vgpr18
	s_and_saveexec_b64 s[28:29], vcc
	s_xor_b64 s[28:29], exec, s[28:29]
; %bb.1279:                             ;   in Loop: Header=BB2_1261 Depth=4
	v_cmp_lt_u64_e32 vcc, s[88:89], v[2:3]
	v_add_u32_e32 v14, 7, v34
	v_cndmask_b32_e32 v18, v19, v14, vcc
	v_cndmask_b32_e64 v14, 0, 1, vcc
	v_lshrrev_b64 v[14:15], v14, v[2:3]
; %bb.1280:                             ;   in Loop: Header=BB2_1261 Depth=4
	s_andn2_saveexec_b64 s[28:29], s[28:29]
; %bb.1281:                             ;   in Loop: Header=BB2_1261 Depth=4
	v_mov_b32_e32 v15, v3
	v_bfe_u32 v18, v2, 23, 1
	v_mov_b32_e32 v14, v2
; %bb.1282:                             ;   in Loop: Header=BB2_1261 Depth=4
	s_or_b64 exec, exec, s[28:29]
	v_lshrrev_b64 v[14:15], 20, v[14:15]
	v_cmp_gt_i32_e32 vcc, 16, v18
	v_cndmask_b32_e32 v15, 0, v15, vcc
	v_cndmask_b32_e32 v14, 7, v14, vcc
	v_cmp_ne_u64_e32 vcc, 0, v[14:15]
	v_cmp_ne_u32_e64 s[28:29], 0, v18
	s_or_b64 s[28:29], s[28:29], vcc
                                        ; implicit-def: $vgpr34
	s_and_saveexec_b64 s[44:45], s[28:29]
	s_xor_b64 s[28:29], exec, s[44:45]
; %bb.1283:                             ;   in Loop: Header=BB2_1261 Depth=4
	v_min_i32_e32 v2, 15, v18
	v_lshl_or_b32 v2, v2, 3, v57
	v_and_or_b32 v34, v14, 7, v2
                                        ; implicit-def: $vgpr57
; %bb.1284:                             ;   in Loop: Header=BB2_1261 Depth=4
	s_andn2_saveexec_b64 s[28:29], s[28:29]
; %bb.1285:                             ;   in Loop: Header=BB2_1261 Depth=4
	v_mov_b32_e32 v34, v57
; %bb.1286:                             ;   in Loop: Header=BB2_1261 Depth=4
	s_or_b64 exec, exec, s[28:29]
.LBB2_1287:                             ;   in Loop: Header=BB2_1261 Depth=4
	s_or_b64 exec, exec, s[38:39]
                                        ; implicit-def: $vgpr57
.LBB2_1288:                             ;   in Loop: Header=BB2_1261 Depth=4
	s_andn2_saveexec_b64 s[28:29], s[36:37]
; %bb.1289:                             ;   in Loop: Header=BB2_1261 Depth=4
	v_or_b32_e32 v34, 0x7e, v57
; %bb.1290:                             ;   in Loop: Header=BB2_1261 Depth=4
	s_or_b64 exec, exec, s[28:29]
                                        ; implicit-def: $vgpr14
.LBB2_1291:                             ;   in Loop: Header=BB2_1261 Depth=4
	s_andn2_saveexec_b64 s[28:29], s[34:35]
; %bb.1292:                             ;   in Loop: Header=BB2_1261 Depth=4
	v_or_b32_sdwa v34, v14, s71 dst_sel:DWORD dst_unused:UNUSED_PAD src0_sel:BYTE_3 src1_sel:DWORD
; %bb.1293:                             ;   in Loop: Header=BB2_1261 Depth=4
	s_or_b64 exec, exec, s[28:29]
	v_and_b32_e32 v2, 0xff, v56
	v_cmp_ne_u16_e32 vcc, 0, v2
	v_mov_b32_e32 v14, 0
	v_mov_b32_e32 v15, 0
	s_and_saveexec_b64 s[28:29], vcc
	s_cbranch_execz .LBB2_1299
; %bb.1294:                             ;   in Loop: Header=BB2_1261 Depth=4
	v_cmp_ne_u16_e32 vcc, s70, v2
	v_bfrev_b32_e32 v15, 1
	s_and_saveexec_b64 s[34:35], vcc
	s_cbranch_execz .LBB2_1298
; %bb.1295:                             ;   in Loop: Header=BB2_1261 Depth=4
	v_and_b32_e32 v18, 0x7f, v56
	v_cmp_ne_u32_e32 vcc, s71, v18
	v_mov_b32_e32 v15, 0x7f800001
	s_and_saveexec_b64 s[36:37], vcc
	s_cbranch_execz .LBB2_1297
; %bb.1296:                             ;   in Loop: Header=BB2_1261 Depth=4
	v_and_b32_e32 v15, 7, v2
	v_lshrrev_b32_e32 v36, 3, v18
	v_cmp_gt_u32_e32 vcc, 8, v18
	v_ffbh_u32_e32 v18, v15
	v_min_u32_e32 v40, 32, v18
	v_subrev_u32_e32 v18, 28, v40
	v_lshlrev_b64 v[18:19], v18, v[2:3]
	v_sub_u32_e32 v2, 29, v40
	v_and_b32_e32 v18, 7, v18
	v_cndmask_b32_e32 v2, v36, v2, vcc
	v_cndmask_b32_e32 v15, v15, v18, vcc
	v_lshlrev_b32_e32 v18, 24, v56
	v_lshlrev_b32_e32 v15, 20, v15
	v_and_b32_e32 v18, 0x80000000, v18
	v_lshl_add_u32 v2, v2, 23, v49
	v_or3_b32 v15, v18, v2, v15
.LBB2_1297:                             ;   in Loop: Header=BB2_1261 Depth=4
	s_or_b64 exec, exec, s[36:37]
.LBB2_1298:                             ;   in Loop: Header=BB2_1261 Depth=4
	s_or_b64 exec, exec, s[34:35]
.LBB2_1299:                             ;   in Loop: Header=BB2_1261 Depth=4
	s_or_b64 exec, exec, s[28:29]
	v_and_b32_e32 v2, 0xff, v55
	v_cmp_ne_u16_e32 vcc, 0, v2
	s_and_saveexec_b64 s[28:29], vcc
	s_cbranch_execz .LBB2_1305
; %bb.1300:                             ;   in Loop: Header=BB2_1261 Depth=4
	v_cmp_ne_u16_e32 vcc, s70, v2
	v_bfrev_b32_e32 v14, 1
	s_and_saveexec_b64 s[34:35], vcc
	s_cbranch_execz .LBB2_1304
; %bb.1301:                             ;   in Loop: Header=BB2_1261 Depth=4
	v_and_b32_e32 v18, 0x7f, v55
	v_cmp_ne_u32_e32 vcc, s71, v18
	v_mov_b32_e32 v14, 0x7f800001
	s_and_saveexec_b64 s[36:37], vcc
	s_cbranch_execz .LBB2_1303
; %bb.1302:                             ;   in Loop: Header=BB2_1261 Depth=4
	v_and_b32_e32 v14, 7, v2
	v_lshrrev_b32_e32 v36, 3, v18
	v_cmp_gt_u32_e32 vcc, 8, v18
	v_ffbh_u32_e32 v18, v14
	v_min_u32_e32 v40, 32, v18
	v_subrev_u32_e32 v18, 28, v40
	v_lshlrev_b64 v[18:19], v18, v[2:3]
	v_sub_u32_e32 v2, 29, v40
	v_and_b32_e32 v18, 7, v18
	v_cndmask_b32_e32 v2, v36, v2, vcc
	v_cndmask_b32_e32 v14, v14, v18, vcc
	v_lshlrev_b32_e32 v18, 24, v55
	v_lshlrev_b32_e32 v14, 20, v14
	v_and_b32_e32 v18, 0x80000000, v18
	v_lshl_add_u32 v2, v2, 23, v49
	v_or3_b32 v14, v18, v2, v14
.LBB2_1303:                             ;   in Loop: Header=BB2_1261 Depth=4
	s_or_b64 exec, exec, s[36:37]
.LBB2_1304:                             ;   in Loop: Header=BB2_1261 Depth=4
	s_or_b64 exec, exec, s[34:35]
.LBB2_1305:                             ;   in Loop: Header=BB2_1261 Depth=4
	s_or_b64 exec, exec, s[28:29]
	v_mul_f32_e32 v14, v15, v14
	v_and_b32_e32 v2, 0x7f800000, v14
	v_cmp_ne_u64_e32 vcc, s[62:63], v[2:3]
                                        ; implicit-def: $vgpr55
	s_and_saveexec_b64 s[28:29], vcc
	s_xor_b64 s[34:35], exec, s[28:29]
	s_cbranch_execz .LBB2_1323
; %bb.1306:                             ;   in Loop: Header=BB2_1261 Depth=4
	v_and_b32_e32 v2, 0x7fffffff, v14
	v_cmp_gt_u64_e32 vcc, s[72:73], v[2:3]
	v_and_b32_sdwa v56, v14, s70 dst_sel:DWORD dst_unused:UNUSED_PAD src0_sel:BYTE_3 src1_sel:DWORD
                                        ; implicit-def: $vgpr55
	s_and_saveexec_b64 s[28:29], vcc
	s_xor_b64 s[36:37], exec, s[28:29]
	s_cbranch_execz .LBB2_1320
; %bb.1307:                             ;   in Loop: Header=BB2_1261 Depth=4
	v_cmp_ne_u32_e32 vcc, 0, v14
	v_mov_b32_e32 v55, 0
	s_and_saveexec_b64 s[38:39], vcc
	s_cbranch_execz .LBB2_1319
; %bb.1308:                             ;   in Loop: Header=BB2_1261 Depth=4
	v_bfe_u32 v36, v14, 23, 8
	v_and_b32_e32 v2, 0x7fffff, v14
	v_cmp_gt_u32_e64 s[28:29], s80, v36
	v_sub_u32_e32 v14, 0x79, v36
	v_cmp_eq_u32_e32 vcc, 0, v36
	v_cndmask_b32_e64 v14, 0, v14, s[28:29]
	v_cndmask_b32_e32 v55, v14, v1, vcc
	v_or_b32_e32 v15, 0x800000, v2
	v_add_u32_e32 v14, 20, v55
	v_cndmask_b32_e32 v2, v15, v2, vcc
	v_lshlrev_b64 v[14:15], v14, -1
	v_add_u32_e32 v18, 19, v55
	v_lshlrev_b64 v[18:19], v18, 1
	v_bfi_b32 v15, v15, 0, 0
	v_bfi_b32 v14, v14, 0, v2
	v_cmp_eq_u64_e64 s[28:29], v[14:15], v[18:19]
	v_lshrrev_b64 v[14:15], v55, v[2:3]
	v_mov_b32_e32 v19, v15
	v_mov_b32_e32 v18, v14
	s_and_saveexec_b64 s[48:49], s[28:29]
; %bb.1309:                             ;   in Loop: Header=BB2_1261 Depth=4
	v_bfe_u32 v2, v14, 20, 1
	v_add_co_u32_e64 v2, s[28:29], v14, v2
	v_add_co_u32_e64 v18, s[28:29], -1, v2
; %bb.1310:                             ;   in Loop: Header=BB2_1261 Depth=4
	s_or_b64 exec, exec, s[48:49]
	v_add_u32_e32 v2, 0xffffff81, v36
	v_cndmask_b32_e32 v2, v2, v0, vcc
	v_lshrrev_b32_e32 v15, 23, v14
	v_add3_u32 v36, v55, v2, v15
	v_add_u32_e32 v19, 6, v36
	v_and_b32_e32 v2, 0xfffff, v18
	v_add_u32_e32 v2, v2, v14
	v_cmp_ne_u32_e32 vcc, 0, v19
                                        ; implicit-def: $vgpr14_vgpr15
                                        ; implicit-def: $vgpr18
	s_and_saveexec_b64 s[28:29], vcc
	s_xor_b64 s[28:29], exec, s[28:29]
; %bb.1311:                             ;   in Loop: Header=BB2_1261 Depth=4
	v_cmp_lt_u64_e32 vcc, s[88:89], v[2:3]
	v_add_u32_e32 v14, 7, v36
	v_cndmask_b32_e32 v18, v19, v14, vcc
	v_cndmask_b32_e64 v14, 0, 1, vcc
	v_lshrrev_b64 v[14:15], v14, v[2:3]
; %bb.1312:                             ;   in Loop: Header=BB2_1261 Depth=4
	s_andn2_saveexec_b64 s[28:29], s[28:29]
; %bb.1313:                             ;   in Loop: Header=BB2_1261 Depth=4
	v_mov_b32_e32 v15, v3
	v_bfe_u32 v18, v2, 23, 1
	v_mov_b32_e32 v14, v2
; %bb.1314:                             ;   in Loop: Header=BB2_1261 Depth=4
	s_or_b64 exec, exec, s[28:29]
	v_lshrrev_b64 v[14:15], 20, v[14:15]
	v_cmp_gt_i32_e32 vcc, 16, v18
	v_cndmask_b32_e32 v15, 0, v15, vcc
	v_cndmask_b32_e32 v14, 7, v14, vcc
	v_cmp_ne_u64_e32 vcc, 0, v[14:15]
	v_cmp_ne_u32_e64 s[28:29], 0, v18
	s_or_b64 s[28:29], s[28:29], vcc
                                        ; implicit-def: $vgpr55
	s_and_saveexec_b64 s[44:45], s[28:29]
	s_xor_b64 s[28:29], exec, s[44:45]
; %bb.1315:                             ;   in Loop: Header=BB2_1261 Depth=4
	v_min_i32_e32 v2, 15, v18
	v_lshl_or_b32 v2, v2, 3, v56
	v_and_or_b32 v55, v14, 7, v2
                                        ; implicit-def: $vgpr56
; %bb.1316:                             ;   in Loop: Header=BB2_1261 Depth=4
	s_andn2_saveexec_b64 s[28:29], s[28:29]
; %bb.1317:                             ;   in Loop: Header=BB2_1261 Depth=4
	v_mov_b32_e32 v55, v56
; %bb.1318:                             ;   in Loop: Header=BB2_1261 Depth=4
	s_or_b64 exec, exec, s[28:29]
.LBB2_1319:                             ;   in Loop: Header=BB2_1261 Depth=4
	s_or_b64 exec, exec, s[38:39]
                                        ; implicit-def: $vgpr56
.LBB2_1320:                             ;   in Loop: Header=BB2_1261 Depth=4
	s_andn2_saveexec_b64 s[28:29], s[36:37]
; %bb.1321:                             ;   in Loop: Header=BB2_1261 Depth=4
	v_or_b32_e32 v55, 0x7e, v56
; %bb.1322:                             ;   in Loop: Header=BB2_1261 Depth=4
	s_or_b64 exec, exec, s[28:29]
                                        ; implicit-def: $vgpr14
.LBB2_1323:                             ;   in Loop: Header=BB2_1261 Depth=4
	s_andn2_saveexec_b64 s[28:29], s[34:35]
; %bb.1324:                             ;   in Loop: Header=BB2_1261 Depth=4
	v_or_b32_sdwa v55, v14, s71 dst_sel:DWORD dst_unused:UNUSED_PAD src0_sel:BYTE_3 src1_sel:DWORD
; %bb.1325:                             ;   in Loop: Header=BB2_1261 Depth=4
	s_or_b64 exec, exec, s[28:29]
	v_and_b32_e32 v2, 0xff, v45
	v_cmp_ne_u16_e32 vcc, 0, v2
	v_mov_b32_e32 v14, 0
	v_mov_b32_e32 v15, 0
	s_and_saveexec_b64 s[28:29], vcc
	s_cbranch_execz .LBB2_1331
; %bb.1326:                             ;   in Loop: Header=BB2_1261 Depth=4
	v_cmp_ne_u16_e32 vcc, s70, v2
	v_bfrev_b32_e32 v15, 1
	s_and_saveexec_b64 s[34:35], vcc
	s_cbranch_execz .LBB2_1330
; %bb.1327:                             ;   in Loop: Header=BB2_1261 Depth=4
	v_and_b32_e32 v18, 0x7f, v45
	v_cmp_ne_u32_e32 vcc, s71, v18
	v_mov_b32_e32 v15, 0x7f800001
	s_and_saveexec_b64 s[36:37], vcc
	s_cbranch_execz .LBB2_1329
; %bb.1328:                             ;   in Loop: Header=BB2_1261 Depth=4
	v_and_b32_e32 v15, 7, v2
	v_lshrrev_b32_e32 v36, 3, v18
	v_cmp_gt_u32_e32 vcc, 8, v18
	v_ffbh_u32_e32 v18, v15
	v_min_u32_e32 v40, 32, v18
	v_subrev_u32_e32 v18, 28, v40
	v_lshlrev_b64 v[18:19], v18, v[2:3]
	v_sub_u32_e32 v2, 29, v40
	v_and_b32_e32 v18, 7, v18
	v_cndmask_b32_e32 v2, v36, v2, vcc
	v_cndmask_b32_e32 v15, v15, v18, vcc
	v_lshlrev_b32_e32 v18, 24, v45
	v_lshlrev_b32_e32 v15, 20, v15
	v_and_b32_e32 v18, 0x80000000, v18
	v_lshl_add_u32 v2, v2, 23, v49
	v_or3_b32 v15, v18, v2, v15
.LBB2_1329:                             ;   in Loop: Header=BB2_1261 Depth=4
	s_or_b64 exec, exec, s[36:37]
.LBB2_1330:                             ;   in Loop: Header=BB2_1261 Depth=4
	s_or_b64 exec, exec, s[34:35]
.LBB2_1331:                             ;   in Loop: Header=BB2_1261 Depth=4
	s_or_b64 exec, exec, s[28:29]
	v_and_b32_e32 v2, 0xff, v43
	v_cmp_ne_u16_e32 vcc, 0, v2
	s_and_saveexec_b64 s[28:29], vcc
	s_cbranch_execz .LBB2_1337
; %bb.1332:                             ;   in Loop: Header=BB2_1261 Depth=4
	v_cmp_ne_u16_e32 vcc, s70, v2
	v_bfrev_b32_e32 v14, 1
	s_and_saveexec_b64 s[34:35], vcc
	s_cbranch_execz .LBB2_1336
; %bb.1333:                             ;   in Loop: Header=BB2_1261 Depth=4
	v_and_b32_e32 v18, 0x7f, v43
	v_cmp_ne_u32_e32 vcc, s71, v18
	v_mov_b32_e32 v14, 0x7f800001
	s_and_saveexec_b64 s[36:37], vcc
	s_cbranch_execz .LBB2_1335
; %bb.1334:                             ;   in Loop: Header=BB2_1261 Depth=4
	v_and_b32_e32 v14, 7, v2
	v_lshrrev_b32_e32 v36, 3, v18
	v_cmp_gt_u32_e32 vcc, 8, v18
	v_ffbh_u32_e32 v18, v14
	v_min_u32_e32 v40, 32, v18
	v_subrev_u32_e32 v18, 28, v40
	v_lshlrev_b64 v[18:19], v18, v[2:3]
	v_sub_u32_e32 v2, 29, v40
	v_and_b32_e32 v18, 7, v18
	v_cndmask_b32_e32 v2, v36, v2, vcc
	v_cndmask_b32_e32 v14, v14, v18, vcc
	v_lshlrev_b32_e32 v18, 24, v43
	v_lshlrev_b32_e32 v14, 20, v14
	v_and_b32_e32 v18, 0x80000000, v18
	v_lshl_add_u32 v2, v2, 23, v49
	v_or3_b32 v14, v18, v2, v14
.LBB2_1335:                             ;   in Loop: Header=BB2_1261 Depth=4
	s_or_b64 exec, exec, s[36:37]
.LBB2_1336:                             ;   in Loop: Header=BB2_1261 Depth=4
	s_or_b64 exec, exec, s[34:35]
.LBB2_1337:                             ;   in Loop: Header=BB2_1261 Depth=4
	s_or_b64 exec, exec, s[28:29]
	v_mul_f32_e32 v14, v15, v14
	v_and_b32_e32 v2, 0x7f800000, v14
	v_cmp_ne_u64_e32 vcc, s[62:63], v[2:3]
                                        ; implicit-def: $vgpr43
	s_and_saveexec_b64 s[28:29], vcc
	s_xor_b64 s[34:35], exec, s[28:29]
	s_cbranch_execz .LBB2_1355
; %bb.1338:                             ;   in Loop: Header=BB2_1261 Depth=4
	v_and_b32_e32 v2, 0x7fffffff, v14
	v_cmp_gt_u64_e32 vcc, s[72:73], v[2:3]
	v_and_b32_sdwa v45, v14, s70 dst_sel:DWORD dst_unused:UNUSED_PAD src0_sel:BYTE_3 src1_sel:DWORD
                                        ; implicit-def: $vgpr43
	s_and_saveexec_b64 s[28:29], vcc
	s_xor_b64 s[36:37], exec, s[28:29]
	s_cbranch_execz .LBB2_1352
; %bb.1339:                             ;   in Loop: Header=BB2_1261 Depth=4
	v_cmp_ne_u32_e32 vcc, 0, v14
	v_mov_b32_e32 v43, 0
	s_and_saveexec_b64 s[38:39], vcc
	s_cbranch_execz .LBB2_1351
; %bb.1340:                             ;   in Loop: Header=BB2_1261 Depth=4
	v_bfe_u32 v36, v14, 23, 8
	v_and_b32_e32 v2, 0x7fffff, v14
	v_cmp_gt_u32_e64 s[28:29], s80, v36
	v_sub_u32_e32 v14, 0x79, v36
	v_cmp_eq_u32_e32 vcc, 0, v36
	v_cndmask_b32_e64 v14, 0, v14, s[28:29]
	v_cndmask_b32_e32 v40, v14, v1, vcc
	v_or_b32_e32 v15, 0x800000, v2
	v_add_u32_e32 v14, 20, v40
	v_cndmask_b32_e32 v2, v15, v2, vcc
	v_lshlrev_b64 v[14:15], v14, -1
	v_add_u32_e32 v18, 19, v40
	v_lshlrev_b64 v[18:19], v18, 1
	v_bfi_b32 v15, v15, 0, 0
	v_bfi_b32 v14, v14, 0, v2
	v_cmp_eq_u64_e64 s[28:29], v[14:15], v[18:19]
	v_lshrrev_b64 v[14:15], v40, v[2:3]
	v_mov_b32_e32 v19, v15
	v_mov_b32_e32 v18, v14
	s_and_saveexec_b64 s[48:49], s[28:29]
; %bb.1341:                             ;   in Loop: Header=BB2_1261 Depth=4
	v_bfe_u32 v2, v14, 20, 1
	v_add_co_u32_e64 v2, s[28:29], v14, v2
	v_add_co_u32_e64 v18, s[28:29], -1, v2
; %bb.1342:                             ;   in Loop: Header=BB2_1261 Depth=4
	s_or_b64 exec, exec, s[48:49]
	v_add_u32_e32 v2, 0xffffff81, v36
	v_cndmask_b32_e32 v2, v2, v0, vcc
	v_lshrrev_b32_e32 v15, 23, v14
	v_add3_u32 v36, v40, v2, v15
	v_add_u32_e32 v19, 6, v36
	v_and_b32_e32 v2, 0xfffff, v18
	v_add_u32_e32 v2, v2, v14
	v_cmp_ne_u32_e32 vcc, 0, v19
                                        ; implicit-def: $vgpr14_vgpr15
                                        ; implicit-def: $vgpr18
	s_and_saveexec_b64 s[28:29], vcc
	s_xor_b64 s[28:29], exec, s[28:29]
; %bb.1343:                             ;   in Loop: Header=BB2_1261 Depth=4
	v_cmp_lt_u64_e32 vcc, s[88:89], v[2:3]
	v_add_u32_e32 v14, 7, v36
	v_cndmask_b32_e32 v18, v19, v14, vcc
	v_cndmask_b32_e64 v14, 0, 1, vcc
	v_lshrrev_b64 v[14:15], v14, v[2:3]
; %bb.1344:                             ;   in Loop: Header=BB2_1261 Depth=4
	s_andn2_saveexec_b64 s[28:29], s[28:29]
; %bb.1345:                             ;   in Loop: Header=BB2_1261 Depth=4
	v_mov_b32_e32 v15, v3
	v_bfe_u32 v18, v2, 23, 1
	v_mov_b32_e32 v14, v2
; %bb.1346:                             ;   in Loop: Header=BB2_1261 Depth=4
	s_or_b64 exec, exec, s[28:29]
	v_lshrrev_b64 v[14:15], 20, v[14:15]
	v_cmp_gt_i32_e32 vcc, 16, v18
	v_cndmask_b32_e32 v15, 0, v15, vcc
	v_cndmask_b32_e32 v14, 7, v14, vcc
	v_cmp_ne_u64_e32 vcc, 0, v[14:15]
	v_cmp_ne_u32_e64 s[28:29], 0, v18
	s_or_b64 s[28:29], s[28:29], vcc
                                        ; implicit-def: $vgpr43
	s_and_saveexec_b64 s[44:45], s[28:29]
	s_xor_b64 s[28:29], exec, s[44:45]
; %bb.1347:                             ;   in Loop: Header=BB2_1261 Depth=4
	v_min_i32_e32 v2, 15, v18
	v_lshl_or_b32 v2, v2, 3, v45
	v_and_or_b32 v43, v14, 7, v2
                                        ; implicit-def: $vgpr45
; %bb.1348:                             ;   in Loop: Header=BB2_1261 Depth=4
	s_andn2_saveexec_b64 s[28:29], s[28:29]
; %bb.1349:                             ;   in Loop: Header=BB2_1261 Depth=4
	v_mov_b32_e32 v43, v45
; %bb.1350:                             ;   in Loop: Header=BB2_1261 Depth=4
	s_or_b64 exec, exec, s[28:29]
.LBB2_1351:                             ;   in Loop: Header=BB2_1261 Depth=4
	s_or_b64 exec, exec, s[38:39]
                                        ; implicit-def: $vgpr45
.LBB2_1352:                             ;   in Loop: Header=BB2_1261 Depth=4
	s_andn2_saveexec_b64 s[28:29], s[36:37]
; %bb.1353:                             ;   in Loop: Header=BB2_1261 Depth=4
	v_or_b32_e32 v43, 0x7e, v45
; %bb.1354:                             ;   in Loop: Header=BB2_1261 Depth=4
	s_or_b64 exec, exec, s[28:29]
                                        ; implicit-def: $vgpr14
.LBB2_1355:                             ;   in Loop: Header=BB2_1261 Depth=4
	s_andn2_saveexec_b64 s[28:29], s[34:35]
; %bb.1356:                             ;   in Loop: Header=BB2_1261 Depth=4
	v_or_b32_sdwa v43, v14, s71 dst_sel:DWORD dst_unused:UNUSED_PAD src0_sel:BYTE_3 src1_sel:DWORD
; %bb.1357:                             ;   in Loop: Header=BB2_1261 Depth=4
	s_or_b64 exec, exec, s[28:29]
	v_and_b32_e32 v2, 0xff, v25
	v_cmp_ne_u16_e32 vcc, 0, v2
	v_mov_b32_e32 v14, 0
	v_mov_b32_e32 v15, 0
	s_and_saveexec_b64 s[28:29], vcc
	s_cbranch_execz .LBB2_1363
; %bb.1358:                             ;   in Loop: Header=BB2_1261 Depth=4
	v_cmp_ne_u16_e32 vcc, s70, v2
	v_bfrev_b32_e32 v15, 1
	s_and_saveexec_b64 s[34:35], vcc
	s_cbranch_execz .LBB2_1362
; %bb.1359:                             ;   in Loop: Header=BB2_1261 Depth=4
	v_and_b32_e32 v18, 0x7f, v25
	v_cmp_ne_u32_e32 vcc, s71, v18
	v_mov_b32_e32 v15, 0x7f800001
	s_and_saveexec_b64 s[36:37], vcc
	s_cbranch_execz .LBB2_1361
; %bb.1360:                             ;   in Loop: Header=BB2_1261 Depth=4
	v_and_b32_e32 v15, 7, v2
	v_lshrrev_b32_e32 v36, 3, v18
	v_cmp_gt_u32_e32 vcc, 8, v18
	v_ffbh_u32_e32 v18, v15
	v_min_u32_e32 v40, 32, v18
	v_subrev_u32_e32 v18, 28, v40
	v_lshlrev_b64 v[18:19], v18, v[2:3]
	v_sub_u32_e32 v2, 29, v40
	v_and_b32_e32 v18, 7, v18
	v_cndmask_b32_e32 v2, v36, v2, vcc
	v_cndmask_b32_e32 v15, v15, v18, vcc
	v_lshlrev_b32_e32 v18, 24, v25
	v_lshlrev_b32_e32 v15, 20, v15
	v_and_b32_e32 v18, 0x80000000, v18
	v_lshl_add_u32 v2, v2, 23, v49
	v_or3_b32 v15, v18, v2, v15
.LBB2_1361:                             ;   in Loop: Header=BB2_1261 Depth=4
	s_or_b64 exec, exec, s[36:37]
.LBB2_1362:                             ;   in Loop: Header=BB2_1261 Depth=4
	s_or_b64 exec, exec, s[34:35]
.LBB2_1363:                             ;   in Loop: Header=BB2_1261 Depth=4
	s_or_b64 exec, exec, s[28:29]
	v_and_b32_e32 v2, 0xff, v24
	v_cmp_ne_u16_e32 vcc, 0, v2
	s_and_saveexec_b64 s[28:29], vcc
	s_cbranch_execz .LBB2_1369
; %bb.1364:                             ;   in Loop: Header=BB2_1261 Depth=4
	v_cmp_ne_u16_e32 vcc, s70, v2
	v_bfrev_b32_e32 v14, 1
	s_and_saveexec_b64 s[34:35], vcc
	s_cbranch_execz .LBB2_1368
; %bb.1365:                             ;   in Loop: Header=BB2_1261 Depth=4
	v_and_b32_e32 v18, 0x7f, v24
	v_cmp_ne_u32_e32 vcc, s71, v18
	v_mov_b32_e32 v14, 0x7f800001
	s_and_saveexec_b64 s[36:37], vcc
	s_cbranch_execz .LBB2_1367
; %bb.1366:                             ;   in Loop: Header=BB2_1261 Depth=4
	v_and_b32_e32 v14, 7, v2
	v_lshrrev_b32_e32 v25, 3, v18
	v_cmp_gt_u32_e32 vcc, 8, v18
	v_ffbh_u32_e32 v18, v14
	v_min_u32_e32 v36, 32, v18
	v_subrev_u32_e32 v18, 28, v36
	v_lshlrev_b64 v[18:19], v18, v[2:3]
	v_sub_u32_e32 v2, 29, v36
	v_and_b32_e32 v18, 7, v18
	v_cndmask_b32_e32 v2, v25, v2, vcc
	v_cndmask_b32_e32 v14, v14, v18, vcc
	v_lshlrev_b32_e32 v18, 24, v24
	v_lshlrev_b32_e32 v14, 20, v14
	v_and_b32_e32 v18, 0x80000000, v18
	v_lshl_add_u32 v2, v2, 23, v49
	v_or3_b32 v14, v18, v2, v14
.LBB2_1367:                             ;   in Loop: Header=BB2_1261 Depth=4
	s_or_b64 exec, exec, s[36:37]
.LBB2_1368:                             ;   in Loop: Header=BB2_1261 Depth=4
	s_or_b64 exec, exec, s[34:35]
.LBB2_1369:                             ;   in Loop: Header=BB2_1261 Depth=4
	s_or_b64 exec, exec, s[28:29]
	v_mul_f32_e32 v14, v15, v14
	v_and_b32_e32 v2, 0x7f800000, v14
	v_cmp_ne_u64_e32 vcc, s[62:63], v[2:3]
                                        ; implicit-def: $vgpr45
	s_and_saveexec_b64 s[28:29], vcc
	s_xor_b64 s[34:35], exec, s[28:29]
	s_cbranch_execz .LBB2_1387
; %bb.1370:                             ;   in Loop: Header=BB2_1261 Depth=4
	v_and_b32_e32 v2, 0x7fffffff, v14
	v_cmp_gt_u64_e32 vcc, s[72:73], v[2:3]
	v_and_b32_sdwa v24, v14, s70 dst_sel:DWORD dst_unused:UNUSED_PAD src0_sel:BYTE_3 src1_sel:DWORD
                                        ; implicit-def: $vgpr45
	s_and_saveexec_b64 s[28:29], vcc
	s_xor_b64 s[36:37], exec, s[28:29]
	s_cbranch_execz .LBB2_1384
; %bb.1371:                             ;   in Loop: Header=BB2_1261 Depth=4
	v_cmp_ne_u32_e32 vcc, 0, v14
	v_mov_b32_e32 v45, 0
	s_and_saveexec_b64 s[38:39], vcc
	s_cbranch_execz .LBB2_1383
; %bb.1372:                             ;   in Loop: Header=BB2_1261 Depth=4
	v_bfe_u32 v25, v14, 23, 8
	v_and_b32_e32 v2, 0x7fffff, v14
	v_cmp_gt_u32_e64 s[28:29], s80, v25
	v_sub_u32_e32 v14, 0x79, v25
	v_cmp_eq_u32_e32 vcc, 0, v25
	v_cndmask_b32_e64 v14, 0, v14, s[28:29]
	v_cndmask_b32_e32 v36, v14, v1, vcc
	v_or_b32_e32 v15, 0x800000, v2
	v_add_u32_e32 v14, 20, v36
	v_cndmask_b32_e32 v2, v15, v2, vcc
	v_lshlrev_b64 v[14:15], v14, -1
	v_add_u32_e32 v18, 19, v36
	v_lshlrev_b64 v[18:19], v18, 1
	v_bfi_b32 v15, v15, 0, 0
	v_bfi_b32 v14, v14, 0, v2
	v_cmp_eq_u64_e64 s[28:29], v[14:15], v[18:19]
	v_lshrrev_b64 v[14:15], v36, v[2:3]
	v_mov_b32_e32 v19, v15
	v_mov_b32_e32 v18, v14
	s_and_saveexec_b64 s[48:49], s[28:29]
; %bb.1373:                             ;   in Loop: Header=BB2_1261 Depth=4
	v_bfe_u32 v2, v14, 20, 1
	v_add_co_u32_e64 v2, s[28:29], v14, v2
	v_add_co_u32_e64 v18, s[28:29], -1, v2
; %bb.1374:                             ;   in Loop: Header=BB2_1261 Depth=4
	s_or_b64 exec, exec, s[48:49]
	v_add_u32_e32 v2, 0xffffff81, v25
	v_cndmask_b32_e32 v2, v2, v0, vcc
	v_lshrrev_b32_e32 v15, 23, v14
	v_add3_u32 v25, v36, v2, v15
	v_add_u32_e32 v19, 6, v25
	v_and_b32_e32 v2, 0xfffff, v18
	v_add_u32_e32 v2, v2, v14
	v_cmp_ne_u32_e32 vcc, 0, v19
                                        ; implicit-def: $vgpr14_vgpr15
                                        ; implicit-def: $vgpr18
	s_and_saveexec_b64 s[28:29], vcc
	s_xor_b64 s[28:29], exec, s[28:29]
; %bb.1375:                             ;   in Loop: Header=BB2_1261 Depth=4
	v_cmp_lt_u64_e32 vcc, s[88:89], v[2:3]
	v_add_u32_e32 v14, 7, v25
	v_cndmask_b32_e32 v18, v19, v14, vcc
	v_cndmask_b32_e64 v14, 0, 1, vcc
	v_lshrrev_b64 v[14:15], v14, v[2:3]
; %bb.1376:                             ;   in Loop: Header=BB2_1261 Depth=4
	s_andn2_saveexec_b64 s[28:29], s[28:29]
; %bb.1377:                             ;   in Loop: Header=BB2_1261 Depth=4
	v_mov_b32_e32 v15, v3
	v_bfe_u32 v18, v2, 23, 1
	v_mov_b32_e32 v14, v2
; %bb.1378:                             ;   in Loop: Header=BB2_1261 Depth=4
	s_or_b64 exec, exec, s[28:29]
	v_lshrrev_b64 v[14:15], 20, v[14:15]
	v_cmp_gt_i32_e32 vcc, 16, v18
	v_cndmask_b32_e32 v15, 0, v15, vcc
	v_cndmask_b32_e32 v14, 7, v14, vcc
	v_cmp_ne_u64_e32 vcc, 0, v[14:15]
	v_cmp_ne_u32_e64 s[28:29], 0, v18
	s_or_b64 s[28:29], s[28:29], vcc
                                        ; implicit-def: $vgpr45
	s_and_saveexec_b64 s[44:45], s[28:29]
	s_xor_b64 s[28:29], exec, s[44:45]
; %bb.1379:                             ;   in Loop: Header=BB2_1261 Depth=4
	v_min_i32_e32 v2, 15, v18
	v_lshl_or_b32 v2, v2, 3, v24
	v_and_or_b32 v45, v14, 7, v2
                                        ; implicit-def: $vgpr24
; %bb.1380:                             ;   in Loop: Header=BB2_1261 Depth=4
	s_andn2_saveexec_b64 s[28:29], s[28:29]
; %bb.1381:                             ;   in Loop: Header=BB2_1261 Depth=4
	v_mov_b32_e32 v45, v24
; %bb.1382:                             ;   in Loop: Header=BB2_1261 Depth=4
	s_or_b64 exec, exec, s[28:29]
.LBB2_1383:                             ;   in Loop: Header=BB2_1261 Depth=4
	s_or_b64 exec, exec, s[38:39]
                                        ; implicit-def: $vgpr24
.LBB2_1384:                             ;   in Loop: Header=BB2_1261 Depth=4
	s_andn2_saveexec_b64 s[28:29], s[36:37]
; %bb.1385:                             ;   in Loop: Header=BB2_1261 Depth=4
	v_or_b32_e32 v45, 0x7e, v24
; %bb.1386:                             ;   in Loop: Header=BB2_1261 Depth=4
	s_or_b64 exec, exec, s[28:29]
                                        ; implicit-def: $vgpr14
.LBB2_1387:                             ;   in Loop: Header=BB2_1261 Depth=4
	s_andn2_saveexec_b64 s[28:29], s[34:35]
; %bb.1388:                             ;   in Loop: Header=BB2_1261 Depth=4
	v_or_b32_sdwa v45, v14, s71 dst_sel:DWORD dst_unused:UNUSED_PAD src0_sel:BYTE_3 src1_sel:DWORD
; %bb.1389:                             ;   in Loop: Header=BB2_1261 Depth=4
	s_or_b64 exec, exec, s[28:29]
	v_and_b32_e32 v2, 0xff, v47
	v_cmp_ne_u16_e32 vcc, 0, v2
	v_mov_b32_e32 v14, 0
	v_mov_b32_e32 v15, 0
	s_and_saveexec_b64 s[28:29], vcc
	s_cbranch_execz .LBB2_1395
; %bb.1390:                             ;   in Loop: Header=BB2_1261 Depth=4
	v_cmp_ne_u16_e32 vcc, s70, v2
	v_bfrev_b32_e32 v15, 1
	s_and_saveexec_b64 s[34:35], vcc
	s_cbranch_execz .LBB2_1394
; %bb.1391:                             ;   in Loop: Header=BB2_1261 Depth=4
	v_and_b32_e32 v18, 0x7f, v47
	v_cmp_ne_u32_e32 vcc, s71, v18
	v_mov_b32_e32 v15, 0x7f800001
	s_and_saveexec_b64 s[36:37], vcc
	s_cbranch_execz .LBB2_1393
; %bb.1392:                             ;   in Loop: Header=BB2_1261 Depth=4
	v_and_b32_e32 v15, 7, v2
	v_lshrrev_b32_e32 v24, 3, v18
	v_cmp_gt_u32_e32 vcc, 8, v18
	v_ffbh_u32_e32 v18, v15
	v_min_u32_e32 v25, 32, v18
	v_subrev_u32_e32 v18, 28, v25
	v_lshlrev_b64 v[18:19], v18, v[2:3]
	v_sub_u32_e32 v2, 29, v25
	v_and_b32_e32 v18, 7, v18
	v_cndmask_b32_e32 v2, v24, v2, vcc
	v_cndmask_b32_e32 v15, v15, v18, vcc
	v_lshlrev_b32_e32 v18, 24, v47
	v_lshlrev_b32_e32 v15, 20, v15
	v_and_b32_e32 v18, 0x80000000, v18
	v_lshl_add_u32 v2, v2, 23, v49
	v_or3_b32 v15, v18, v2, v15
.LBB2_1393:                             ;   in Loop: Header=BB2_1261 Depth=4
	s_or_b64 exec, exec, s[36:37]
.LBB2_1394:                             ;   in Loop: Header=BB2_1261 Depth=4
	s_or_b64 exec, exec, s[34:35]
.LBB2_1395:                             ;   in Loop: Header=BB2_1261 Depth=4
	s_or_b64 exec, exec, s[28:29]
	v_and_b32_e32 v2, 0xff, v46
	v_cmp_ne_u16_e32 vcc, 0, v2
	s_and_saveexec_b64 s[28:29], vcc
	s_cbranch_execz .LBB2_1401
; %bb.1396:                             ;   in Loop: Header=BB2_1261 Depth=4
	v_cmp_ne_u16_e32 vcc, s70, v2
	v_bfrev_b32_e32 v14, 1
	s_and_saveexec_b64 s[34:35], vcc
	s_cbranch_execz .LBB2_1400
; %bb.1397:                             ;   in Loop: Header=BB2_1261 Depth=4
	v_and_b32_e32 v18, 0x7f, v46
	v_cmp_ne_u32_e32 vcc, s71, v18
	v_mov_b32_e32 v14, 0x7f800001
	s_and_saveexec_b64 s[36:37], vcc
	s_cbranch_execz .LBB2_1399
; %bb.1398:                             ;   in Loop: Header=BB2_1261 Depth=4
	v_and_b32_e32 v14, 7, v2
	v_lshrrev_b32_e32 v24, 3, v18
	v_cmp_gt_u32_e32 vcc, 8, v18
	v_ffbh_u32_e32 v18, v14
	v_min_u32_e32 v25, 32, v18
	v_subrev_u32_e32 v18, 28, v25
	v_lshlrev_b64 v[18:19], v18, v[2:3]
	v_sub_u32_e32 v2, 29, v25
	v_and_b32_e32 v18, 7, v18
	v_cndmask_b32_e32 v2, v24, v2, vcc
	v_cndmask_b32_e32 v14, v14, v18, vcc
	v_lshlrev_b32_e32 v18, 24, v46
	v_lshlrev_b32_e32 v14, 20, v14
	v_and_b32_e32 v18, 0x80000000, v18
	v_lshl_add_u32 v2, v2, 23, v49
	v_or3_b32 v14, v18, v2, v14
.LBB2_1399:                             ;   in Loop: Header=BB2_1261 Depth=4
	s_or_b64 exec, exec, s[36:37]
.LBB2_1400:                             ;   in Loop: Header=BB2_1261 Depth=4
	s_or_b64 exec, exec, s[34:35]
.LBB2_1401:                             ;   in Loop: Header=BB2_1261 Depth=4
	s_or_b64 exec, exec, s[28:29]
	v_mul_f32_e32 v14, v15, v14
	v_and_b32_e32 v2, 0x7f800000, v14
	v_cmp_ne_u64_e32 vcc, s[62:63], v[2:3]
                                        ; implicit-def: $vgpr24
	s_and_saveexec_b64 s[28:29], vcc
	s_xor_b64 s[34:35], exec, s[28:29]
	s_cbranch_execz .LBB2_1419
; %bb.1402:                             ;   in Loop: Header=BB2_1261 Depth=4
	v_and_b32_e32 v2, 0x7fffffff, v14
	v_cmp_gt_u64_e32 vcc, s[72:73], v[2:3]
	v_and_b32_sdwa v25, v14, s70 dst_sel:DWORD dst_unused:UNUSED_PAD src0_sel:BYTE_3 src1_sel:DWORD
                                        ; implicit-def: $vgpr24
	s_and_saveexec_b64 s[28:29], vcc
	s_xor_b64 s[36:37], exec, s[28:29]
	s_cbranch_execz .LBB2_1416
; %bb.1403:                             ;   in Loop: Header=BB2_1261 Depth=4
	v_cmp_ne_u32_e32 vcc, 0, v14
	v_mov_b32_e32 v24, 0
	s_and_saveexec_b64 s[38:39], vcc
	s_cbranch_execz .LBB2_1415
; %bb.1404:                             ;   in Loop: Header=BB2_1261 Depth=4
	v_bfe_u32 v24, v14, 23, 8
	v_and_b32_e32 v2, 0x7fffff, v14
	v_cmp_gt_u32_e64 s[28:29], s80, v24
	v_sub_u32_e32 v14, 0x79, v24
	v_cmp_eq_u32_e32 vcc, 0, v24
	v_cndmask_b32_e64 v14, 0, v14, s[28:29]
	v_cndmask_b32_e32 v36, v14, v1, vcc
	v_or_b32_e32 v15, 0x800000, v2
	v_add_u32_e32 v14, 20, v36
	v_cndmask_b32_e32 v2, v15, v2, vcc
	v_lshlrev_b64 v[14:15], v14, -1
	v_add_u32_e32 v18, 19, v36
	v_lshlrev_b64 v[18:19], v18, 1
	v_bfi_b32 v15, v15, 0, 0
	v_bfi_b32 v14, v14, 0, v2
	v_cmp_eq_u64_e64 s[28:29], v[14:15], v[18:19]
	v_lshrrev_b64 v[14:15], v36, v[2:3]
	v_mov_b32_e32 v19, v15
	v_mov_b32_e32 v18, v14
	s_and_saveexec_b64 s[48:49], s[28:29]
; %bb.1405:                             ;   in Loop: Header=BB2_1261 Depth=4
	v_bfe_u32 v2, v14, 20, 1
	v_add_co_u32_e64 v2, s[28:29], v14, v2
	v_add_co_u32_e64 v18, s[28:29], -1, v2
; %bb.1406:                             ;   in Loop: Header=BB2_1261 Depth=4
	s_or_b64 exec, exec, s[48:49]
	v_add_u32_e32 v2, 0xffffff81, v24
	v_cndmask_b32_e32 v2, v2, v0, vcc
	v_lshrrev_b32_e32 v15, 23, v14
	v_add3_u32 v24, v36, v2, v15
	v_add_u32_e32 v19, 6, v24
	v_and_b32_e32 v2, 0xfffff, v18
	v_add_u32_e32 v2, v2, v14
	v_cmp_ne_u32_e32 vcc, 0, v19
                                        ; implicit-def: $vgpr14_vgpr15
                                        ; implicit-def: $vgpr18
	s_and_saveexec_b64 s[28:29], vcc
	s_xor_b64 s[28:29], exec, s[28:29]
; %bb.1407:                             ;   in Loop: Header=BB2_1261 Depth=4
	v_cmp_lt_u64_e32 vcc, s[88:89], v[2:3]
	v_add_u32_e32 v14, 7, v24
	v_cndmask_b32_e32 v18, v19, v14, vcc
	v_cndmask_b32_e64 v14, 0, 1, vcc
	v_lshrrev_b64 v[14:15], v14, v[2:3]
; %bb.1408:                             ;   in Loop: Header=BB2_1261 Depth=4
	s_andn2_saveexec_b64 s[28:29], s[28:29]
; %bb.1409:                             ;   in Loop: Header=BB2_1261 Depth=4
	v_mov_b32_e32 v15, v3
	v_bfe_u32 v18, v2, 23, 1
	v_mov_b32_e32 v14, v2
; %bb.1410:                             ;   in Loop: Header=BB2_1261 Depth=4
	s_or_b64 exec, exec, s[28:29]
	v_lshrrev_b64 v[14:15], 20, v[14:15]
	v_cmp_gt_i32_e32 vcc, 16, v18
	v_cndmask_b32_e32 v15, 0, v15, vcc
	v_cndmask_b32_e32 v14, 7, v14, vcc
	v_cmp_ne_u64_e32 vcc, 0, v[14:15]
	v_cmp_ne_u32_e64 s[28:29], 0, v18
	s_or_b64 s[28:29], s[28:29], vcc
                                        ; implicit-def: $vgpr24
	s_and_saveexec_b64 s[44:45], s[28:29]
	s_xor_b64 s[28:29], exec, s[44:45]
; %bb.1411:                             ;   in Loop: Header=BB2_1261 Depth=4
	v_min_i32_e32 v2, 15, v18
	v_lshl_or_b32 v2, v2, 3, v25
	v_and_or_b32 v24, v14, 7, v2
                                        ; implicit-def: $vgpr25
; %bb.1412:                             ;   in Loop: Header=BB2_1261 Depth=4
	s_andn2_saveexec_b64 s[28:29], s[28:29]
; %bb.1413:                             ;   in Loop: Header=BB2_1261 Depth=4
	v_mov_b32_e32 v24, v25
; %bb.1414:                             ;   in Loop: Header=BB2_1261 Depth=4
	s_or_b64 exec, exec, s[28:29]
.LBB2_1415:                             ;   in Loop: Header=BB2_1261 Depth=4
	s_or_b64 exec, exec, s[38:39]
                                        ; implicit-def: $vgpr25
.LBB2_1416:                             ;   in Loop: Header=BB2_1261 Depth=4
	s_andn2_saveexec_b64 s[28:29], s[36:37]
; %bb.1417:                             ;   in Loop: Header=BB2_1261 Depth=4
	v_or_b32_e32 v24, 0x7e, v25
; %bb.1418:                             ;   in Loop: Header=BB2_1261 Depth=4
	s_or_b64 exec, exec, s[28:29]
                                        ; implicit-def: $vgpr14
.LBB2_1419:                             ;   in Loop: Header=BB2_1261 Depth=4
	s_andn2_saveexec_b64 s[28:29], s[34:35]
; %bb.1420:                             ;   in Loop: Header=BB2_1261 Depth=4
	v_or_b32_sdwa v24, v14, s71 dst_sel:DWORD dst_unused:UNUSED_PAD src0_sel:BYTE_3 src1_sel:DWORD
; %bb.1421:                             ;   in Loop: Header=BB2_1261 Depth=4
	s_or_b64 exec, exec, s[28:29]
	v_and_b32_e32 v2, 0xff, v44
	v_cmp_ne_u16_e32 vcc, 0, v2
	v_mov_b32_e32 v14, 0
	v_mov_b32_e32 v15, 0
	s_and_saveexec_b64 s[28:29], vcc
	s_cbranch_execz .LBB2_1427
; %bb.1422:                             ;   in Loop: Header=BB2_1261 Depth=4
	v_cmp_ne_u16_e32 vcc, s70, v2
	v_bfrev_b32_e32 v15, 1
	s_and_saveexec_b64 s[34:35], vcc
	s_cbranch_execz .LBB2_1426
; %bb.1423:                             ;   in Loop: Header=BB2_1261 Depth=4
	v_and_b32_e32 v18, 0x7f, v44
	v_cmp_ne_u32_e32 vcc, s71, v18
	v_mov_b32_e32 v15, 0x7f800001
	s_and_saveexec_b64 s[36:37], vcc
	s_cbranch_execz .LBB2_1425
; %bb.1424:                             ;   in Loop: Header=BB2_1261 Depth=4
	v_and_b32_e32 v15, 7, v2
	v_lshrrev_b32_e32 v25, 3, v18
	v_cmp_gt_u32_e32 vcc, 8, v18
	v_ffbh_u32_e32 v18, v15
	v_min_u32_e32 v36, 32, v18
	v_subrev_u32_e32 v18, 28, v36
	v_lshlrev_b64 v[18:19], v18, v[2:3]
	v_sub_u32_e32 v2, 29, v36
	v_and_b32_e32 v18, 7, v18
	v_cndmask_b32_e32 v2, v25, v2, vcc
	v_cndmask_b32_e32 v15, v15, v18, vcc
	v_lshlrev_b32_e32 v18, 24, v44
	v_lshlrev_b32_e32 v15, 20, v15
	v_and_b32_e32 v18, 0x80000000, v18
	v_lshl_add_u32 v2, v2, 23, v49
	v_or3_b32 v15, v18, v2, v15
.LBB2_1425:                             ;   in Loop: Header=BB2_1261 Depth=4
	s_or_b64 exec, exec, s[36:37]
.LBB2_1426:                             ;   in Loop: Header=BB2_1261 Depth=4
	s_or_b64 exec, exec, s[34:35]
.LBB2_1427:                             ;   in Loop: Header=BB2_1261 Depth=4
	s_or_b64 exec, exec, s[28:29]
	v_and_b32_e32 v2, 0xff, v48
	v_cmp_ne_u16_e32 vcc, 0, v2
	s_and_saveexec_b64 s[28:29], vcc
	s_cbranch_execz .LBB2_1433
; %bb.1428:                             ;   in Loop: Header=BB2_1261 Depth=4
	v_cmp_ne_u16_e32 vcc, s70, v2
	v_bfrev_b32_e32 v14, 1
	s_and_saveexec_b64 s[34:35], vcc
	s_cbranch_execz .LBB2_1432
; %bb.1429:                             ;   in Loop: Header=BB2_1261 Depth=4
	v_and_b32_e32 v18, 0x7f, v48
	v_cmp_ne_u32_e32 vcc, s71, v18
	v_mov_b32_e32 v14, 0x7f800001
	s_and_saveexec_b64 s[36:37], vcc
	s_cbranch_execz .LBB2_1431
; %bb.1430:                             ;   in Loop: Header=BB2_1261 Depth=4
	v_and_b32_e32 v14, 7, v2
	v_lshrrev_b32_e32 v25, 3, v18
	v_cmp_gt_u32_e32 vcc, 8, v18
	v_ffbh_u32_e32 v18, v14
	v_min_u32_e32 v36, 32, v18
	v_subrev_u32_e32 v18, 28, v36
	v_lshlrev_b64 v[18:19], v18, v[2:3]
	v_sub_u32_e32 v2, 29, v36
	v_and_b32_e32 v18, 7, v18
	v_cndmask_b32_e32 v2, v25, v2, vcc
	v_cndmask_b32_e32 v14, v14, v18, vcc
	v_lshlrev_b32_e32 v18, 24, v48
	v_lshlrev_b32_e32 v14, 20, v14
	v_and_b32_e32 v18, 0x80000000, v18
	v_lshl_add_u32 v2, v2, 23, v49
	v_or3_b32 v14, v18, v2, v14
.LBB2_1431:                             ;   in Loop: Header=BB2_1261 Depth=4
	s_or_b64 exec, exec, s[36:37]
.LBB2_1432:                             ;   in Loop: Header=BB2_1261 Depth=4
	s_or_b64 exec, exec, s[34:35]
.LBB2_1433:                             ;   in Loop: Header=BB2_1261 Depth=4
	s_or_b64 exec, exec, s[28:29]
	v_mul_f32_e32 v14, v15, v14
	v_and_b32_e32 v2, 0x7f800000, v14
	v_cmp_ne_u64_e32 vcc, s[62:63], v[2:3]
                                        ; implicit-def: $vgpr25
	s_and_saveexec_b64 s[28:29], vcc
	s_xor_b64 s[34:35], exec, s[28:29]
	s_cbranch_execz .LBB2_1451
; %bb.1434:                             ;   in Loop: Header=BB2_1261 Depth=4
	v_and_b32_e32 v2, 0x7fffffff, v14
	v_cmp_gt_u64_e32 vcc, s[72:73], v[2:3]
	v_and_b32_sdwa v48, v14, s70 dst_sel:DWORD dst_unused:UNUSED_PAD src0_sel:BYTE_3 src1_sel:DWORD
                                        ; implicit-def: $vgpr25
	s_and_saveexec_b64 s[28:29], vcc
	s_xor_b64 s[36:37], exec, s[28:29]
	s_cbranch_execz .LBB2_1448
; %bb.1435:                             ;   in Loop: Header=BB2_1261 Depth=4
	v_cmp_ne_u32_e32 vcc, 0, v14
	v_mov_b32_e32 v25, 0
	s_and_saveexec_b64 s[38:39], vcc
	s_cbranch_execz .LBB2_1447
; %bb.1436:                             ;   in Loop: Header=BB2_1261 Depth=4
	v_bfe_u32 v25, v14, 23, 8
	v_and_b32_e32 v2, 0x7fffff, v14
	v_cmp_gt_u32_e64 s[28:29], s80, v25
	v_sub_u32_e32 v14, 0x79, v25
	v_cmp_eq_u32_e32 vcc, 0, v25
	v_cndmask_b32_e64 v14, 0, v14, s[28:29]
	v_cndmask_b32_e32 v36, v14, v1, vcc
	v_or_b32_e32 v15, 0x800000, v2
	v_add_u32_e32 v14, 20, v36
	v_cndmask_b32_e32 v2, v15, v2, vcc
	v_lshlrev_b64 v[14:15], v14, -1
	v_add_u32_e32 v18, 19, v36
	v_lshlrev_b64 v[18:19], v18, 1
	v_bfi_b32 v15, v15, 0, 0
	v_bfi_b32 v14, v14, 0, v2
	v_cmp_eq_u64_e64 s[28:29], v[14:15], v[18:19]
	v_lshrrev_b64 v[14:15], v36, v[2:3]
	v_mov_b32_e32 v19, v15
	v_mov_b32_e32 v18, v14
	s_and_saveexec_b64 s[48:49], s[28:29]
; %bb.1437:                             ;   in Loop: Header=BB2_1261 Depth=4
	v_bfe_u32 v2, v14, 20, 1
	v_add_co_u32_e64 v2, s[28:29], v14, v2
	v_add_co_u32_e64 v18, s[28:29], -1, v2
; %bb.1438:                             ;   in Loop: Header=BB2_1261 Depth=4
	s_or_b64 exec, exec, s[48:49]
	v_add_u32_e32 v2, 0xffffff81, v25
	v_cndmask_b32_e32 v2, v2, v0, vcc
	v_lshrrev_b32_e32 v15, 23, v14
	v_add3_u32 v25, v36, v2, v15
	v_add_u32_e32 v19, 6, v25
	v_and_b32_e32 v2, 0xfffff, v18
	v_add_u32_e32 v2, v2, v14
	v_cmp_ne_u32_e32 vcc, 0, v19
                                        ; implicit-def: $vgpr14_vgpr15
                                        ; implicit-def: $vgpr18
	s_and_saveexec_b64 s[28:29], vcc
	s_xor_b64 s[28:29], exec, s[28:29]
; %bb.1439:                             ;   in Loop: Header=BB2_1261 Depth=4
	v_cmp_lt_u64_e32 vcc, s[88:89], v[2:3]
	v_add_u32_e32 v14, 7, v25
	v_cndmask_b32_e32 v18, v19, v14, vcc
	v_cndmask_b32_e64 v14, 0, 1, vcc
	v_lshrrev_b64 v[14:15], v14, v[2:3]
; %bb.1440:                             ;   in Loop: Header=BB2_1261 Depth=4
	s_andn2_saveexec_b64 s[28:29], s[28:29]
; %bb.1441:                             ;   in Loop: Header=BB2_1261 Depth=4
	v_mov_b32_e32 v15, v3
	v_bfe_u32 v18, v2, 23, 1
	v_mov_b32_e32 v14, v2
; %bb.1442:                             ;   in Loop: Header=BB2_1261 Depth=4
	s_or_b64 exec, exec, s[28:29]
	v_lshrrev_b64 v[14:15], 20, v[14:15]
	v_cmp_gt_i32_e32 vcc, 16, v18
	v_cndmask_b32_e32 v15, 0, v15, vcc
	v_cndmask_b32_e32 v14, 7, v14, vcc
	v_cmp_ne_u64_e32 vcc, 0, v[14:15]
	v_cmp_ne_u32_e64 s[28:29], 0, v18
	s_or_b64 s[28:29], s[28:29], vcc
                                        ; implicit-def: $vgpr25
	s_and_saveexec_b64 s[44:45], s[28:29]
	s_xor_b64 s[28:29], exec, s[44:45]
; %bb.1443:                             ;   in Loop: Header=BB2_1261 Depth=4
	v_min_i32_e32 v2, 15, v18
	v_lshl_or_b32 v2, v2, 3, v48
	v_and_or_b32 v25, v14, 7, v2
                                        ; implicit-def: $vgpr48
; %bb.1444:                             ;   in Loop: Header=BB2_1261 Depth=4
	s_andn2_saveexec_b64 s[28:29], s[28:29]
; %bb.1445:                             ;   in Loop: Header=BB2_1261 Depth=4
	v_mov_b32_e32 v25, v48
; %bb.1446:                             ;   in Loop: Header=BB2_1261 Depth=4
	s_or_b64 exec, exec, s[28:29]
.LBB2_1447:                             ;   in Loop: Header=BB2_1261 Depth=4
	s_or_b64 exec, exec, s[38:39]
                                        ; implicit-def: $vgpr48
.LBB2_1448:                             ;   in Loop: Header=BB2_1261 Depth=4
	s_andn2_saveexec_b64 s[28:29], s[36:37]
; %bb.1449:                             ;   in Loop: Header=BB2_1261 Depth=4
	v_or_b32_e32 v25, 0x7e, v48
; %bb.1450:                             ;   in Loop: Header=BB2_1261 Depth=4
	s_or_b64 exec, exec, s[28:29]
                                        ; implicit-def: $vgpr14
.LBB2_1451:                             ;   in Loop: Header=BB2_1261 Depth=4
	s_andn2_saveexec_b64 s[28:29], s[34:35]
; %bb.1452:                             ;   in Loop: Header=BB2_1261 Depth=4
	v_or_b32_sdwa v25, v14, s71 dst_sel:DWORD dst_unused:UNUSED_PAD src0_sel:BYTE_3 src1_sel:DWORD
; %bb.1453:                             ;   in Loop: Header=BB2_1261 Depth=4
	s_or_b64 exec, exec, s[28:29]
	v_and_b32_e32 v2, 0xff, v42
	v_cmp_ne_u16_e32 vcc, 0, v2
	v_mov_b32_e32 v14, 0
	v_mov_b32_e32 v15, 0
	s_and_saveexec_b64 s[28:29], vcc
	s_cbranch_execz .LBB2_1459
; %bb.1454:                             ;   in Loop: Header=BB2_1261 Depth=4
	v_cmp_ne_u16_e32 vcc, s70, v2
	v_bfrev_b32_e32 v15, 1
	s_and_saveexec_b64 s[34:35], vcc
	s_cbranch_execz .LBB2_1458
; %bb.1455:                             ;   in Loop: Header=BB2_1261 Depth=4
	v_and_b32_e32 v18, 0x7f, v42
	v_cmp_ne_u32_e32 vcc, s71, v18
	v_mov_b32_e32 v15, 0x7f800001
	s_and_saveexec_b64 s[36:37], vcc
	s_cbranch_execz .LBB2_1457
; %bb.1456:                             ;   in Loop: Header=BB2_1261 Depth=4
	v_and_b32_e32 v15, 7, v2
	v_lshrrev_b32_e32 v36, 3, v18
	v_cmp_gt_u32_e32 vcc, 8, v18
	v_ffbh_u32_e32 v18, v15
	v_min_u32_e32 v48, 32, v18
	v_subrev_u32_e32 v18, 28, v48
	v_lshlrev_b64 v[18:19], v18, v[2:3]
	v_sub_u32_e32 v2, 29, v48
	v_and_b32_e32 v18, 7, v18
	v_cndmask_b32_e32 v2, v36, v2, vcc
	v_cndmask_b32_e32 v15, v15, v18, vcc
	v_lshlrev_b32_e32 v18, 24, v42
	v_lshlrev_b32_e32 v15, 20, v15
	v_and_b32_e32 v18, 0x80000000, v18
	v_lshl_add_u32 v2, v2, 23, v49
	v_or3_b32 v15, v18, v2, v15
.LBB2_1457:                             ;   in Loop: Header=BB2_1261 Depth=4
	s_or_b64 exec, exec, s[36:37]
.LBB2_1458:                             ;   in Loop: Header=BB2_1261 Depth=4
	s_or_b64 exec, exec, s[34:35]
.LBB2_1459:                             ;   in Loop: Header=BB2_1261 Depth=4
	s_or_b64 exec, exec, s[28:29]
	v_and_b32_e32 v2, 0xff, v16
	v_cmp_ne_u16_e32 vcc, 0, v2
	s_and_saveexec_b64 s[28:29], vcc
	s_cbranch_execz .LBB2_1465
; %bb.1460:                             ;   in Loop: Header=BB2_1261 Depth=4
	v_cmp_ne_u16_e32 vcc, s70, v2
	v_bfrev_b32_e32 v14, 1
	s_and_saveexec_b64 s[34:35], vcc
	s_cbranch_execz .LBB2_1464
; %bb.1461:                             ;   in Loop: Header=BB2_1261 Depth=4
	v_and_b32_e32 v18, 0x7f, v16
	v_cmp_ne_u32_e32 vcc, s71, v18
	v_mov_b32_e32 v14, 0x7f800001
	s_and_saveexec_b64 s[36:37], vcc
	s_cbranch_execz .LBB2_1463
; %bb.1462:                             ;   in Loop: Header=BB2_1261 Depth=4
	v_and_b32_e32 v14, 7, v2
	v_lshrrev_b32_e32 v36, 3, v18
	v_cmp_gt_u32_e32 vcc, 8, v18
	v_ffbh_u32_e32 v18, v14
	v_min_u32_e32 v48, 32, v18
	v_subrev_u32_e32 v18, 28, v48
	v_lshlrev_b64 v[18:19], v18, v[2:3]
	v_sub_u32_e32 v2, 29, v48
	v_and_b32_e32 v18, 7, v18
	v_cndmask_b32_e32 v2, v36, v2, vcc
	v_cndmask_b32_e32 v14, v14, v18, vcc
	v_lshlrev_b32_e32 v16, 24, v16
	v_lshlrev_b32_e32 v14, 20, v14
	v_and_b32_e32 v16, 0x80000000, v16
	v_lshl_add_u32 v2, v2, 23, v49
	v_or3_b32 v14, v16, v2, v14
.LBB2_1463:                             ;   in Loop: Header=BB2_1261 Depth=4
	s_or_b64 exec, exec, s[36:37]
.LBB2_1464:                             ;   in Loop: Header=BB2_1261 Depth=4
	s_or_b64 exec, exec, s[34:35]
.LBB2_1465:                             ;   in Loop: Header=BB2_1261 Depth=4
	s_or_b64 exec, exec, s[28:29]
	v_mul_f32_e32 v14, v15, v14
	v_and_b32_e32 v2, 0x7f800000, v14
	v_cmp_ne_u64_e32 vcc, s[62:63], v[2:3]
                                        ; implicit-def: $vgpr16
	s_and_saveexec_b64 s[28:29], vcc
	s_xor_b64 s[34:35], exec, s[28:29]
	s_cbranch_execz .LBB2_1483
; %bb.1466:                             ;   in Loop: Header=BB2_1261 Depth=4
	v_and_b32_e32 v2, 0x7fffffff, v14
	v_cmp_gt_u64_e32 vcc, s[72:73], v[2:3]
	v_and_b32_sdwa v48, v14, s70 dst_sel:DWORD dst_unused:UNUSED_PAD src0_sel:BYTE_3 src1_sel:DWORD
                                        ; implicit-def: $vgpr16
	s_and_saveexec_b64 s[28:29], vcc
	s_xor_b64 s[36:37], exec, s[28:29]
	s_cbranch_execz .LBB2_1480
; %bb.1467:                             ;   in Loop: Header=BB2_1261 Depth=4
	v_cmp_ne_u32_e32 vcc, 0, v14
	v_mov_b32_e32 v16, 0
	s_and_saveexec_b64 s[38:39], vcc
	s_cbranch_execz .LBB2_1479
; %bb.1468:                             ;   in Loop: Header=BB2_1261 Depth=4
	v_bfe_u32 v16, v14, 23, 8
	v_and_b32_e32 v2, 0x7fffff, v14
	v_cmp_gt_u32_e64 s[28:29], s80, v16
	v_sub_u32_e32 v14, 0x79, v16
	v_cmp_eq_u32_e32 vcc, 0, v16
	v_cndmask_b32_e64 v14, 0, v14, s[28:29]
	v_cndmask_b32_e32 v36, v14, v1, vcc
	v_or_b32_e32 v15, 0x800000, v2
	v_add_u32_e32 v14, 20, v36
	v_cndmask_b32_e32 v2, v15, v2, vcc
	v_lshlrev_b64 v[14:15], v14, -1
	v_add_u32_e32 v18, 19, v36
	v_lshlrev_b64 v[18:19], v18, 1
	v_bfi_b32 v15, v15, 0, 0
	v_bfi_b32 v14, v14, 0, v2
	v_cmp_eq_u64_e64 s[28:29], v[14:15], v[18:19]
	v_lshrrev_b64 v[14:15], v36, v[2:3]
	v_mov_b32_e32 v19, v15
	v_mov_b32_e32 v18, v14
	s_and_saveexec_b64 s[48:49], s[28:29]
; %bb.1469:                             ;   in Loop: Header=BB2_1261 Depth=4
	v_bfe_u32 v2, v14, 20, 1
	v_add_co_u32_e64 v2, s[28:29], v14, v2
	v_add_co_u32_e64 v18, s[28:29], -1, v2
; %bb.1470:                             ;   in Loop: Header=BB2_1261 Depth=4
	s_or_b64 exec, exec, s[48:49]
	v_add_u32_e32 v2, 0xffffff81, v16
	v_cndmask_b32_e32 v2, v2, v0, vcc
	v_lshrrev_b32_e32 v15, 23, v14
	v_add3_u32 v19, v36, v2, v15
	v_add_u32_e32 v16, 6, v19
	v_and_b32_e32 v2, 0xfffff, v18
	v_add_u32_e32 v2, v2, v14
	v_cmp_ne_u32_e32 vcc, 0, v16
                                        ; implicit-def: $vgpr14_vgpr15
                                        ; implicit-def: $vgpr18
	s_and_saveexec_b64 s[28:29], vcc
	s_xor_b64 s[28:29], exec, s[28:29]
; %bb.1471:                             ;   in Loop: Header=BB2_1261 Depth=4
	v_cmp_lt_u64_e32 vcc, s[88:89], v[2:3]
	v_add_u32_e32 v14, 7, v19
	v_cndmask_b32_e32 v18, v16, v14, vcc
	v_cndmask_b32_e64 v14, 0, 1, vcc
	v_lshrrev_b64 v[14:15], v14, v[2:3]
; %bb.1472:                             ;   in Loop: Header=BB2_1261 Depth=4
	s_andn2_saveexec_b64 s[28:29], s[28:29]
; %bb.1473:                             ;   in Loop: Header=BB2_1261 Depth=4
	v_mov_b32_e32 v15, v3
	v_bfe_u32 v18, v2, 23, 1
	v_mov_b32_e32 v14, v2
; %bb.1474:                             ;   in Loop: Header=BB2_1261 Depth=4
	s_or_b64 exec, exec, s[28:29]
	v_lshrrev_b64 v[14:15], 20, v[14:15]
	v_cmp_gt_i32_e32 vcc, 16, v18
	v_cndmask_b32_e32 v15, 0, v15, vcc
	v_cndmask_b32_e32 v14, 7, v14, vcc
	v_cmp_ne_u64_e32 vcc, 0, v[14:15]
	v_cmp_ne_u32_e64 s[28:29], 0, v18
	s_or_b64 s[28:29], s[28:29], vcc
                                        ; implicit-def: $vgpr16
	s_and_saveexec_b64 s[44:45], s[28:29]
	s_xor_b64 s[28:29], exec, s[44:45]
; %bb.1475:                             ;   in Loop: Header=BB2_1261 Depth=4
	v_min_i32_e32 v2, 15, v18
	v_lshl_or_b32 v2, v2, 3, v48
	v_and_or_b32 v16, v14, 7, v2
                                        ; implicit-def: $vgpr48
; %bb.1476:                             ;   in Loop: Header=BB2_1261 Depth=4
	s_andn2_saveexec_b64 s[28:29], s[28:29]
; %bb.1477:                             ;   in Loop: Header=BB2_1261 Depth=4
	v_mov_b32_e32 v16, v48
; %bb.1478:                             ;   in Loop: Header=BB2_1261 Depth=4
	s_or_b64 exec, exec, s[28:29]
.LBB2_1479:                             ;   in Loop: Header=BB2_1261 Depth=4
	s_or_b64 exec, exec, s[38:39]
                                        ; implicit-def: $vgpr48
.LBB2_1480:                             ;   in Loop: Header=BB2_1261 Depth=4
	s_andn2_saveexec_b64 s[28:29], s[36:37]
; %bb.1481:                             ;   in Loop: Header=BB2_1261 Depth=4
	v_or_b32_e32 v16, 0x7e, v48
; %bb.1482:                             ;   in Loop: Header=BB2_1261 Depth=4
	s_or_b64 exec, exec, s[28:29]
                                        ; implicit-def: $vgpr14
.LBB2_1483:                             ;   in Loop: Header=BB2_1261 Depth=4
	s_andn2_saveexec_b64 s[28:29], s[34:35]
; %bb.1484:                             ;   in Loop: Header=BB2_1261 Depth=4
	v_or_b32_sdwa v16, v14, s71 dst_sel:DWORD dst_unused:UNUSED_PAD src0_sel:BYTE_3 src1_sel:DWORD
; %bb.1485:                             ;   in Loop: Header=BB2_1261 Depth=4
	s_or_b64 exec, exec, s[28:29]
	v_and_b32_e32 v2, 0xff, v52
	v_cmp_ne_u16_e32 vcc, 0, v2
	v_mov_b32_e32 v14, 0
	v_mov_b32_e32 v15, 0
	s_and_saveexec_b64 s[28:29], vcc
	s_cbranch_execz .LBB2_1491
; %bb.1486:                             ;   in Loop: Header=BB2_1261 Depth=4
	v_cmp_ne_u16_e32 vcc, s70, v2
	v_bfrev_b32_e32 v15, 1
	s_and_saveexec_b64 s[34:35], vcc
	s_cbranch_execz .LBB2_1490
; %bb.1487:                             ;   in Loop: Header=BB2_1261 Depth=4
	v_and_b32_e32 v18, 0x7f, v52
	v_cmp_ne_u32_e32 vcc, s71, v18
	v_mov_b32_e32 v15, 0x7f800001
	s_and_saveexec_b64 s[36:37], vcc
	s_cbranch_execz .LBB2_1489
; %bb.1488:                             ;   in Loop: Header=BB2_1261 Depth=4
	v_and_b32_e32 v15, 7, v2
	v_lshrrev_b32_e32 v36, 3, v18
	v_cmp_gt_u32_e32 vcc, 8, v18
	v_ffbh_u32_e32 v18, v15
	v_min_u32_e32 v48, 32, v18
	v_subrev_u32_e32 v18, 28, v48
	v_lshlrev_b64 v[18:19], v18, v[2:3]
	v_sub_u32_e32 v2, 29, v48
	v_and_b32_e32 v18, 7, v18
	v_cndmask_b32_e32 v2, v36, v2, vcc
	v_cndmask_b32_e32 v15, v15, v18, vcc
	v_lshlrev_b32_e32 v18, 24, v52
	v_lshlrev_b32_e32 v15, 20, v15
	v_and_b32_e32 v18, 0x80000000, v18
	v_lshl_add_u32 v2, v2, 23, v49
	v_or3_b32 v15, v18, v2, v15
.LBB2_1489:                             ;   in Loop: Header=BB2_1261 Depth=4
	s_or_b64 exec, exec, s[36:37]
.LBB2_1490:                             ;   in Loop: Header=BB2_1261 Depth=4
	s_or_b64 exec, exec, s[34:35]
.LBB2_1491:                             ;   in Loop: Header=BB2_1261 Depth=4
	s_or_b64 exec, exec, s[28:29]
	v_and_b32_e32 v2, 0xff, v27
	v_cmp_ne_u16_e32 vcc, 0, v2
	s_and_saveexec_b64 s[28:29], vcc
	s_cbranch_execz .LBB2_1497
; %bb.1492:                             ;   in Loop: Header=BB2_1261 Depth=4
	v_cmp_ne_u16_e32 vcc, s70, v2
	v_bfrev_b32_e32 v14, 1
	s_and_saveexec_b64 s[34:35], vcc
	s_cbranch_execz .LBB2_1496
; %bb.1493:                             ;   in Loop: Header=BB2_1261 Depth=4
	v_and_b32_e32 v18, 0x7f, v27
	v_cmp_ne_u32_e32 vcc, s71, v18
	v_mov_b32_e32 v14, 0x7f800001
	s_and_saveexec_b64 s[36:37], vcc
	s_cbranch_execz .LBB2_1495
; %bb.1494:                             ;   in Loop: Header=BB2_1261 Depth=4
	v_and_b32_e32 v14, 7, v2
	v_lshrrev_b32_e32 v36, 3, v18
	v_cmp_gt_u32_e32 vcc, 8, v18
	v_ffbh_u32_e32 v18, v14
	v_min_u32_e32 v48, 32, v18
	v_subrev_u32_e32 v18, 28, v48
	v_lshlrev_b64 v[18:19], v18, v[2:3]
	v_sub_u32_e32 v2, 29, v48
	v_and_b32_e32 v18, 7, v18
	v_cndmask_b32_e32 v2, v36, v2, vcc
	v_cndmask_b32_e32 v14, v14, v18, vcc
	v_lshlrev_b32_e32 v18, 24, v27
	v_lshlrev_b32_e32 v14, 20, v14
	v_and_b32_e32 v18, 0x80000000, v18
	v_lshl_add_u32 v2, v2, 23, v49
	v_or3_b32 v14, v18, v2, v14
.LBB2_1495:                             ;   in Loop: Header=BB2_1261 Depth=4
	s_or_b64 exec, exec, s[36:37]
.LBB2_1496:                             ;   in Loop: Header=BB2_1261 Depth=4
	s_or_b64 exec, exec, s[34:35]
.LBB2_1497:                             ;   in Loop: Header=BB2_1261 Depth=4
	s_or_b64 exec, exec, s[28:29]
	v_mul_f32_e32 v14, v15, v14
	v_and_b32_e32 v2, 0x7f800000, v14
	v_cmp_ne_u64_e32 vcc, s[62:63], v[2:3]
                                        ; implicit-def: $vgpr2
	s_and_saveexec_b64 s[28:29], vcc
	s_xor_b64 s[34:35], exec, s[28:29]
	s_cbranch_execz .LBB2_1515
; %bb.1498:                             ;   in Loop: Header=BB2_1261 Depth=4
	v_and_b32_e32 v2, 0x7fffffff, v14
	v_cmp_gt_u64_e32 vcc, s[72:73], v[2:3]
	v_and_b32_sdwa v27, v14, s70 dst_sel:DWORD dst_unused:UNUSED_PAD src0_sel:BYTE_3 src1_sel:DWORD
                                        ; implicit-def: $vgpr2
	s_and_saveexec_b64 s[28:29], vcc
	s_xor_b64 s[36:37], exec, s[28:29]
	s_cbranch_execz .LBB2_1512
; %bb.1499:                             ;   in Loop: Header=BB2_1261 Depth=4
	v_cmp_ne_u32_e32 vcc, 0, v14
	v_mov_b32_e32 v2, 0
	s_and_saveexec_b64 s[38:39], vcc
	s_cbranch_execz .LBB2_1511
; %bb.1500:                             ;   in Loop: Header=BB2_1261 Depth=4
	v_bfe_u32 v36, v14, 23, 8
	v_and_b32_e32 v2, 0x7fffff, v14
	v_cmp_gt_u32_e64 s[28:29], s80, v36
	v_sub_u32_e32 v14, 0x79, v36
	v_cmp_eq_u32_e32 vcc, 0, v36
	v_cndmask_b32_e64 v14, 0, v14, s[28:29]
	v_cndmask_b32_e32 v48, v14, v1, vcc
	v_or_b32_e32 v15, 0x800000, v2
	v_add_u32_e32 v14, 20, v48
	v_cndmask_b32_e32 v2, v15, v2, vcc
	v_lshlrev_b64 v[14:15], v14, -1
	v_add_u32_e32 v18, 19, v48
	v_lshlrev_b64 v[18:19], v18, 1
	v_bfi_b32 v15, v15, 0, 0
	v_bfi_b32 v14, v14, 0, v2
	v_cmp_eq_u64_e64 s[28:29], v[14:15], v[18:19]
	v_lshrrev_b64 v[14:15], v48, v[2:3]
	v_mov_b32_e32 v19, v15
	v_mov_b32_e32 v18, v14
	s_and_saveexec_b64 s[48:49], s[28:29]
; %bb.1501:                             ;   in Loop: Header=BB2_1261 Depth=4
	v_bfe_u32 v2, v14, 20, 1
	v_add_co_u32_e64 v2, s[28:29], v14, v2
	v_add_co_u32_e64 v18, s[28:29], -1, v2
; %bb.1502:                             ;   in Loop: Header=BB2_1261 Depth=4
	s_or_b64 exec, exec, s[48:49]
	v_add_u32_e32 v2, 0xffffff81, v36
	v_cndmask_b32_e32 v2, v2, v0, vcc
	v_lshrrev_b32_e32 v15, 23, v14
	v_add3_u32 v36, v48, v2, v15
	v_add_u32_e32 v19, 6, v36
	v_and_b32_e32 v2, 0xfffff, v18
	v_add_u32_e32 v2, v2, v14
	v_cmp_ne_u32_e32 vcc, 0, v19
                                        ; implicit-def: $vgpr14_vgpr15
                                        ; implicit-def: $vgpr18
	s_and_saveexec_b64 s[28:29], vcc
	s_xor_b64 s[28:29], exec, s[28:29]
; %bb.1503:                             ;   in Loop: Header=BB2_1261 Depth=4
	v_cmp_lt_u64_e32 vcc, s[88:89], v[2:3]
	v_add_u32_e32 v14, 7, v36
	v_cndmask_b32_e32 v18, v19, v14, vcc
	v_cndmask_b32_e64 v14, 0, 1, vcc
	v_lshrrev_b64 v[14:15], v14, v[2:3]
; %bb.1504:                             ;   in Loop: Header=BB2_1261 Depth=4
	s_andn2_saveexec_b64 s[28:29], s[28:29]
; %bb.1505:                             ;   in Loop: Header=BB2_1261 Depth=4
	v_mov_b32_e32 v15, v3
	v_bfe_u32 v18, v2, 23, 1
	v_mov_b32_e32 v14, v2
; %bb.1506:                             ;   in Loop: Header=BB2_1261 Depth=4
	s_or_b64 exec, exec, s[28:29]
	v_lshrrev_b64 v[14:15], 20, v[14:15]
	v_cmp_gt_i32_e32 vcc, 16, v18
	v_cndmask_b32_e32 v15, 0, v15, vcc
	v_cndmask_b32_e32 v14, 7, v14, vcc
	v_cmp_ne_u64_e32 vcc, 0, v[14:15]
	v_cmp_ne_u32_e64 s[28:29], 0, v18
	s_or_b64 s[28:29], s[28:29], vcc
                                        ; implicit-def: $vgpr2
	s_and_saveexec_b64 s[44:45], s[28:29]
	s_xor_b64 s[28:29], exec, s[44:45]
; %bb.1507:                             ;   in Loop: Header=BB2_1261 Depth=4
	v_min_i32_e32 v2, 15, v18
	v_lshl_or_b32 v2, v2, 3, v27
	v_and_or_b32 v2, v14, 7, v2
                                        ; implicit-def: $vgpr27
; %bb.1508:                             ;   in Loop: Header=BB2_1261 Depth=4
	s_andn2_saveexec_b64 s[28:29], s[28:29]
; %bb.1509:                             ;   in Loop: Header=BB2_1261 Depth=4
	v_mov_b32_e32 v2, v27
; %bb.1510:                             ;   in Loop: Header=BB2_1261 Depth=4
	s_or_b64 exec, exec, s[28:29]
.LBB2_1511:                             ;   in Loop: Header=BB2_1261 Depth=4
	s_or_b64 exec, exec, s[38:39]
                                        ; implicit-def: $vgpr27
.LBB2_1512:                             ;   in Loop: Header=BB2_1261 Depth=4
	s_andn2_saveexec_b64 s[28:29], s[36:37]
; %bb.1513:                             ;   in Loop: Header=BB2_1261 Depth=4
	v_or_b32_e32 v2, 0x7e, v27
; %bb.1514:                             ;   in Loop: Header=BB2_1261 Depth=4
	s_or_b64 exec, exec, s[28:29]
                                        ; implicit-def: $vgpr14
.LBB2_1515:                             ;   in Loop: Header=BB2_1261 Depth=4
	s_andn2_saveexec_b64 s[28:29], s[34:35]
	s_cbranch_execz .LBB2_1260
; %bb.1516:                             ;   in Loop: Header=BB2_1261 Depth=4
	v_or_b32_sdwa v2, v14, s71 dst_sel:DWORD dst_unused:UNUSED_PAD src0_sel:BYTE_3 src1_sel:DWORD
	s_branch .LBB2_1260
.LBB2_1517:                             ;   in Loop: Header=BB2_274 Depth=3
	s_or_b64 exec, exec, s[30:31]
	buffer_load_dword v56, off, s[0:3], s33 offset:148 ; 4-byte Folded Reload
	buffer_load_dword v47, off, s[0:3], s33 offset:144 ; 4-byte Folded Reload
.LBB2_1518:                             ;   in Loop: Header=BB2_274 Depth=3
	s_or_b64 exec, exec, s[94:95]
	v_lshlrev_b32_e32 v2, 9, v26
	buffer_load_dword v24, off, s[0:3], s33 offset:112 ; 4-byte Folded Reload
	buffer_load_dword v25, off, s[0:3], s33 offset:116 ; 4-byte Folded Reload
	;; [unrolled: 1-line block ×4, first 2 shown]
	v_cmp_ne_u32_e32 vcc, v21, v2
	s_and_b64 s[28:29], exec, vcc
	s_mov_b64 exec, s[28:29]
	s_cbranch_execz .LBB2_1554
; %bb.1519:                             ;   in Loop: Header=BB2_274 Depth=3
	v_add_u32_e32 v6, v30, v6
	v_and_b32_e32 v6, 0xffffffc0, v6
	v_sub_u32_e32 v6, v30, v6
	v_lshlrev_b32_e32 v4, 6, v4
	v_sub_u32_e32 v4, v6, v4
	v_add_u32_e32 v2, v2, v4
	v_sub_u32_e32 v4, v21, v2
	v_cmp_lt_i32_e32 vcc, 0, v4
	s_and_b64 exec, exec, vcc
	s_cbranch_execz .LBB2_1554
; %bb.1520:                             ;   in Loop: Header=BB2_274 Depth=3
	s_trap 2
	ds_read_b128 v[8:11], v0
	v_add_u32_e32 v2, v2, v7
	ds_read_b64 v[6:7], v0
	v_ashrrev_i32_e32 v13, 31, v2
	s_mov_b64 s[94:95], 0
	s_waitcnt lgkmcnt(0)
	v_add_co_u32_e32 v8, vcc, v8, v2
	v_addc_co_u32_e32 v9, vcc, v9, v13, vcc
	v_add_co_u32_e32 v10, vcc, v10, v2
	v_addc_co_u32_e32 v11, vcc, v11, v13, vcc
	;; [unrolled: 2-line block ×3, first 2 shown]
	s_branch .LBB2_1522
.LBB2_1521:                             ;   in Loop: Header=BB2_1522 Depth=4
	s_or_b64 exec, exec, s[28:29]
	flat_store_byte v[12:13], v2 glc slc
	buffer_load_dword v2, off, s[0:3], s33 offset:56 ; 4-byte Folded Reload
	s_waitcnt vmcnt(0)
	v_add_co_u32_e32 v8, vcc, v8, v2
	v_addc_co_u32_e32 v9, vcc, 0, v9, vcc
	v_add_co_u32_e32 v10, vcc, v10, v2
	v_addc_co_u32_e32 v11, vcc, 0, v11, vcc
	v_sub_u32_e32 v4, v4, v2
	v_cmp_gt_i32_e32 vcc, 1, v4
	s_or_b64 s[94:95], vcc, s[94:95]
	v_add_co_u32_e32 v12, vcc, v12, v2
	v_addc_co_u32_e32 v13, vcc, 0, v13, vcc
	s_andn2_b64 exec, exec, s[94:95]
	s_cbranch_execz .LBB2_1554
.LBB2_1522:                             ;   Parent Loop BB2_47 Depth=1
                                        ;     Parent Loop BB2_271 Depth=2
                                        ;       Parent Loop BB2_274 Depth=3
                                        ; =>      This Inner Loop Header: Depth=4
	flat_load_ubyte v15, v[8:9] glc slc
	flat_load_ubyte v7, v[10:11] glc slc
	v_mov_b32_e32 v6, 0
	v_mov_b32_e32 v14, 0
	s_waitcnt vmcnt(0) lgkmcnt(0)
	v_cmp_ne_u16_e32 vcc, 0, v15
	s_and_saveexec_b64 s[28:29], vcc
	s_cbranch_execz .LBB2_1528
; %bb.1523:                             ;   in Loop: Header=BB2_1522 Depth=4
	v_cmp_ne_u16_e32 vcc, s70, v15
	v_bfrev_b32_e32 v14, 1
	s_and_saveexec_b64 s[30:31], vcc
	s_cbranch_execz .LBB2_1527
; %bb.1524:                             ;   in Loop: Header=BB2_1522 Depth=4
	v_and_b32_e32 v2, 0xffff, v15
	v_and_b32_e32 v16, 0x7f, v2
	v_cmp_ne_u32_e32 vcc, s71, v16
	v_mov_b32_e32 v14, 0x7f800001
	s_and_saveexec_b64 s[34:35], vcc
	s_cbranch_execz .LBB2_1526
; %bb.1525:                             ;   in Loop: Header=BB2_1522 Depth=4
	v_and_b32_e32 v14, 7, v2
	v_lshrrev_b32_e32 v21, 3, v16
	v_cmp_gt_u32_e32 vcc, 8, v16
	v_ffbh_u32_e32 v16, v14
	v_min_u32_e32 v16, 32, v16
	v_subrev_u32_e32 v18, 28, v16
	v_lshlrev_b64 v[18:19], v18, v[2:3]
	v_sub_u32_e32 v2, 29, v16
	v_and_b32_e32 v16, 7, v18
	v_cndmask_b32_e32 v2, v21, v2, vcc
	v_cndmask_b32_e32 v14, v14, v16, vcc
	v_lshlrev_b32_e32 v15, 24, v15
	v_lshlrev_b32_e32 v14, 20, v14
	v_and_b32_e32 v15, 0x80000000, v15
	v_lshl_add_u32 v2, v2, 23, v49
	v_or3_b32 v14, v15, v2, v14
.LBB2_1526:                             ;   in Loop: Header=BB2_1522 Depth=4
	s_or_b64 exec, exec, s[34:35]
.LBB2_1527:                             ;   in Loop: Header=BB2_1522 Depth=4
	s_or_b64 exec, exec, s[30:31]
.LBB2_1528:                             ;   in Loop: Header=BB2_1522 Depth=4
	s_or_b64 exec, exec, s[28:29]
	v_and_b32_e32 v2, 0xff, v7
	v_cmp_ne_u16_e32 vcc, 0, v2
	s_and_saveexec_b64 s[28:29], vcc
	s_cbranch_execz .LBB2_1534
; %bb.1529:                             ;   in Loop: Header=BB2_1522 Depth=4
	v_cmp_ne_u16_e32 vcc, s70, v2
	v_bfrev_b32_e32 v6, 1
	s_and_saveexec_b64 s[30:31], vcc
	s_cbranch_execz .LBB2_1533
; %bb.1530:                             ;   in Loop: Header=BB2_1522 Depth=4
	v_and_b32_e32 v15, 0x7f, v7
	v_cmp_ne_u32_e32 vcc, s71, v15
	v_mov_b32_e32 v6, 0x7f800001
	s_and_saveexec_b64 s[34:35], vcc
	s_cbranch_execz .LBB2_1532
; %bb.1531:                             ;   in Loop: Header=BB2_1522 Depth=4
	v_and_b32_e32 v16, 7, v2
	v_lshlrev_b32_e32 v6, 24, v7
	v_and_b32_e32 v19, 0x80000000, v6
	v_ffbh_u32_e32 v6, v16
	v_lshrrev_b32_e32 v18, 3, v15
	v_cmp_gt_u32_e32 vcc, 8, v15
	v_min_u32_e32 v15, 32, v6
	v_subrev_u32_e32 v6, 28, v15
	v_lshlrev_b64 v[6:7], v6, v[2:3]
	v_sub_u32_e32 v2, 29, v15
	v_and_b32_e32 v6, 7, v6
	v_cndmask_b32_e32 v2, v18, v2, vcc
	v_cndmask_b32_e32 v6, v16, v6, vcc
	v_lshlrev_b32_e32 v6, 20, v6
	v_lshl_add_u32 v2, v2, 23, v49
	v_or3_b32 v6, v19, v2, v6
.LBB2_1532:                             ;   in Loop: Header=BB2_1522 Depth=4
	s_or_b64 exec, exec, s[34:35]
.LBB2_1533:                             ;   in Loop: Header=BB2_1522 Depth=4
	s_or_b64 exec, exec, s[30:31]
.LBB2_1534:                             ;   in Loop: Header=BB2_1522 Depth=4
	s_or_b64 exec, exec, s[28:29]
	v_mul_f32_e32 v7, v14, v6
	v_and_b32_e32 v2, 0x7f800000, v7
	v_cmp_ne_u64_e32 vcc, s[62:63], v[2:3]
                                        ; implicit-def: $vgpr2
	s_and_saveexec_b64 s[28:29], vcc
	s_xor_b64 s[30:31], exec, s[28:29]
	s_cbranch_execz .LBB2_1552
; %bb.1535:                             ;   in Loop: Header=BB2_1522 Depth=4
	v_and_b32_e32 v2, 0x7fffffff, v7
	v_cmp_gt_u64_e32 vcc, s[72:73], v[2:3]
	v_and_b32_sdwa v6, v7, s70 dst_sel:DWORD dst_unused:UNUSED_PAD src0_sel:BYTE_3 src1_sel:DWORD
                                        ; implicit-def: $vgpr2
	s_and_saveexec_b64 s[28:29], vcc
	s_xor_b64 s[34:35], exec, s[28:29]
	s_cbranch_execz .LBB2_1549
; %bb.1536:                             ;   in Loop: Header=BB2_1522 Depth=4
	v_cmp_ne_u32_e32 vcc, 0, v7
	v_mov_b32_e32 v2, 0
	s_and_saveexec_b64 s[36:37], vcc
	s_cbranch_execz .LBB2_1548
; %bb.1537:                             ;   in Loop: Header=BB2_1522 Depth=4
	v_and_b32_e32 v2, 0x7fffff, v7
	v_bfe_u32 v7, v7, 23, 8
	v_cmp_gt_u32_e64 s[28:29], s80, v7
	v_sub_u32_e32 v14, 0x79, v7
	v_cmp_eq_u32_e32 vcc, 0, v7
	v_cndmask_b32_e64 v14, 0, v14, s[28:29]
	v_cndmask_b32_e32 v16, v14, v1, vcc
	v_or_b32_e32 v15, 0x800000, v2
	v_add_u32_e32 v14, 20, v16
	v_cndmask_b32_e32 v2, v15, v2, vcc
	v_lshlrev_b64 v[14:15], v14, -1
	v_add_u32_e32 v18, 19, v16
	v_lshlrev_b64 v[18:19], v18, 1
	v_bfi_b32 v15, v15, 0, 0
	v_bfi_b32 v14, v14, 0, v2
	v_cmp_eq_u64_e64 s[28:29], v[14:15], v[18:19]
	v_lshrrev_b64 v[14:15], v16, v[2:3]
	v_mov_b32_e32 v19, v15
	v_mov_b32_e32 v18, v14
	s_and_saveexec_b64 s[38:39], s[28:29]
; %bb.1538:                             ;   in Loop: Header=BB2_1522 Depth=4
	v_bfe_u32 v2, v14, 20, 1
	v_add_co_u32_e64 v2, s[28:29], v14, v2
	v_add_co_u32_e64 v18, s[28:29], -1, v2
; %bb.1539:                             ;   in Loop: Header=BB2_1522 Depth=4
	s_or_b64 exec, exec, s[38:39]
	v_add_u32_e32 v2, 0xffffff81, v7
	v_cndmask_b32_e32 v2, v2, v0, vcc
	v_lshrrev_b32_e32 v7, 23, v14
	v_add3_u32 v19, v16, v2, v7
	v_add_u32_e32 v16, 6, v19
	v_and_b32_e32 v2, 0xfffff, v18
	v_add_u32_e32 v2, v2, v14
	v_cmp_ne_u32_e32 vcc, 0, v16
                                        ; implicit-def: $vgpr14_vgpr15
                                        ; implicit-def: $vgpr7
	s_and_saveexec_b64 s[28:29], vcc
	s_xor_b64 s[28:29], exec, s[28:29]
; %bb.1540:                             ;   in Loop: Header=BB2_1522 Depth=4
	v_cmp_lt_u64_e32 vcc, s[88:89], v[2:3]
	v_add_u32_e32 v7, 7, v19
	v_cndmask_b32_e64 v14, 0, 1, vcc
	v_cndmask_b32_e32 v7, v16, v7, vcc
	v_lshrrev_b64 v[14:15], v14, v[2:3]
; %bb.1541:                             ;   in Loop: Header=BB2_1522 Depth=4
	s_andn2_saveexec_b64 s[28:29], s[28:29]
; %bb.1542:                             ;   in Loop: Header=BB2_1522 Depth=4
	v_mov_b32_e32 v15, v3
	v_bfe_u32 v7, v2, 23, 1
	v_mov_b32_e32 v14, v2
; %bb.1543:                             ;   in Loop: Header=BB2_1522 Depth=4
	s_or_b64 exec, exec, s[28:29]
	v_lshrrev_b64 v[14:15], 20, v[14:15]
	v_cmp_gt_i32_e32 vcc, 16, v7
	v_cndmask_b32_e32 v15, 0, v15, vcc
	v_cndmask_b32_e32 v14, 7, v14, vcc
	v_cmp_ne_u64_e32 vcc, 0, v[14:15]
	v_cmp_ne_u32_e64 s[28:29], 0, v7
	s_or_b64 s[28:29], s[28:29], vcc
                                        ; implicit-def: $vgpr2
	s_and_saveexec_b64 s[44:45], s[28:29]
	s_xor_b64 s[28:29], exec, s[44:45]
; %bb.1544:                             ;   in Loop: Header=BB2_1522 Depth=4
	v_min_i32_e32 v2, 15, v7
	v_lshl_or_b32 v2, v2, 3, v6
	v_and_or_b32 v2, v14, 7, v2
                                        ; implicit-def: $vgpr6
; %bb.1545:                             ;   in Loop: Header=BB2_1522 Depth=4
	s_andn2_saveexec_b64 s[28:29], s[28:29]
; %bb.1546:                             ;   in Loop: Header=BB2_1522 Depth=4
	v_mov_b32_e32 v2, v6
; %bb.1547:                             ;   in Loop: Header=BB2_1522 Depth=4
	s_or_b64 exec, exec, s[28:29]
.LBB2_1548:                             ;   in Loop: Header=BB2_1522 Depth=4
	s_or_b64 exec, exec, s[36:37]
                                        ; implicit-def: $vgpr6
.LBB2_1549:                             ;   in Loop: Header=BB2_1522 Depth=4
	s_andn2_saveexec_b64 s[28:29], s[34:35]
; %bb.1550:                             ;   in Loop: Header=BB2_1522 Depth=4
	v_or_b32_e32 v2, 0x7e, v6
; %bb.1551:                             ;   in Loop: Header=BB2_1522 Depth=4
	s_or_b64 exec, exec, s[28:29]
                                        ; implicit-def: $vgpr7
.LBB2_1552:                             ;   in Loop: Header=BB2_1522 Depth=4
	s_andn2_saveexec_b64 s[28:29], s[30:31]
	s_cbranch_execz .LBB2_1521
; %bb.1553:                             ;   in Loop: Header=BB2_1522 Depth=4
	v_or_b32_sdwa v2, v7, s71 dst_sel:DWORD dst_unused:UNUSED_PAD src0_sel:BYTE_3 src1_sel:DWORD
	s_branch .LBB2_1521
.LBB2_1554:                             ;   in Loop: Header=BB2_274 Depth=3
	s_or_b64 exec, exec, s[40:41]
	v_cmp_lt_i32_e64 s[28:29], 0, v37
	s_and_saveexec_b64 s[40:41], s[10:11]
	s_cbranch_execz .LBB2_1573
.LBB2_1555:                             ;   in Loop: Header=BB2_274 Depth=3
	s_and_saveexec_b64 s[44:45], s[58:59]
	s_xor_b64 s[94:95], exec, s[44:45]
	s_cbranch_execz .LBB2_1570
; %bb.1556:                             ;   in Loop: Header=BB2_274 Depth=3
	s_and_saveexec_b64 s[30:31], s[16:17]
	s_cbranch_execz .LBB2_1569
; %bb.1557:                             ;   in Loop: Header=BB2_274 Depth=3
	s_mov_b64 s[36:37], exec
	s_waitcnt vmcnt(0)
	v_mbcnt_lo_u32_b32 v2, s36, 0
	v_mbcnt_hi_u32_b32 v2, s37, v2
	v_cmp_eq_u32_e32 vcc, 0, v2
	s_waitcnt lgkmcnt(0)
	buffer_wbinvl1_vol
	s_and_saveexec_b64 s[34:35], vcc
	s_cbranch_execz .LBB2_1559
; %bb.1558:                             ;   in Loop: Header=BB2_274 Depth=3
	s_bcnt1_i32_b64 s44, s[36:37]
	v_mov_b32_e32 v2, s44
	ds_add_u64 v0, v[2:3]
	s_trap 2
.LBB2_1559:                             ;   in Loop: Header=BB2_274 Depth=3
	s_or_b64 exec, exec, s[34:35]
	s_trap 2
	ds_read_b64 v[6:7], v0
	s_waitcnt lgkmcnt(0)
	v_add_co_u32_e32 v28, vcc, v28, v17
	v_addc_co_u32_e32 v29, vcc, 0, v29, vcc
	v_cmp_lt_u64_e32 vcc, v[6:7], v[28:29]
	s_and_saveexec_b64 s[34:35], vcc
	s_cbranch_execz .LBB2_1568
; %bb.1560:                             ;   in Loop: Header=BB2_274 Depth=3
	s_mov_b32 s44, 0
	s_mov_b64 s[36:37], 0
                                        ; implicit-def: $sgpr38_sgpr39
                                        ; implicit-def: $sgpr48_sgpr49
	s_branch .LBB2_1562
.LBB2_1561:                             ;   in Loop: Header=BB2_1562 Depth=4
	s_or_b64 exec, exec, s[52:53]
	s_and_b64 vcc, exec, vcc
	s_or_b64 s[36:37], vcc, s[36:37]
	s_andn2_b64 vcc, s[38:39], exec
	s_and_b64 s[38:39], s[48:49], exec
	s_or_b64 s[38:39], vcc, s[38:39]
	s_andn2_b64 exec, exec, s[36:37]
	s_cbranch_execz .LBB2_1566
.LBB2_1562:                             ;   Parent Loop BB2_47 Depth=1
                                        ;     Parent Loop BB2_271 Depth=2
                                        ;       Parent Loop BB2_274 Depth=3
                                        ; =>      This Inner Loop Header: Depth=4
	s_add_i32 s44, s44, 1
	s_cmpk_lg_i32 s44, 0x2710
	s_cselect_b64 s[50:51], -1, 0
	s_and_b64 vcc, exec, s[50:51]
	s_cbranch_vccz .LBB2_1564
; %bb.1563:                             ;   in Loop: Header=BB2_1562 Depth=4
	s_mov_b64 vcc, -1
	s_or_b64 s[48:49], s[48:49], exec
	s_and_saveexec_b64 s[52:53], s[50:51]
	s_cbranch_execz .LBB2_1561
	s_branch .LBB2_1565
.LBB2_1564:                             ;   in Loop: Header=BB2_1562 Depth=4
	s_trap 2
	ds_read_b64 v[6:7], v0
	s_andn2_b64 s[50:51], s[50:51], exec
	s_mov_b32 s44, 0
	s_waitcnt lgkmcnt(0)
	flat_load_dword v2, v[6:7] glc
	s_waitcnt vmcnt(0) lgkmcnt(0)
	buffer_wbinvl1_vol
	v_cmp_eq_u32_e32 vcc, 0, v2
	s_and_b64 vcc, vcc, exec
	s_or_b64 s[50:51], s[50:51], vcc
	s_mov_b64 vcc, -1
	s_or_b64 s[48:49], s[48:49], exec
	s_and_saveexec_b64 s[52:53], s[50:51]
	s_cbranch_execz .LBB2_1561
.LBB2_1565:                             ;   in Loop: Header=BB2_1562 Depth=4
	s_sleep 1
	s_trap 2
	ds_read_b64 v[6:7], v0
	s_waitcnt lgkmcnt(0)
	s_andn2_b64 s[48:49], s[48:49], exec
	v_cmp_ge_u64_e32 vcc, v[6:7], v[28:29]
	s_orn2_b64 vcc, vcc, exec
	s_branch .LBB2_1561
.LBB2_1566:                             ;   in Loop: Header=BB2_274 Depth=3
	s_or_b64 exec, exec, s[36:37]
	s_and_saveexec_b64 s[44:45], s[38:39]
	s_xor_b64 s[44:45], exec, s[44:45]
	s_cbranch_execz .LBB2_1568
; %bb.1567:                             ;   in Loop: Header=BB2_274 Depth=3
	v_mov_b32_e32 v2, 1
	ds_write_b32 v0, v2
	s_trap 2
.LBB2_1568:                             ;   in Loop: Header=BB2_274 Depth=3
	s_or_b64 exec, exec, s[34:35]
	;;#ASMSTART
	s_wakeup
	;;#ASMEND
.LBB2_1569:                             ;   in Loop: Header=BB2_274 Depth=3
	s_or_b64 exec, exec, s[30:31]
.LBB2_1570:                             ;   in Loop: Header=BB2_274 Depth=3
	s_andn2_saveexec_b64 s[94:95], s[94:95]
	s_cbranch_execz .LBB2_1572
; %bb.1571:                             ;   in Loop: Header=BB2_274 Depth=3
	s_waitcnt vmcnt(0) lgkmcnt(0)
	buffer_wbinvl1_vol
	s_barrier
.LBB2_1572:                             ;   in Loop: Header=BB2_274 Depth=3
	s_or_b64 exec, exec, s[94:95]
.LBB2_1573:                             ;   in Loop: Header=BB2_274 Depth=3
	s_or_b64 exec, exec, s[40:41]
	v_and_b32_e32 v4, 16, v20
	s_and_saveexec_b64 s[40:41], s[24:25]
	s_xor_b64 s[40:41], exec, s[40:41]
	s_cbranch_execz .LBB2_1577
; %bb.1574:                             ;   in Loop: Header=BB2_274 Depth=3
	s_waitcnt vmcnt(0)
	v_and_b32_e32 v2, 16, v20
	v_cmp_ne_u32_e32 vcc, 0, v2
	v_and_b32_e32 v4, 16, v20
	s_and_b64 s[44:45], vcc, s[28:29]
	s_and_saveexec_b64 s[28:29], s[44:45]
	s_cbranch_execz .LBB2_1576
; %bb.1575:                             ;   in Loop: Header=BB2_274 Depth=3
	v_mov_b32_e32 v4, 1
	s_waitcnt lgkmcnt(0)
	buffer_wbinvl1_vol
.LBB2_1576:                             ;   in Loop: Header=BB2_274 Depth=3
	s_or_b64 exec, exec, s[28:29]
.LBB2_1577:                             ;   in Loop: Header=BB2_274 Depth=3
	s_andn2_saveexec_b64 s[28:29], s[40:41]
	s_cbranch_execz .LBB2_1596
; %bb.1578:                             ;   in Loop: Header=BB2_274 Depth=3
	s_and_saveexec_b64 s[40:41], s[58:59]
	s_xor_b64 s[40:41], exec, s[40:41]
	s_cbranch_execz .LBB2_1593
; %bb.1579:                             ;   in Loop: Header=BB2_274 Depth=3
	s_and_saveexec_b64 s[94:95], s[16:17]
	s_cbranch_execz .LBB2_1592
; %bb.1580:                             ;   in Loop: Header=BB2_274 Depth=3
	s_mov_b64 s[34:35], exec
	s_waitcnt vmcnt(0)
	v_mbcnt_lo_u32_b32 v2, s34, 0
	v_mbcnt_hi_u32_b32 v2, s35, v2
	v_cmp_eq_u32_e32 vcc, 0, v2
	;;#ASMSTART
	s_waitcnt lgkmcnt(0) vmcnt(0)
	;;#ASMEND
	s_and_saveexec_b64 s[30:31], vcc
	s_cbranch_execz .LBB2_1582
; %bb.1581:                             ;   in Loop: Header=BB2_274 Depth=3
	s_bcnt1_i32_b64 s44, s[34:35]
	v_mov_b32_e32 v2, s44
	s_waitcnt lgkmcnt(0)
	ds_add_u64 v0, v[2:3]
	s_trap 2
.LBB2_1582:                             ;   in Loop: Header=BB2_274 Depth=3
	s_or_b64 exec, exec, s[30:31]
	s_trap 2
	ds_read_b64 v[6:7], v0
	s_waitcnt lgkmcnt(0)
	v_add_co_u32_e32 v28, vcc, v28, v17
	v_addc_co_u32_e32 v29, vcc, 0, v29, vcc
	v_cmp_lt_u64_e32 vcc, v[6:7], v[28:29]
	s_and_saveexec_b64 s[30:31], vcc
	s_cbranch_execz .LBB2_1591
; %bb.1583:                             ;   in Loop: Header=BB2_274 Depth=3
	s_mov_b32 s44, 0
	s_mov_b64 s[34:35], 0
                                        ; implicit-def: $sgpr36_sgpr37
                                        ; implicit-def: $sgpr38_sgpr39
	s_branch .LBB2_1585
.LBB2_1584:                             ;   in Loop: Header=BB2_1585 Depth=4
	s_or_b64 exec, exec, s[50:51]
	s_and_b64 vcc, exec, vcc
	s_or_b64 s[34:35], vcc, s[34:35]
	s_andn2_b64 vcc, s[36:37], exec
	s_and_b64 s[36:37], s[38:39], exec
	s_or_b64 s[36:37], vcc, s[36:37]
	s_andn2_b64 exec, exec, s[34:35]
	s_cbranch_execz .LBB2_1589
.LBB2_1585:                             ;   Parent Loop BB2_47 Depth=1
                                        ;     Parent Loop BB2_271 Depth=2
                                        ;       Parent Loop BB2_274 Depth=3
                                        ; =>      This Inner Loop Header: Depth=4
	s_add_i32 s44, s44, 1
	s_cmpk_lg_i32 s44, 0x2710
	s_cselect_b64 s[48:49], -1, 0
	s_and_b64 vcc, exec, s[48:49]
	s_cbranch_vccz .LBB2_1587
; %bb.1586:                             ;   in Loop: Header=BB2_1585 Depth=4
	s_mov_b64 vcc, -1
	s_or_b64 s[38:39], s[38:39], exec
	s_and_saveexec_b64 s[50:51], s[48:49]
	s_cbranch_execz .LBB2_1584
	s_branch .LBB2_1588
.LBB2_1587:                             ;   in Loop: Header=BB2_1585 Depth=4
	s_trap 2
	ds_read_b64 v[6:7], v0
	s_andn2_b64 s[48:49], s[48:49], exec
	s_mov_b32 s44, 0
	s_waitcnt lgkmcnt(0)
	flat_load_dword v2, v[6:7] glc
	s_waitcnt vmcnt(0) lgkmcnt(0)
	buffer_wbinvl1_vol
	v_cmp_eq_u32_e32 vcc, 0, v2
	s_and_b64 vcc, vcc, exec
	s_or_b64 s[48:49], s[48:49], vcc
	s_mov_b64 vcc, -1
	s_or_b64 s[38:39], s[38:39], exec
	s_and_saveexec_b64 s[50:51], s[48:49]
	s_cbranch_execz .LBB2_1584
.LBB2_1588:                             ;   in Loop: Header=BB2_1585 Depth=4
	s_sleep 1
	s_trap 2
	ds_read_b64 v[6:7], v0
	s_waitcnt lgkmcnt(0)
	s_andn2_b64 s[38:39], s[38:39], exec
	v_cmp_ge_u64_e32 vcc, v[6:7], v[28:29]
	s_orn2_b64 vcc, vcc, exec
	s_branch .LBB2_1584
.LBB2_1589:                             ;   in Loop: Header=BB2_274 Depth=3
	s_or_b64 exec, exec, s[34:35]
	s_and_saveexec_b64 s[44:45], s[36:37]
	s_xor_b64 s[44:45], exec, s[44:45]
	s_cbranch_execz .LBB2_1591
; %bb.1590:                             ;   in Loop: Header=BB2_274 Depth=3
	v_mov_b32_e32 v2, 1
	ds_write_b32 v0, v2
	s_trap 2
.LBB2_1591:                             ;   in Loop: Header=BB2_274 Depth=3
	s_or_b64 exec, exec, s[30:31]
	;;#ASMSTART
	s_wakeup
	;;#ASMEND
.LBB2_1592:                             ;   in Loop: Header=BB2_274 Depth=3
	s_or_b64 exec, exec, s[94:95]
.LBB2_1593:                             ;   in Loop: Header=BB2_274 Depth=3
	s_andn2_saveexec_b64 s[40:41], s[40:41]
	s_cbranch_execz .LBB2_1595
; %bb.1594:                             ;   in Loop: Header=BB2_274 Depth=3
	;;#ASMSTART
	s_waitcnt lgkmcnt(0) vmcnt(0)
	;;#ASMEND
	s_waitcnt vmcnt(0) lgkmcnt(0)
	s_barrier
.LBB2_1595:                             ;   in Loop: Header=BB2_274 Depth=3
	s_or_b64 exec, exec, s[40:41]
.LBB2_1596:                             ;   in Loop: Header=BB2_274 Depth=3
	s_or_b64 exec, exec, s[28:29]
	v_cmp_ne_u32_e32 vcc, 0, v4
	s_xor_b64 s[28:29], s[12:13], -1
	s_and_b64 s[40:41], vcc, s[28:29]
	s_and_saveexec_b64 s[28:29], s[40:41]
	s_cbranch_execz .LBB2_1598
; %bb.1597:                             ;   in Loop: Header=BB2_274 Depth=3
	buffer_load_dword v6, off, s[0:3], s33 offset:80 ; 4-byte Folded Reload
	buffer_load_dword v7, off, s[0:3], s33 offset:84 ; 4-byte Folded Reload
	s_waitcnt vmcnt(0)
	v_mov_b32_e32 v2, 1
	flat_store_dword v[6:7], v2
.LBB2_1598:                             ;   in Loop: Header=BB2_274 Depth=3
	s_or_b64 exec, exec, s[28:29]
	s_waitcnt vmcnt(0)
	v_and_b32_e32 v2, 48, v20
	v_cmp_ne_u32_e32 vcc, 0, v2
	s_and_saveexec_b64 s[28:29], vcc
	s_cbranch_execz .LBB2_273
; %bb.1599:                             ;   in Loop: Header=BB2_274 Depth=3
	v_add_co_u32_e32 v50, vcc, 2, v50
	v_addc_co_u32_e32 v51, vcc, 0, v51, vcc
	flat_store_dwordx2 v[22:23], v[50:51]
	s_branch .LBB2_273
.LBB2_1600:                             ;   in Loop: Header=BB2_271 Depth=2
	s_or_b64 exec, exec, s[90:91]
.LBB2_1601:                             ;   in Loop: Header=BB2_271 Depth=2
	s_or_b64 exec, exec, s[42:43]
	v_cmp_gt_i32_e32 vcc, 2, v2
	s_and_saveexec_b64 s[40:41], vcc
	s_cbranch_execz .LBB2_270
; %bb.1602:                             ;   in Loop: Header=BB2_271 Depth=2
	v_cmp_eq_u32_e64 s[90:91], 0, v2
	s_mov_b64 s[42:43], 0
	s_branch .LBB2_1604
.LBB2_1603:                             ;   in Loop: Header=BB2_1604 Depth=3
	s_or_b64 exec, exec, s[28:29]
	v_add_u32_e32 v53, v54, v53
	s_mov_b64 s[90:91], 0
	s_andn2_b64 exec, exec, s[42:43]
	s_cbranch_execz .LBB2_269
.LBB2_1604:                             ;   Parent Loop BB2_47 Depth=1
                                        ;     Parent Loop BB2_271 Depth=2
                                        ; =>    This Loop Header: Depth=3
                                        ;         Child Loop BB2_1610 Depth 4
                                        ;         Child Loop BB2_1638 Depth 4
	;; [unrolled: 1-line block ×3, first 2 shown]
	v_sub_u32_e32 v2, v31, v53
	v_min_i32_e32 v54, v54, v2
	v_and_b32_e32 v2, 12, v20
	v_cmp_ne_u32_e32 vcc, 0, v2
	s_and_saveexec_b64 s[92:93], vcc
	s_cbranch_execz .LBB2_1630
; %bb.1605:                             ;   in Loop: Header=BB2_1604 Depth=3
	v_and_b32_e32 v2, 8, v20
	s_waitcnt lgkmcnt(0)
	v_add_co_u32_e32 v6, vcc, v32, v2
	v_addc_co_u32_e32 v7, vcc, 0, v33, vcc
	v_add_co_u32_e32 v8, vcc, 2, v50
	v_addc_co_u32_e32 v9, vcc, 0, v51, vcc
	v_cmp_lt_u64_e32 vcc, v[6:7], v[8:9]
	s_and_saveexec_b64 s[94:95], vcc
	s_cbranch_execz .LBB2_1617
; %bb.1606:                             ;   in Loop: Header=BB2_1604 Depth=3
	v_and_b32_e32 v4, 64, v20
	s_mov_b32 s44, 0
	v_cmp_eq_u32_e32 vcc, 0, v4
	s_mov_b64 s[30:31], 0
                                        ; implicit-def: $sgpr34_sgpr35
                                        ; implicit-def: $sgpr36_sgpr37
                                        ; implicit-def: $sgpr38_sgpr39
	s_branch .LBB2_1610
.LBB2_1607:                             ;   in Loop: Header=BB2_1610 Depth=4
	s_waitcnt vmcnt(0) lgkmcnt(0)
	v_add_co_u32_e64 v6, s[28:29], v32, v2
	v_addc_co_u32_e64 v7, s[28:29], 0, v33, s[28:29]
	v_cmp_ge_u64_e64 s[28:29], v[6:7], v[8:9]
	s_or_b64 s[52:53], s[52:53], exec
	s_orn2_b64 s[50:51], s[28:29], exec
.LBB2_1608:                             ;   in Loop: Header=BB2_1610 Depth=4
	s_or_b64 exec, exec, s[64:65]
	s_andn2_b64 s[28:29], s[38:39], exec
	s_and_b64 s[38:39], s[52:53], exec
	s_or_b64 s[38:39], s[28:29], s[38:39]
	s_andn2_b64 s[28:29], s[36:37], exec
	s_and_b64 s[36:37], s[50:51], exec
	s_or_b64 s[36:37], s[28:29], s[36:37]
.LBB2_1609:                             ;   in Loop: Header=BB2_1610 Depth=4
	s_or_b64 exec, exec, s[48:49]
	s_and_b64 s[28:29], exec, s[36:37]
	s_or_b64 s[30:31], s[28:29], s[30:31]
	s_andn2_b64 s[28:29], s[34:35], exec
	s_and_b64 s[34:35], s[38:39], exec
	s_or_b64 s[34:35], s[28:29], s[34:35]
	s_andn2_b64 exec, exec, s[30:31]
	s_cbranch_execz .LBB2_1614
.LBB2_1610:                             ;   Parent Loop BB2_47 Depth=1
                                        ;     Parent Loop BB2_271 Depth=2
                                        ;       Parent Loop BB2_1604 Depth=3
                                        ; =>      This Inner Loop Header: Depth=4
	s_sleep 1
	s_waitcnt vmcnt(0) lgkmcnt(0)
	flat_load_dwordx2 v[32:33], v[22:23] glc
	s_or_b64 s[38:39], s[38:39], exec
	s_or_b64 s[36:37], s[36:37], exec
                                        ; implicit-def: $vgpr4
	s_and_saveexec_b64 s[48:49], vcc
	s_cbranch_execz .LBB2_1609
; %bb.1611:                             ;   in Loop: Header=BB2_1610 Depth=4
	s_cmpk_lt_i32 s44, 0x270f
	s_cselect_b64 s[54:55], -1, 0
	s_cmpk_gt_i32 s44, 0x270e
	s_mov_b64 s[50:51], -1
	s_cbranch_scc0 .LBB2_1613
; %bb.1612:                             ;   in Loop: Header=BB2_1610 Depth=4
	s_trap 2
	ds_read_b64 v[6:7], v0
	s_andn2_b64 s[54:55], s[54:55], exec
	s_mov_b32 s44, 0
	s_mov_b64 s[52:53], 0
	s_waitcnt vmcnt(0) lgkmcnt(0)
	flat_load_dword v4, v[6:7] glc
	s_waitcnt vmcnt(0) lgkmcnt(0)
	buffer_wbinvl1_vol
	v_cmp_eq_u32_e64 s[28:29], 0, v4
	s_and_b64 s[28:29], s[28:29], exec
	s_or_b64 s[54:55], s[54:55], s[28:29]
	s_and_saveexec_b64 s[64:65], s[54:55]
	s_cbranch_execz .LBB2_1608
	s_branch .LBB2_1607
.LBB2_1613:                             ;   in Loop: Header=BB2_1610 Depth=4
	s_add_i32 s44, s44, 1
	s_mov_b64 s[52:53], -1
                                        ; implicit-def: $vgpr4
	s_and_saveexec_b64 s[64:65], s[54:55]
	s_cbranch_execz .LBB2_1608
	s_branch .LBB2_1607
.LBB2_1614:                             ;   in Loop: Header=BB2_1604 Depth=3
	s_or_b64 exec, exec, s[30:31]
	s_xor_b64 s[28:29], s[34:35], -1
	s_and_saveexec_b64 s[44:45], s[28:29]
	s_xor_b64 s[28:29], exec, s[44:45]
	s_cbranch_execz .LBB2_1616
; %bb.1615:                             ;   in Loop: Header=BB2_1604 Depth=3
	v_or_b32_e32 v20, 64, v20
	s_waitcnt lgkmcnt(0)
	ds_write_b32 v0, v4
	s_trap 2
.LBB2_1616:                             ;   in Loop: Header=BB2_1604 Depth=3
	s_or_b64 exec, exec, s[28:29]
.LBB2_1617:                             ;   in Loop: Header=BB2_1604 Depth=3
	s_or_b64 exec, exec, s[94:95]
	v_and_b32_e32 v4, 0x108, v20
	v_cmp_ne_u32_e32 vcc, s69, v4
	;;#ASMSTART
	s_wakeup
	;;#ASMEND
	s_and_saveexec_b64 s[28:29], vcc
	s_xor_b64 s[28:29], exec, s[28:29]
                                        ; implicit-def: $vgpr4
; %bb.1618:                             ;   in Loop: Header=BB2_1604 Depth=3
	v_and_b32_e32 v4, 7, v50
                                        ; implicit-def: $vgpr50_vgpr51
; %bb.1619:                             ;   in Loop: Header=BB2_1604 Depth=3
	s_andn2_saveexec_b64 s[28:29], s[28:29]
	s_cbranch_execz .LBB2_1621
; %bb.1620:                             ;   in Loop: Header=BB2_1604 Depth=3
	v_and_b32_e32 v4, 7, v50
	v_mad_u64_u32 v[6:7], s[44:45], v4, 24, v[24:25]
	v_ashrrev_i32_e32 v55, 31, v54
	flat_store_dwordx2 v[6:7], v[54:55] offset:8
.LBB2_1621:                             ;   in Loop: Header=BB2_1604 Depth=3
	s_or_b64 exec, exec, s[28:29]
	v_and_b32_e32 v6, 0x100, v20
	v_cmp_ne_u32_e32 vcc, 0, v6
	s_mov_b64 s[28:29], -1
                                        ; implicit-def: $vgpr10_vgpr11
	s_and_saveexec_b64 s[94:95], vcc
	s_cbranch_execz .LBB2_1625
; %bb.1622:                             ;   in Loop: Header=BB2_1604 Depth=3
	v_mad_u64_u32 v[12:13], s[28:29], v4, 24, v[24:25]
                                        ; implicit-def: $vgpr10_vgpr11
	v_mov_b32_e32 v6, v13
	v_mad_u64_u32 v[6:7], s[28:29], v3, 24, v[6:7]
	v_mov_b32_e32 v13, v6
	flat_load_dword v6, v[12:13]
	s_waitcnt vmcnt(0) lgkmcnt(0)
	v_cmp_ne_u32_e32 vcc, 1, v6
	v_cmp_eq_u32_e64 s[28:29], 1, v6
	s_and_saveexec_b64 s[30:31], s[28:29]
	s_cbranch_execz .LBB2_1624
; %bb.1623:                             ;   in Loop: Header=BB2_1604 Depth=3
	flat_load_dword v10, v[12:13] offset:4 glc
	s_waitcnt vmcnt(0) lgkmcnt(0)
	v_ashrrev_i32_e32 v11, 31, v10
.LBB2_1624:                             ;   in Loop: Header=BB2_1604 Depth=3
	s_or_b64 exec, exec, s[30:31]
	s_orn2_b64 s[28:29], vcc, exec
.LBB2_1625:                             ;   in Loop: Header=BB2_1604 Depth=3
	s_or_b64 exec, exec, s[94:95]
	s_and_saveexec_b64 s[94:95], s[28:29]
	s_cbranch_execz .LBB2_1627
; %bb.1626:                             ;   in Loop: Header=BB2_1604 Depth=3
	buffer_load_dword v7, off, s[0:3], s33 offset:104 ; 4-byte Folded Reload
	v_mul_lo_u32 v6, v3, v47
	v_mad_u64_u32 v[10:11], s[28:29], v4, v47, 0
	s_waitcnt vmcnt(0)
	v_mul_lo_u32 v7, v4, v7
	v_add3_u32 v11, v11, v7, v6
.LBB2_1627:                             ;   in Loop: Header=BB2_1604 Depth=3
	s_or_b64 exec, exec, s[94:95]
	buffer_load_dword v6, off, s[0:3], s33 offset:72 ; 4-byte Folded Reload
	buffer_load_dword v7, off, s[0:3], s33 offset:76 ; 4-byte Folded Reload
	v_cmp_eq_u32_e32 vcc, 0, v2
	v_mov_b32_e32 v2, 0xc8
	v_mov_b32_e32 v4, 0x90
	v_cndmask_b32_e32 v2, v2, v4, vcc
	v_add_u32_e32 v2, v0, v2
	s_waitcnt vmcnt(0)
	v_add_co_u32_e32 v6, vcc, v6, v10
	v_addc_co_u32_e32 v7, vcc, v7, v11, vcc
	ds_write_b64 v2, v[6:7] offset:584
	v_and_b32_e32 v2, 0x2000, v20
	v_cmp_ne_u32_e32 vcc, 0, v2
	s_and_saveexec_b64 s[28:29], vcc
	s_cbranch_execz .LBB2_1629
; %bb.1628:                             ;   in Loop: Header=BB2_1604 Depth=3
	ds_read_b64 v[6:7], v0 offset:872
	s_waitcnt lgkmcnt(0)
	v_add_co_u32_e32 v6, vcc, 1, v6
	v_addc_co_u32_e32 v7, vcc, 0, v7, vcc
	ds_write_b64 v0, v[6:7] offset:872
.LBB2_1629:                             ;   in Loop: Header=BB2_1604 Depth=3
	s_or_b64 exec, exec, s[28:29]
	v_mov_b32_e32 v51, v9
	v_mov_b32_e32 v50, v8
.LBB2_1630:                             ;   in Loop: Header=BB2_1604 Depth=3
	s_or_b64 exec, exec, s[92:93]
	s_xor_b64 s[28:29], s[90:91], -1
	s_and_b64 s[28:29], exec, s[28:29]
	s_or_b64 s[42:43], s[28:29], s[42:43]
	s_and_saveexec_b64 s[28:29], s[10:11]
	s_cbranch_execz .LBB2_1649
; %bb.1631:                             ;   in Loop: Header=BB2_1604 Depth=3
	s_and_saveexec_b64 s[44:45], s[58:59]
	s_xor_b64 s[90:91], exec, s[44:45]
	s_cbranch_execz .LBB2_1646
; %bb.1632:                             ;   in Loop: Header=BB2_1604 Depth=3
	s_and_saveexec_b64 s[92:93], s[16:17]
	s_cbranch_execz .LBB2_1645
; %bb.1633:                             ;   in Loop: Header=BB2_1604 Depth=3
	s_mov_b64 s[30:31], exec
	v_mbcnt_lo_u32_b32 v2, s30, 0
	v_mbcnt_hi_u32_b32 v2, s31, v2
	v_cmp_eq_u32_e32 vcc, 0, v2
	s_waitcnt vmcnt(0) lgkmcnt(0)
	buffer_wbinvl1_vol
	s_and_saveexec_b64 s[94:95], vcc
	s_cbranch_execz .LBB2_1635
; %bb.1634:                             ;   in Loop: Header=BB2_1604 Depth=3
	s_bcnt1_i32_b64 s44, s[30:31]
	v_mov_b32_e32 v2, s44
	ds_add_u64 v0, v[2:3]
	s_trap 2
.LBB2_1635:                             ;   in Loop: Header=BB2_1604 Depth=3
	s_or_b64 exec, exec, s[94:95]
	s_trap 2
	ds_read_b64 v[6:7], v0
	s_waitcnt lgkmcnt(0)
	v_add_co_u32_e32 v28, vcc, v28, v17
	v_addc_co_u32_e32 v29, vcc, 0, v29, vcc
	v_cmp_lt_u64_e32 vcc, v[6:7], v[28:29]
	s_and_saveexec_b64 s[94:95], vcc
	s_cbranch_execz .LBB2_1644
; %bb.1636:                             ;   in Loop: Header=BB2_1604 Depth=3
	s_mov_b32 s44, 0
	s_mov_b64 s[30:31], 0
                                        ; implicit-def: $sgpr34_sgpr35
                                        ; implicit-def: $sgpr36_sgpr37
	s_branch .LBB2_1638
.LBB2_1637:                             ;   in Loop: Header=BB2_1638 Depth=4
	s_or_b64 exec, exec, s[48:49]
	s_and_b64 vcc, exec, vcc
	s_or_b64 s[30:31], vcc, s[30:31]
	s_andn2_b64 vcc, s[34:35], exec
	s_and_b64 s[34:35], s[36:37], exec
	s_or_b64 s[34:35], vcc, s[34:35]
	s_andn2_b64 exec, exec, s[30:31]
	s_cbranch_execz .LBB2_1642
.LBB2_1638:                             ;   Parent Loop BB2_47 Depth=1
                                        ;     Parent Loop BB2_271 Depth=2
                                        ;       Parent Loop BB2_1604 Depth=3
                                        ; =>      This Inner Loop Header: Depth=4
	s_add_i32 s44, s44, 1
	s_cmpk_lg_i32 s44, 0x2710
	s_cselect_b64 s[38:39], -1, 0
	s_and_b64 vcc, exec, s[38:39]
	s_cbranch_vccz .LBB2_1640
; %bb.1639:                             ;   in Loop: Header=BB2_1638 Depth=4
	s_mov_b64 vcc, -1
	s_or_b64 s[36:37], s[36:37], exec
	s_and_saveexec_b64 s[48:49], s[38:39]
	s_cbranch_execz .LBB2_1637
	s_branch .LBB2_1641
.LBB2_1640:                             ;   in Loop: Header=BB2_1638 Depth=4
	s_trap 2
	ds_read_b64 v[6:7], v0
	s_andn2_b64 s[38:39], s[38:39], exec
	s_mov_b32 s44, 0
	s_waitcnt lgkmcnt(0)
	flat_load_dword v2, v[6:7] glc
	s_waitcnt vmcnt(0) lgkmcnt(0)
	buffer_wbinvl1_vol
	v_cmp_eq_u32_e32 vcc, 0, v2
	s_and_b64 vcc, vcc, exec
	s_or_b64 s[38:39], s[38:39], vcc
	s_mov_b64 vcc, -1
	s_or_b64 s[36:37], s[36:37], exec
	s_and_saveexec_b64 s[48:49], s[38:39]
	s_cbranch_execz .LBB2_1637
.LBB2_1641:                             ;   in Loop: Header=BB2_1638 Depth=4
	s_sleep 1
	s_trap 2
	ds_read_b64 v[6:7], v0
	s_waitcnt lgkmcnt(0)
	s_andn2_b64 s[36:37], s[36:37], exec
	v_cmp_ge_u64_e32 vcc, v[6:7], v[28:29]
	s_orn2_b64 vcc, vcc, exec
	s_branch .LBB2_1637
.LBB2_1642:                             ;   in Loop: Header=BB2_1604 Depth=3
	s_or_b64 exec, exec, s[30:31]
	s_and_saveexec_b64 s[44:45], s[34:35]
	s_xor_b64 s[44:45], exec, s[44:45]
	s_cbranch_execz .LBB2_1644
; %bb.1643:                             ;   in Loop: Header=BB2_1604 Depth=3
	v_mov_b32_e32 v2, 1
	ds_write_b32 v0, v2
	s_trap 2
.LBB2_1644:                             ;   in Loop: Header=BB2_1604 Depth=3
	s_or_b64 exec, exec, s[94:95]
	;;#ASMSTART
	s_wakeup
	;;#ASMEND
.LBB2_1645:                             ;   in Loop: Header=BB2_1604 Depth=3
	s_or_b64 exec, exec, s[92:93]
.LBB2_1646:                             ;   in Loop: Header=BB2_1604 Depth=3
	s_andn2_saveexec_b64 s[90:91], s[90:91]
	s_cbranch_execz .LBB2_1648
; %bb.1647:                             ;   in Loop: Header=BB2_1604 Depth=3
	s_waitcnt vmcnt(0) lgkmcnt(0)
	buffer_wbinvl1_vol
	s_barrier
.LBB2_1648:                             ;   in Loop: Header=BB2_1604 Depth=3
	s_or_b64 exec, exec, s[90:91]
.LBB2_1649:                             ;   in Loop: Header=BB2_1604 Depth=3
	s_or_b64 exec, exec, s[28:29]
                                        ; implicit-def: $vgpr2
	s_and_saveexec_b64 s[28:29], s[76:77]
	s_xor_b64 s[28:29], exec, s[28:29]
	s_cbranch_execz .LBB2_1661
; %bb.1650:                             ;   in Loop: Header=BB2_1604 Depth=3
	s_and_saveexec_b64 s[44:45], s[58:59]
	s_xor_b64 s[90:91], exec, s[44:45]
	s_cbranch_execz .LBB2_1666
; %bb.1651:                             ;   in Loop: Header=BB2_1604 Depth=3
	s_and_saveexec_b64 s[92:93], s[16:17]
	s_cbranch_execz .LBB2_1665
; %bb.1652:                             ;   in Loop: Header=BB2_1604 Depth=3
	s_mov_b64 s[30:31], exec
	v_mbcnt_lo_u32_b32 v2, s30, 0
	v_mbcnt_hi_u32_b32 v2, s31, v2
	v_cmp_eq_u32_e32 vcc, 0, v2
	;;#ASMSTART
	s_waitcnt lgkmcnt(0) vmcnt(0)
	;;#ASMEND
	s_and_saveexec_b64 s[94:95], vcc
	s_cbranch_execz .LBB2_1654
; %bb.1653:                             ;   in Loop: Header=BB2_1604 Depth=3
	s_bcnt1_i32_b64 s44, s[30:31]
	v_mov_b32_e32 v2, s44
	s_waitcnt lgkmcnt(0)
	ds_add_u64 v0, v[2:3]
	s_trap 2
.LBB2_1654:                             ;   in Loop: Header=BB2_1604 Depth=3
	s_or_b64 exec, exec, s[94:95]
	s_trap 2
	ds_read_b64 v[6:7], v0
	s_waitcnt lgkmcnt(0)
	v_add_co_u32_e32 v28, vcc, v28, v17
	v_addc_co_u32_e32 v29, vcc, 0, v29, vcc
	v_cmp_lt_u64_e32 vcc, v[6:7], v[28:29]
	s_and_saveexec_b64 s[94:95], vcc
	s_cbranch_execz .LBB2_1664
; %bb.1655:                             ;   in Loop: Header=BB2_1604 Depth=3
	s_mov_b32 s44, 0
	s_mov_b64 s[30:31], 0
                                        ; implicit-def: $sgpr34_sgpr35
                                        ; implicit-def: $sgpr36_sgpr37
	s_branch .LBB2_1657
.LBB2_1656:                             ;   in Loop: Header=BB2_1657 Depth=4
	s_or_b64 exec, exec, s[48:49]
	s_and_b64 vcc, exec, vcc
	s_or_b64 s[30:31], vcc, s[30:31]
	s_andn2_b64 vcc, s[34:35], exec
	s_and_b64 s[34:35], s[36:37], exec
	s_or_b64 s[34:35], vcc, s[34:35]
	s_andn2_b64 exec, exec, s[30:31]
	s_cbranch_execz .LBB2_1662
.LBB2_1657:                             ;   Parent Loop BB2_47 Depth=1
                                        ;     Parent Loop BB2_271 Depth=2
                                        ;       Parent Loop BB2_1604 Depth=3
                                        ; =>      This Inner Loop Header: Depth=4
	s_add_i32 s44, s44, 1
	s_cmpk_lg_i32 s44, 0x2710
	s_cselect_b64 s[38:39], -1, 0
	s_and_b64 vcc, exec, s[38:39]
	s_cbranch_vccz .LBB2_1659
; %bb.1658:                             ;   in Loop: Header=BB2_1657 Depth=4
	s_mov_b64 vcc, -1
	s_or_b64 s[36:37], s[36:37], exec
	s_and_saveexec_b64 s[48:49], s[38:39]
	s_cbranch_execz .LBB2_1656
	s_branch .LBB2_1660
.LBB2_1659:                             ;   in Loop: Header=BB2_1657 Depth=4
	s_trap 2
	ds_read_b64 v[6:7], v0
	s_andn2_b64 s[38:39], s[38:39], exec
	s_mov_b32 s44, 0
	s_waitcnt vmcnt(0) lgkmcnt(0)
	flat_load_dword v2, v[6:7] glc
	s_waitcnt vmcnt(0) lgkmcnt(0)
	buffer_wbinvl1_vol
	v_cmp_eq_u32_e32 vcc, 0, v2
	s_and_b64 vcc, vcc, exec
	s_or_b64 s[38:39], s[38:39], vcc
	s_mov_b64 vcc, -1
	s_or_b64 s[36:37], s[36:37], exec
	s_and_saveexec_b64 s[48:49], s[38:39]
	s_cbranch_execz .LBB2_1656
.LBB2_1660:                             ;   in Loop: Header=BB2_1657 Depth=4
	s_sleep 1
	s_trap 2
	ds_read_b64 v[6:7], v0
	s_waitcnt lgkmcnt(0)
	s_andn2_b64 s[36:37], s[36:37], exec
	v_cmp_ge_u64_e32 vcc, v[6:7], v[28:29]
	s_orn2_b64 vcc, vcc, exec
	s_branch .LBB2_1656
.LBB2_1661:                             ;   in Loop: Header=BB2_1604 Depth=3
	s_andn2_saveexec_b64 s[28:29], s[28:29]
	s_cbranch_execnz .LBB2_1669
	s_branch .LBB2_1672
.LBB2_1662:                             ;   in Loop: Header=BB2_1604 Depth=3
	s_or_b64 exec, exec, s[30:31]
	s_and_saveexec_b64 s[44:45], s[34:35]
	s_xor_b64 s[44:45], exec, s[44:45]
	s_cbranch_execz .LBB2_1664
; %bb.1663:                             ;   in Loop: Header=BB2_1604 Depth=3
	v_mov_b32_e32 v2, 1
	ds_write_b32 v0, v2
	s_trap 2
.LBB2_1664:                             ;   in Loop: Header=BB2_1604 Depth=3
	s_or_b64 exec, exec, s[94:95]
	;;#ASMSTART
	s_wakeup
	;;#ASMEND
.LBB2_1665:                             ;   in Loop: Header=BB2_1604 Depth=3
	s_or_b64 exec, exec, s[92:93]
.LBB2_1666:                             ;   in Loop: Header=BB2_1604 Depth=3
	s_andn2_saveexec_b64 s[90:91], s[90:91]
	s_cbranch_execz .LBB2_1668
; %bb.1667:                             ;   in Loop: Header=BB2_1604 Depth=3
	;;#ASMSTART
	s_waitcnt lgkmcnt(0) vmcnt(0)
	;;#ASMEND
	s_waitcnt vmcnt(0) lgkmcnt(0)
	s_barrier
.LBB2_1668:                             ;   in Loop: Header=BB2_1604 Depth=3
	s_or_b64 exec, exec, s[90:91]
	v_and_b32_e32 v2, 16, v20
	s_andn2_saveexec_b64 s[28:29], s[28:29]
	s_cbranch_execz .LBB2_1672
.LBB2_1669:                             ;   in Loop: Header=BB2_1604 Depth=3
	s_trap 2
	ds_read_b32 v2, v0
	v_cmp_lt_i32_e32 vcc, 0, v54
	v_and_b32_e32 v4, 16, v20
	s_waitcnt lgkmcnt(0)
	v_readfirstlane_b32 s44, v2
	s_cmp_eq_u32 s44, 0
	s_cselect_b64 s[44:45], -1, 0
	s_and_b64 s[44:45], vcc, s[44:45]
	v_cmp_ne_u32_e32 vcc, 0, v4
	v_and_b32_e32 v2, 16, v20
	s_and_b64 s[44:45], vcc, s[44:45]
	s_and_saveexec_b64 s[90:91], s[44:45]
	s_cbranch_execz .LBB2_1671
; %bb.1670:                             ;   in Loop: Header=BB2_1604 Depth=3
	v_mov_b32_e32 v2, 1
	s_waitcnt vmcnt(0)
	buffer_wbinvl1_vol
.LBB2_1671:                             ;   in Loop: Header=BB2_1604 Depth=3
	s_or_b64 exec, exec, s[90:91]
.LBB2_1672:                             ;   in Loop: Header=BB2_1604 Depth=3
	s_or_b64 exec, exec, s[28:29]
	v_cmp_ne_u32_e32 vcc, 0, v2
	s_xor_b64 s[28:29], s[12:13], -1
	s_and_b64 s[44:45], vcc, s[28:29]
	s_and_saveexec_b64 s[28:29], s[44:45]
	s_cbranch_execz .LBB2_1674
; %bb.1673:                             ;   in Loop: Header=BB2_1604 Depth=3
	buffer_load_dword v6, off, s[0:3], s33 offset:80 ; 4-byte Folded Reload
	buffer_load_dword v7, off, s[0:3], s33 offset:84 ; 4-byte Folded Reload
	v_mov_b32_e32 v2, 1
	s_waitcnt vmcnt(0)
	flat_store_dword v[6:7], v2
.LBB2_1674:                             ;   in Loop: Header=BB2_1604 Depth=3
	s_or_b64 exec, exec, s[28:29]
	v_and_b32_e32 v2, 48, v20
	v_cmp_ne_u32_e32 vcc, 0, v2
	s_and_saveexec_b64 s[28:29], vcc
	s_cbranch_execz .LBB2_1603
; %bb.1675:                             ;   in Loop: Header=BB2_1604 Depth=3
	v_add_co_u32_e32 v50, vcc, 2, v50
	v_addc_co_u32_e32 v51, vcc, 0, v51, vcc
	flat_store_dwordx2 v[22:23], v[50:51]
	s_branch .LBB2_1603
.LBB2_1676:                             ;   in Loop: Header=BB2_47 Depth=1
	buffer_load_dword v10, off, s[0:3], s33 offset:184 ; 4-byte Folded Reload
	buffer_load_dword v11, off, s[0:3], s33 offset:188 ; 4-byte Folded Reload
	buffer_load_dword v6, off, s[0:3], s33 offset:168 ; 4-byte Folded Reload
	buffer_load_dword v7, off, s[0:3], s33 offset:172 ; 4-byte Folded Reload
	s_waitcnt vmcnt(0)
	v_mov_b32_e32 v19, 0
	v_mul_lo_u32 v4, v10, s67
	v_mul_lo_u32 v2, v11, s66
	v_mad_u64_u32 v[8:9], s[28:29], v10, s66, 0
	v_sub_co_u32_e32 v6, vcc, v6, v8
	v_add3_u32 v9, v9, v4, v2
	v_subb_co_u32_e32 v7, vcc, v7, v9, vcc
	v_cmp_lt_i64_e32 vcc, v[10:11], v[6:7]
	v_mov_b32_e32 v2, 0
	v_cndmask_b32_e32 v4, v6, v10, vcc
	v_max_i32_e32 v18, 0, v4
	v_add_u32_e32 v6, 31, v18
	v_lshrrev_b32_e32 v6, 1, v6
	v_and_b32_e32 v6, 0x3ffffff0, v6
	v_cmp_lt_i32_e32 vcc, 0, v4
	v_max_i32_e32 v54, s86, v6
	s_and_b64 s[28:29], s[78:79], vcc
	s_and_saveexec_b64 s[90:91], s[28:29]
	s_cbranch_execz .LBB2_4226
; %bb.1677:                             ;   in Loop: Header=BB2_47 Depth=1
	buffer_load_dword v2, off, s[0:3], s33 offset:128 ; 4-byte Folded Reload
	s_mov_b32 s46, 1
	s_mov_b64 s[94:95], -1
	v_mov_b32_e32 v19, 0
	s_mov_b64 s[92:93], 0
	s_waitcnt vmcnt(0)
	v_add_co_u32_e32 v2, vcc, v8, v2
	buffer_store_dword v2, off, s[0:3], s33 offset:164 ; 4-byte Folded Spill
	buffer_load_dword v2, off, s[0:3], s33 offset:132 ; 4-byte Folded Reload
	s_waitcnt vmcnt(0)
	v_addc_co_u32_e32 v2, vcc, v9, v2, vcc
	buffer_store_dword v2, off, s[0:3], s33 offset:176 ; 4-byte Folded Spill
	s_branch .LBB2_1679
.LBB2_1678:                             ;   in Loop: Header=BB2_1679 Depth=2
	s_or_b64 exec, exec, s[28:29]
	v_add_u32_e32 v19, v54, v19
	v_cmp_ge_i32_e32 vcc, v19, v18
	s_xor_b64 s[28:29], s[94:95], -1
	s_or_b64 s[28:29], s[28:29], vcc
	s_and_b64 s[28:29], exec, s[28:29]
	s_or_b64 s[92:93], s[28:29], s[92:93]
	s_mov_b64 s[94:95], 0
	v_mov_b32_e32 v2, s46
	s_mov_b32 s46, 2
	s_andn2_b64 exec, exec, s[92:93]
	s_cbranch_execz .LBB2_4301
.LBB2_1679:                             ;   Parent Loop BB2_47 Depth=1
                                        ; =>  This Loop Header: Depth=2
                                        ;       Child Loop BB2_1687 Depth 3
                                        ;       Child Loop BB2_1715 Depth 3
	;; [unrolled: 1-line block ×4, first 2 shown]
                                        ;         Child Loop BB2_2186 Depth 4
                                        ;       Child Loop BB2_2212 Depth 3
                                        ;         Child Loop BB2_2641 Depth 4
                                        ;       Child Loop BB2_2671 Depth 3
                                        ;       Child Loop BB2_2931 Depth 3
                                        ;         Child Loop BB2_2964 Depth 4
                                        ;       Child Loop BB2_2977 Depth 3
                                        ;       Child Loop BB2_3430 Depth 3
	;; [unrolled: 1-line block ×6, first 2 shown]
	s_and_saveexec_b64 s[28:29], s[4:5]
	s_cbranch_execz .LBB2_1681
; %bb.1680:                             ;   in Loop: Header=BB2_1679 Depth=2
	s_trap 2
	buffer_load_dword v11, off, s[0:3], s33 offset:164 ; 4-byte Folded Reload
	buffer_load_dword v12, off, s[0:3], s33 offset:176 ; 4-byte Folded Reload
	ds_read2_b64 v[6:9], v0 offset1:1
	v_ashrrev_i32_e32 v10, 31, v19
	s_waitcnt vmcnt(0) lgkmcnt(0)
	v_add_co_u32_e32 v2, vcc, v6, v11
	v_addc_co_u32_e32 v4, vcc, v7, v12, vcc
	v_add_co_u32_e32 v6, vcc, v2, v19
	v_addc_co_u32_e32 v7, vcc, v4, v10, vcc
	;; [unrolled: 2-line block ×3, first 2 shown]
	ds_write_b64 v0, v[6:7]
	v_add_co_u32_e32 v6, vcc, v2, v19
	v_addc_co_u32_e32 v7, vcc, v4, v10, vcc
	ds_write_b64 v0, v[6:7]
	ds_read_b64 v[6:7], v0
	s_waitcnt lgkmcnt(0)
	v_add_co_u32_e32 v2, vcc, v6, v11
	v_addc_co_u32_e32 v4, vcc, v7, v12, vcc
	v_add_co_u32_e32 v2, vcc, v2, v19
	v_addc_co_u32_e32 v4, vcc, v4, v10, vcc
	v_cmp_ne_u64_e32 vcc, 0, v[6:7]
	v_cndmask_b32_e32 v7, 0, v4, vcc
	v_cndmask_b32_e32 v6, 0, v2, vcc
	ds_write_b64 v0, v[6:7]
.LBB2_1681:                             ;   in Loop: Header=BB2_1679 Depth=2
	s_or_b64 exec, exec, s[28:29]
	v_sub_u32_e32 v2, v18, v19
	v_min_i32_e32 v54, v54, v2
	v_and_b32_e32 v2, 12, v20
	v_cmp_ne_u32_e32 vcc, 0, v2
	s_and_saveexec_b64 s[40:41], vcc
	s_cbranch_execz .LBB2_1707
; %bb.1682:                             ;   in Loop: Header=BB2_1679 Depth=2
	v_and_b32_e32 v2, 8, v20
	s_waitcnt lgkmcnt(0)
	v_add_co_u32_e32 v6, vcc, v32, v2
	v_addc_co_u32_e32 v7, vcc, 0, v33, vcc
	v_add_co_u32_e32 v8, vcc, 2, v50
	v_addc_co_u32_e32 v9, vcc, 0, v51, vcc
	v_cmp_lt_u64_e32 vcc, v[6:7], v[8:9]
	s_and_saveexec_b64 s[42:43], vcc
	s_cbranch_execz .LBB2_1694
; %bb.1683:                             ;   in Loop: Header=BB2_1679 Depth=2
	v_and_b32_e32 v4, 64, v20
	s_mov_b32 s47, 0
	v_cmp_eq_u32_e32 vcc, 0, v4
	s_mov_b64 s[30:31], 0
                                        ; implicit-def: $sgpr34_sgpr35
                                        ; implicit-def: $sgpr36_sgpr37
                                        ; implicit-def: $sgpr38_sgpr39
	s_branch .LBB2_1687
.LBB2_1684:                             ;   in Loop: Header=BB2_1687 Depth=3
	s_waitcnt vmcnt(0) lgkmcnt(0)
	v_add_co_u32_e64 v6, s[28:29], v32, v2
	v_addc_co_u32_e64 v7, s[28:29], 0, v33, s[28:29]
	v_cmp_ge_u64_e64 s[28:29], v[6:7], v[8:9]
	s_or_b64 s[52:53], s[52:53], exec
	s_orn2_b64 s[50:51], s[28:29], exec
.LBB2_1685:                             ;   in Loop: Header=BB2_1687 Depth=3
	s_or_b64 exec, exec, s[64:65]
	s_andn2_b64 s[28:29], s[38:39], exec
	s_and_b64 s[44:45], s[52:53], exec
	s_or_b64 s[38:39], s[28:29], s[44:45]
	s_andn2_b64 s[28:29], s[36:37], exec
	s_and_b64 s[44:45], s[50:51], exec
	s_or_b64 s[36:37], s[28:29], s[44:45]
.LBB2_1686:                             ;   in Loop: Header=BB2_1687 Depth=3
	s_or_b64 exec, exec, s[48:49]
	s_and_b64 s[28:29], exec, s[36:37]
	s_or_b64 s[30:31], s[28:29], s[30:31]
	s_andn2_b64 s[28:29], s[34:35], exec
	s_and_b64 s[44:45], s[38:39], exec
	s_or_b64 s[34:35], s[28:29], s[44:45]
	s_andn2_b64 exec, exec, s[30:31]
	s_cbranch_execz .LBB2_1691
.LBB2_1687:                             ;   Parent Loop BB2_47 Depth=1
                                        ;     Parent Loop BB2_1679 Depth=2
                                        ; =>    This Inner Loop Header: Depth=3
	s_sleep 1
	s_waitcnt vmcnt(0) lgkmcnt(0)
	flat_load_dwordx2 v[32:33], v[22:23] glc
	s_or_b64 s[38:39], s[38:39], exec
	s_or_b64 s[36:37], s[36:37], exec
                                        ; implicit-def: $vgpr4
	s_and_saveexec_b64 s[48:49], vcc
	s_cbranch_execz .LBB2_1686
; %bb.1688:                             ;   in Loop: Header=BB2_1687 Depth=3
	s_cmpk_lt_i32 s47, 0x270f
	s_cselect_b64 s[54:55], -1, 0
	s_cmpk_gt_i32 s47, 0x270e
	s_mov_b64 s[50:51], -1
	s_cbranch_scc0 .LBB2_1690
; %bb.1689:                             ;   in Loop: Header=BB2_1687 Depth=3
	s_trap 2
	ds_read_b64 v[6:7], v0
	s_andn2_b64 s[44:45], s[54:55], exec
	s_mov_b32 s47, 0
	s_mov_b64 s[52:53], 0
	s_waitcnt vmcnt(0) lgkmcnt(0)
	flat_load_dword v4, v[6:7] glc
	s_waitcnt vmcnt(0) lgkmcnt(0)
	buffer_wbinvl1_vol
	v_cmp_eq_u32_e64 s[28:29], 0, v4
	s_and_b64 s[28:29], s[28:29], exec
	s_or_b64 s[54:55], s[44:45], s[28:29]
	s_and_saveexec_b64 s[64:65], s[54:55]
	s_cbranch_execz .LBB2_1685
	s_branch .LBB2_1684
.LBB2_1690:                             ;   in Loop: Header=BB2_1687 Depth=3
	s_add_i32 s47, s47, 1
	s_mov_b64 s[52:53], -1
                                        ; implicit-def: $vgpr4
	s_and_saveexec_b64 s[64:65], s[54:55]
	s_cbranch_execz .LBB2_1685
	s_branch .LBB2_1684
.LBB2_1691:                             ;   in Loop: Header=BB2_1679 Depth=2
	s_or_b64 exec, exec, s[30:31]
	s_xor_b64 s[28:29], s[34:35], -1
	s_and_saveexec_b64 s[44:45], s[28:29]
	s_xor_b64 s[28:29], exec, s[44:45]
	s_cbranch_execz .LBB2_1693
; %bb.1692:                             ;   in Loop: Header=BB2_1679 Depth=2
	v_or_b32_e32 v20, 64, v20
	s_waitcnt lgkmcnt(0)
	ds_write_b32 v0, v4
	s_trap 2
.LBB2_1693:                             ;   in Loop: Header=BB2_1679 Depth=2
	s_or_b64 exec, exec, s[28:29]
.LBB2_1694:                             ;   in Loop: Header=BB2_1679 Depth=2
	s_or_b64 exec, exec, s[42:43]
	v_and_b32_e32 v4, 0x108, v20
	v_cmp_ne_u32_e32 vcc, s69, v4
	;;#ASMSTART
	s_wakeup
	;;#ASMEND
	s_and_saveexec_b64 s[28:29], vcc
	s_xor_b64 s[28:29], exec, s[28:29]
                                        ; implicit-def: $vgpr4
; %bb.1695:                             ;   in Loop: Header=BB2_1679 Depth=2
	v_and_b32_e32 v4, 7, v50
                                        ; implicit-def: $vgpr50_vgpr51
; %bb.1696:                             ;   in Loop: Header=BB2_1679 Depth=2
	s_andn2_saveexec_b64 s[28:29], s[28:29]
	s_cbranch_execz .LBB2_1698
; %bb.1697:                             ;   in Loop: Header=BB2_1679 Depth=2
	v_and_b32_e32 v4, 7, v50
	v_mad_u64_u32 v[6:7], s[42:43], v4, 24, v[24:25]
	v_ashrrev_i32_e32 v55, 31, v54
	flat_store_dwordx2 v[6:7], v[54:55] offset:8
.LBB2_1698:                             ;   in Loop: Header=BB2_1679 Depth=2
	s_or_b64 exec, exec, s[28:29]
	v_and_b32_e32 v6, 0x100, v20
	v_cmp_ne_u32_e32 vcc, 0, v6
	s_mov_b64 s[28:29], -1
                                        ; implicit-def: $vgpr10_vgpr11
	s_and_saveexec_b64 s[42:43], vcc
	s_cbranch_execz .LBB2_1702
; %bb.1699:                             ;   in Loop: Header=BB2_1679 Depth=2
	v_mad_u64_u32 v[12:13], s[28:29], v4, 24, v[24:25]
                                        ; implicit-def: $vgpr10_vgpr11
	v_mov_b32_e32 v6, v13
	v_mad_u64_u32 v[6:7], s[28:29], v3, 24, v[6:7]
	v_mov_b32_e32 v13, v6
	flat_load_dword v6, v[12:13]
	s_waitcnt vmcnt(0) lgkmcnt(0)
	v_cmp_ne_u32_e32 vcc, 1, v6
	v_cmp_eq_u32_e64 s[28:29], 1, v6
	s_and_saveexec_b64 s[30:31], s[28:29]
	s_cbranch_execz .LBB2_1701
; %bb.1700:                             ;   in Loop: Header=BB2_1679 Depth=2
	flat_load_dword v10, v[12:13] offset:4 glc
	s_waitcnt vmcnt(0) lgkmcnt(0)
	v_ashrrev_i32_e32 v11, 31, v10
.LBB2_1701:                             ;   in Loop: Header=BB2_1679 Depth=2
	s_or_b64 exec, exec, s[30:31]
	s_orn2_b64 s[28:29], vcc, exec
.LBB2_1702:                             ;   in Loop: Header=BB2_1679 Depth=2
	s_or_b64 exec, exec, s[42:43]
	s_and_saveexec_b64 s[42:43], s[28:29]
	s_cbranch_execz .LBB2_1704
; %bb.1703:                             ;   in Loop: Header=BB2_1679 Depth=2
	buffer_load_dword v7, off, s[0:3], s33 offset:104 ; 4-byte Folded Reload
	v_mul_lo_u32 v6, v3, v47
	v_mad_u64_u32 v[10:11], s[28:29], v4, v47, 0
	s_waitcnt vmcnt(0)
	v_mul_lo_u32 v7, v4, v7
	v_add3_u32 v11, v11, v7, v6
.LBB2_1704:                             ;   in Loop: Header=BB2_1679 Depth=2
	s_or_b64 exec, exec, s[42:43]
	buffer_load_dword v6, off, s[0:3], s33 offset:72 ; 4-byte Folded Reload
	buffer_load_dword v7, off, s[0:3], s33 offset:76 ; 4-byte Folded Reload
	v_cmp_eq_u32_e32 vcc, 0, v2
	v_mov_b32_e32 v2, 0x90
	v_mov_b32_e32 v4, 0xd0
	v_cndmask_b32_e32 v2, v4, v2, vcc
	v_add_u32_e32 v2, v0, v2
	s_waitcnt vmcnt(0)
	v_add_co_u32_e32 v6, vcc, v6, v10
	v_addc_co_u32_e32 v7, vcc, v7, v11, vcc
	ds_write_b64 v2, v[6:7] offset:584
	v_and_b32_e32 v2, 0x2000, v20
	v_cmp_ne_u32_e32 vcc, 0, v2
	s_and_saveexec_b64 s[28:29], vcc
	s_cbranch_execz .LBB2_1706
; %bb.1705:                             ;   in Loop: Header=BB2_1679 Depth=2
	ds_read_b64 v[6:7], v0 offset:872
	s_waitcnt lgkmcnt(0)
	v_add_co_u32_e32 v6, vcc, 1, v6
	v_addc_co_u32_e32 v7, vcc, 0, v7, vcc
	ds_write_b64 v0, v[6:7] offset:872
.LBB2_1706:                             ;   in Loop: Header=BB2_1679 Depth=2
	s_or_b64 exec, exec, s[28:29]
	v_mov_b32_e32 v51, v9
	v_mov_b32_e32 v50, v8
.LBB2_1707:                             ;   in Loop: Header=BB2_1679 Depth=2
	s_or_b64 exec, exec, s[40:41]
	s_and_saveexec_b64 s[28:29], s[10:11]
	s_cbranch_execz .LBB2_1726
; %bb.1708:                             ;   in Loop: Header=BB2_1679 Depth=2
	s_and_saveexec_b64 s[40:41], s[58:59]
	s_xor_b64 s[40:41], exec, s[40:41]
	s_cbranch_execz .LBB2_1723
; %bb.1709:                             ;   in Loop: Header=BB2_1679 Depth=2
	s_and_saveexec_b64 s[42:43], s[16:17]
	s_cbranch_execz .LBB2_1722
; %bb.1710:                             ;   in Loop: Header=BB2_1679 Depth=2
	s_mov_b64 s[34:35], exec
	v_mbcnt_lo_u32_b32 v2, s34, 0
	v_mbcnt_hi_u32_b32 v2, s35, v2
	v_cmp_eq_u32_e32 vcc, 0, v2
	s_waitcnt vmcnt(0) lgkmcnt(0)
	buffer_wbinvl1_vol
	s_and_saveexec_b64 s[30:31], vcc
	s_cbranch_execz .LBB2_1712
; %bb.1711:                             ;   in Loop: Header=BB2_1679 Depth=2
	s_bcnt1_i32_b64 s44, s[34:35]
	v_mov_b32_e32 v2, s44
	ds_add_u64 v0, v[2:3]
	s_trap 2
.LBB2_1712:                             ;   in Loop: Header=BB2_1679 Depth=2
	s_or_b64 exec, exec, s[30:31]
	s_trap 2
	ds_read_b64 v[6:7], v0
	s_waitcnt lgkmcnt(0)
	v_add_co_u32_e32 v28, vcc, v28, v17
	v_addc_co_u32_e32 v29, vcc, 0, v29, vcc
	v_cmp_lt_u64_e32 vcc, v[6:7], v[28:29]
	s_and_saveexec_b64 s[30:31], vcc
	s_cbranch_execz .LBB2_1721
; %bb.1713:                             ;   in Loop: Header=BB2_1679 Depth=2
	s_mov_b32 s44, 0
	s_mov_b64 s[34:35], 0
                                        ; implicit-def: $sgpr36_sgpr37
                                        ; implicit-def: $sgpr38_sgpr39
	s_branch .LBB2_1715
.LBB2_1714:                             ;   in Loop: Header=BB2_1715 Depth=3
	s_or_b64 exec, exec, s[50:51]
	s_and_b64 vcc, exec, vcc
	s_or_b64 s[34:35], vcc, s[34:35]
	s_andn2_b64 vcc, s[36:37], exec
	s_and_b64 s[36:37], s[38:39], exec
	s_or_b64 s[36:37], vcc, s[36:37]
	s_andn2_b64 exec, exec, s[34:35]
	s_cbranch_execz .LBB2_1719
.LBB2_1715:                             ;   Parent Loop BB2_47 Depth=1
                                        ;     Parent Loop BB2_1679 Depth=2
                                        ; =>    This Inner Loop Header: Depth=3
	s_add_i32 s44, s44, 1
	s_cmpk_lg_i32 s44, 0x2710
	s_cselect_b64 s[48:49], -1, 0
	s_and_b64 vcc, exec, s[48:49]
	s_cbranch_vccz .LBB2_1717
; %bb.1716:                             ;   in Loop: Header=BB2_1715 Depth=3
	s_mov_b64 vcc, -1
	s_or_b64 s[38:39], s[38:39], exec
	s_and_saveexec_b64 s[50:51], s[48:49]
	s_cbranch_execz .LBB2_1714
	s_branch .LBB2_1718
.LBB2_1717:                             ;   in Loop: Header=BB2_1715 Depth=3
	s_trap 2
	ds_read_b64 v[6:7], v0
	s_andn2_b64 s[48:49], s[48:49], exec
	s_mov_b32 s44, 0
	s_waitcnt lgkmcnt(0)
	flat_load_dword v2, v[6:7] glc
	s_waitcnt vmcnt(0) lgkmcnt(0)
	buffer_wbinvl1_vol
	v_cmp_eq_u32_e32 vcc, 0, v2
	s_and_b64 vcc, vcc, exec
	s_or_b64 s[48:49], s[48:49], vcc
	s_mov_b64 vcc, -1
	s_or_b64 s[38:39], s[38:39], exec
	s_and_saveexec_b64 s[50:51], s[48:49]
	s_cbranch_execz .LBB2_1714
.LBB2_1718:                             ;   in Loop: Header=BB2_1715 Depth=3
	s_sleep 1
	s_trap 2
	ds_read_b64 v[6:7], v0
	s_waitcnt lgkmcnt(0)
	s_andn2_b64 s[38:39], s[38:39], exec
	v_cmp_ge_u64_e32 vcc, v[6:7], v[28:29]
	s_orn2_b64 vcc, vcc, exec
	s_branch .LBB2_1714
.LBB2_1719:                             ;   in Loop: Header=BB2_1679 Depth=2
	s_or_b64 exec, exec, s[34:35]
	s_and_saveexec_b64 s[44:45], s[36:37]
	s_xor_b64 s[44:45], exec, s[44:45]
	s_cbranch_execz .LBB2_1721
; %bb.1720:                             ;   in Loop: Header=BB2_1679 Depth=2
	v_mov_b32_e32 v2, 1
	ds_write_b32 v0, v2
	s_trap 2
.LBB2_1721:                             ;   in Loop: Header=BB2_1679 Depth=2
	s_or_b64 exec, exec, s[30:31]
	;;#ASMSTART
	s_wakeup
	;;#ASMEND
.LBB2_1722:                             ;   in Loop: Header=BB2_1679 Depth=2
	s_or_b64 exec, exec, s[42:43]
.LBB2_1723:                             ;   in Loop: Header=BB2_1679 Depth=2
	s_andn2_saveexec_b64 s[40:41], s[40:41]
	s_cbranch_execz .LBB2_1725
; %bb.1724:                             ;   in Loop: Header=BB2_1679 Depth=2
	s_waitcnt vmcnt(0) lgkmcnt(0)
	buffer_wbinvl1_vol
	s_barrier
.LBB2_1725:                             ;   in Loop: Header=BB2_1679 Depth=2
	s_or_b64 exec, exec, s[40:41]
.LBB2_1726:                             ;   in Loop: Header=BB2_1679 Depth=2
	s_or_b64 exec, exec, s[28:29]
	s_trap 2
	ds_read_b32 v4, v0
	v_and_b32_e32 v2, 0x4000, v20
	v_cmp_ne_u32_e32 vcc, 0, v2
	s_xor_b64 s[28:29], s[6:7], -1
	s_and_b64 s[40:41], s[28:29], vcc
	s_and_saveexec_b64 s[28:29], s[40:41]
	s_cbranch_execz .LBB2_1745
; %bb.1727:                             ;   in Loop: Header=BB2_1679 Depth=2
	s_and_saveexec_b64 s[40:41], s[58:59]
	s_xor_b64 s[40:41], exec, s[40:41]
	s_cbranch_execz .LBB2_1742
; %bb.1728:                             ;   in Loop: Header=BB2_1679 Depth=2
	s_and_saveexec_b64 s[42:43], s[16:17]
	s_cbranch_execz .LBB2_1741
; %bb.1729:                             ;   in Loop: Header=BB2_1679 Depth=2
	s_mov_b64 s[34:35], exec
	v_mbcnt_lo_u32_b32 v2, s34, 0
	v_mbcnt_hi_u32_b32 v2, s35, v2
	v_cmp_eq_u32_e32 vcc, 0, v2
	s_waitcnt vmcnt(0) lgkmcnt(0)
	buffer_wbinvl1_vol
	s_and_saveexec_b64 s[30:31], vcc
	s_cbranch_execz .LBB2_1731
; %bb.1730:                             ;   in Loop: Header=BB2_1679 Depth=2
	s_bcnt1_i32_b64 s44, s[34:35]
	v_mov_b32_e32 v2, s44
	ds_add_u64 v0, v[2:3]
	s_trap 2
.LBB2_1731:                             ;   in Loop: Header=BB2_1679 Depth=2
	s_or_b64 exec, exec, s[30:31]
	s_trap 2
	ds_read_b64 v[6:7], v0
	s_waitcnt lgkmcnt(0)
	v_add_co_u32_e32 v28, vcc, v28, v17
	v_addc_co_u32_e32 v29, vcc, 0, v29, vcc
	v_cmp_lt_u64_e32 vcc, v[6:7], v[28:29]
	s_and_saveexec_b64 s[30:31], vcc
	s_cbranch_execz .LBB2_1740
; %bb.1732:                             ;   in Loop: Header=BB2_1679 Depth=2
	s_mov_b32 s44, 0
	s_mov_b64 s[34:35], 0
                                        ; implicit-def: $sgpr36_sgpr37
                                        ; implicit-def: $sgpr38_sgpr39
	s_branch .LBB2_1734
.LBB2_1733:                             ;   in Loop: Header=BB2_1734 Depth=3
	s_or_b64 exec, exec, s[50:51]
	s_and_b64 vcc, exec, vcc
	s_or_b64 s[34:35], vcc, s[34:35]
	s_andn2_b64 vcc, s[36:37], exec
	s_and_b64 s[36:37], s[38:39], exec
	s_or_b64 s[36:37], vcc, s[36:37]
	s_andn2_b64 exec, exec, s[34:35]
	s_cbranch_execz .LBB2_1738
.LBB2_1734:                             ;   Parent Loop BB2_47 Depth=1
                                        ;     Parent Loop BB2_1679 Depth=2
                                        ; =>    This Inner Loop Header: Depth=3
	s_add_i32 s44, s44, 1
	s_cmpk_lg_i32 s44, 0x2710
	s_cselect_b64 s[48:49], -1, 0
	s_and_b64 vcc, exec, s[48:49]
	s_cbranch_vccz .LBB2_1736
; %bb.1735:                             ;   in Loop: Header=BB2_1734 Depth=3
	s_mov_b64 vcc, -1
	s_or_b64 s[38:39], s[38:39], exec
	s_and_saveexec_b64 s[50:51], s[48:49]
	s_cbranch_execz .LBB2_1733
	s_branch .LBB2_1737
.LBB2_1736:                             ;   in Loop: Header=BB2_1734 Depth=3
	s_trap 2
	ds_read_b64 v[6:7], v0
	s_andn2_b64 s[48:49], s[48:49], exec
	s_mov_b32 s44, 0
	s_waitcnt lgkmcnt(0)
	flat_load_dword v2, v[6:7] glc
	s_waitcnt vmcnt(0) lgkmcnt(0)
	buffer_wbinvl1_vol
	v_cmp_eq_u32_e32 vcc, 0, v2
	s_and_b64 vcc, vcc, exec
	s_or_b64 s[48:49], s[48:49], vcc
	s_mov_b64 vcc, -1
	s_or_b64 s[38:39], s[38:39], exec
	s_and_saveexec_b64 s[50:51], s[48:49]
	s_cbranch_execz .LBB2_1733
.LBB2_1737:                             ;   in Loop: Header=BB2_1734 Depth=3
	s_sleep 1
	s_trap 2
	ds_read_b64 v[6:7], v0
	s_waitcnt lgkmcnt(0)
	s_andn2_b64 s[38:39], s[38:39], exec
	v_cmp_ge_u64_e32 vcc, v[6:7], v[28:29]
	s_orn2_b64 vcc, vcc, exec
	s_branch .LBB2_1733
.LBB2_1738:                             ;   in Loop: Header=BB2_1679 Depth=2
	s_or_b64 exec, exec, s[34:35]
	s_and_saveexec_b64 s[44:45], s[36:37]
	s_xor_b64 s[44:45], exec, s[44:45]
	s_cbranch_execz .LBB2_1740
; %bb.1739:                             ;   in Loop: Header=BB2_1679 Depth=2
	v_mov_b32_e32 v2, 1
	ds_write_b32 v0, v2
	s_trap 2
.LBB2_1740:                             ;   in Loop: Header=BB2_1679 Depth=2
	s_or_b64 exec, exec, s[30:31]
	;;#ASMSTART
	s_wakeup
	;;#ASMEND
.LBB2_1741:                             ;   in Loop: Header=BB2_1679 Depth=2
	s_or_b64 exec, exec, s[42:43]
.LBB2_1742:                             ;   in Loop: Header=BB2_1679 Depth=2
	s_andn2_saveexec_b64 s[40:41], s[40:41]
	s_cbranch_execz .LBB2_1744
; %bb.1743:                             ;   in Loop: Header=BB2_1679 Depth=2
	s_waitcnt vmcnt(0) lgkmcnt(0)
	buffer_wbinvl1_vol
	s_barrier
.LBB2_1744:                             ;   in Loop: Header=BB2_1679 Depth=2
	s_or_b64 exec, exec, s[40:41]
.LBB2_1745:                             ;   in Loop: Header=BB2_1679 Depth=2
	s_or_b64 exec, exec, s[28:29]
	s_trap 2
	ds_read_b64 v[42:43], v0
	s_waitcnt lgkmcnt(0)
	v_cmp_eq_u64_e32 vcc, 0, v[42:43]
	s_cbranch_vccnz .LBB2_1754
; %bb.1746:                             ;   in Loop: Header=BB2_1679 Depth=2
	s_trap 2
	ds_read_b64 v[6:7], v0
	s_waitcnt lgkmcnt(0)
	buffer_store_dword v6, off, s[0:3], s33 offset:156 ; 4-byte Folded Spill
	s_nop 0
	buffer_store_dword v7, off, s[0:3], s33 offset:160 ; 4-byte Folded Spill
	v_cmp_eq_u64_e32 vcc, 0, v[6:7]
	s_cbranch_vccnz .LBB2_1754
; %bb.1747:                             ;   in Loop: Header=BB2_1679 Depth=2
	s_trap 2
	ds_read_b64 v[6:7], v0
	v_cmp_eq_u32_e64 s[28:29], 0, v4
	v_cndmask_b32_e64 v30, 0, v54, s[28:29]
	s_mov_b64 s[28:29], -1
	s_waitcnt lgkmcnt(0)
	buffer_store_dword v6, off, s[0:3], s33 offset:196 ; 4-byte Folded Spill
	s_nop 0
	buffer_store_dword v7, off, s[0:3], s33 offset:200 ; 4-byte Folded Spill
	v_cmp_ne_u64_e32 vcc, 0, v[6:7]
	s_cbranch_vccz .LBB2_2967
; %bb.1748:                             ;   in Loop: Header=BB2_1679 Depth=2
	s_and_saveexec_b64 s[40:41], s[22:23]
	s_cbranch_execz .LBB2_1750
; %bb.1749:                             ;   in Loop: Header=BB2_1679 Depth=2
	ds_read_b32 v2, v0 offset:720
	s_waitcnt lgkmcnt(0)
	v_and_b32_e32 v2, 15, v2
	v_cmp_eq_u32_e32 vcc, 0, v2
	s_orn2_b64 s[28:29], vcc, exec
.LBB2_1750:                             ;   in Loop: Header=BB2_1679 Depth=2
	s_or_b64 exec, exec, s[40:41]
	s_and_saveexec_b64 s[40:41], s[22:23]
	s_cbranch_execz .LBB2_1752
; %bb.1751:                             ;   in Loop: Header=BB2_1679 Depth=2
	ds_read_b32 v2, v0 offset:784
	s_waitcnt lgkmcnt(0)
	v_and_b32_e32 v2, 15, v2
	v_cmp_eq_u32_e32 vcc, 0, v2
	s_and_b64 s[42:43], s[28:29], vcc
	s_andn2_b64 s[28:29], s[28:29], exec
	s_and_b64 s[42:43], s[42:43], exec
	s_or_b64 s[28:29], s[28:29], s[42:43]
.LBB2_1752:                             ;   in Loop: Header=BB2_1679 Depth=2
	s_or_b64 exec, exec, s[40:41]
	s_xor_b64 s[28:29], s[28:29], -1
	v_cndmask_b32_e64 v2, 0, 1, s[28:29]
	v_cmp_ne_u32_e32 vcc, 0, v2
	buffer_load_dword v2, off, s[0:3], s33 offset:108 ; 4-byte Folded Reload
	s_mov_b64 s[40:41], -1
	v_mov_b32_e32 v4, 0
	v_mov_b32_e32 v6, v30
	;; [unrolled: 1-line block ×3, first 2 shown]
	s_cbranch_vccz .LBB2_1755
; %bb.1753:                             ;   in Loop: Header=BB2_1679 Depth=2
	s_and_saveexec_b64 s[42:43], s[40:41]
	s_cbranch_execz .LBB2_2966
	s_branch .LBB2_2668
.LBB2_1754:                             ;   in Loop: Header=BB2_1679 Depth=2
	s_mov_b64 s[28:29], 0
	s_and_saveexec_b64 s[40:41], s[10:11]
	s_cbranch_execnz .LBB2_4181
	s_branch .LBB2_4199
.LBB2_1755:                             ;   in Loop: Header=BB2_1679 Depth=2
	buffer_load_dword v2, off, s[0:3], s33 offset:136 ; 4-byte Folded Reload
	s_waitcnt vmcnt(0)
	v_sub_u32_e32 v31, v30, v2
	v_ashrrev_i32_e32 v2, 31, v30
	v_lshrrev_b32_e32 v2, 22, v2
	v_add_u32_e32 v2, v30, v2
	v_ashrrev_i32_e32 v4, 10, v2
	v_and_b32_e32 v10, 0xfffffc00, v2
	buffer_load_dword v2, off, s[0:3], s33 offset:140 ; 4-byte Folded Reload
	v_sub_u32_e32 v11, v30, v10
	v_cmp_lt_i32_e64 s[28:29], 15, v11
	s_waitcnt vmcnt(0)
	v_addc_co_u32_e64 v53, vcc, v4, v2, s[28:29]
	v_cmp_lt_i32_e32 vcc, 15, v31
	s_and_saveexec_b64 s[30:31], vcc
	s_cbranch_execz .LBB2_2209
; %bb.1756:                             ;   in Loop: Header=BB2_1679 Depth=2
	buffer_store_dword v11, off, s[0:3], s33 offset:228 ; 4-byte Folded Spill
	buffer_store_dword v10, off, s[0:3], s33 offset:224 ; 4-byte Folded Spill
	;; [unrolled: 1-line block ×3, first 2 shown]
	buffer_load_dword v6, off, s[0:3], s33 offset:156 ; 4-byte Folded Reload
	buffer_load_dword v7, off, s[0:3], s33 offset:160 ; 4-byte Folded Reload
	;; [unrolled: 1-line block ×4, first 2 shown]
	s_mov_b64 s[34:35], 0
	s_waitcnt vmcnt(1)
	v_add_co_u32_e32 v40, vcc, v6, v2
	s_waitcnt vmcnt(0)
	v_addc_co_u32_e32 v41, vcc, v7, v4, vcc
	buffer_load_dword v6, off, s[0:3], s33 offset:196 ; 4-byte Folded Reload
	buffer_load_dword v7, off, s[0:3], s33 offset:200 ; 4-byte Folded Reload
	s_trap 2
	s_waitcnt vmcnt(1)
	v_add_co_u32_e32 v61, vcc, v6, v2
	s_waitcnt vmcnt(0)
	v_addc_co_u32_e32 v37, vcc, v7, v4, vcc
	ds_read_b64 v[6:7], v0
	v_add_co_u32_e32 v46, vcc, v42, v2
	v_addc_co_u32_e32 v47, vcc, v43, v4, vcc
	s_waitcnt lgkmcnt(0)
	v_add_co_u32_e32 v55, vcc, v6, v2
	v_addc_co_u32_e32 v56, vcc, v7, v4, vcc
.LBB2_1757:                             ;   Parent Loop BB2_47 Depth=1
                                        ;     Parent Loop BB2_1679 Depth=2
                                        ; =>    This Loop Header: Depth=3
                                        ;         Child Loop BB2_2186 Depth 4
	global_load_dwordx4 v[12:15], v[46:47], off glc slc
	global_load_dwordx4 v[8:11], v[55:56], off glc slc
	v_mov_b32_e32 v2, 0
	s_waitcnt vmcnt(1)
	v_cmp_ne_u16_sdwa s[42:43], v12, v3 src0_sel:BYTE_0 src1_sel:DWORD
	s_and_saveexec_b64 s[40:41], s[42:43]
	s_cbranch_execz .LBB2_1763
; %bb.1758:                             ;   in Loop: Header=BB2_1757 Depth=3
	v_cmp_ne_u16_sdwa s[44:45], v12, s70 src0_sel:BYTE_0 src1_sel:DWORD
	v_bfrev_b32_e32 v2, 1
	s_and_saveexec_b64 s[42:43], s[44:45]
	s_cbranch_execz .LBB2_1762
; %bb.1759:                             ;   in Loop: Header=BB2_1757 Depth=3
	v_and_b32_e32 v4, 0x7f, v12
	v_cmp_ne_u32_e32 vcc, s71, v4
	v_mov_b32_e32 v2, 0x7f800001
	s_and_saveexec_b64 s[36:37], vcc
	s_cbranch_execz .LBB2_1761
; %bb.1760:                             ;   in Loop: Header=BB2_1757 Depth=3
	v_and_b32_e32 v2, 7, v12
	v_ffbh_u32_e32 v2, v2
	v_min_u32_e32 v2, 32, v2
	v_lshrrev_b32_e32 v6, 3, v4
	v_cmp_gt_u32_e32 vcc, 8, v4
	v_subrev_u32_e32 v4, 28, v2
	v_sub_u32_e32 v2, 29, v2
	v_cndmask_b32_e32 v4, 0, v4, vcc
	v_cndmask_b32_e32 v2, v6, v2, vcc
	v_lshlrev_b64 v[6:7], v4, v[12:13]
	v_lshl_add_u32 v2, v2, 23, v49
	v_lshlrev_b32_e32 v4, 20, v6
	v_lshlrev_b32_e32 v6, 24, v12
	v_and_b32_e32 v4, 0x700000, v4
	v_and_b32_e32 v6, 0x80000000, v6
	v_or3_b32 v2, v6, v2, v4
.LBB2_1761:                             ;   in Loop: Header=BB2_1757 Depth=3
	s_or_b64 exec, exec, s[36:37]
.LBB2_1762:                             ;   in Loop: Header=BB2_1757 Depth=3
	s_or_b64 exec, exec, s[42:43]
.LBB2_1763:                             ;   in Loop: Header=BB2_1757 Depth=3
	s_or_b64 exec, exec, s[40:41]
	s_waitcnt vmcnt(0)
	v_cmp_gt_i16_sdwa s[42:43], v8, s71 src0_sel:BYTE_0 src1_sel:DWORD
	s_mov_b64 s[40:41], 0
	s_and_saveexec_b64 s[44:45], s[42:43]
	s_xor_b64 s[42:43], exec, s[44:45]
	s_cbranch_execz .LBB2_2188
; %bb.1764:                             ;   in Loop: Header=BB2_1757 Depth=3
	v_cmp_eq_u16_sdwa s[44:45], v8, s70 src0_sel:BYTE_0 src1_sel:DWORD
	s_mov_b64 s[40:41], -1
	s_and_saveexec_b64 vcc, s[44:45]
; %bb.1765:                             ;   in Loop: Header=BB2_1757 Depth=3
	s_xor_b64 s[40:41], exec, -1
; %bb.1766:                             ;   in Loop: Header=BB2_1757 Depth=3
	s_or_b64 exec, exec, vcc
	s_and_b64 s[40:41], s[40:41], exec
	s_or_saveexec_b64 s[42:43], s[42:43]
	v_bfrev_b32_e32 v4, 1
	s_xor_b64 exec, exec, s[42:43]
	s_cbranch_execnz .LBB2_2189
.LBB2_1767:                             ;   in Loop: Header=BB2_1757 Depth=3
	s_or_b64 exec, exec, s[42:43]
	s_and_saveexec_b64 s[42:43], s[40:41]
	s_cbranch_execz .LBB2_1769
.LBB2_1768:                             ;   in Loop: Header=BB2_1757 Depth=3
	v_and_b32_e32 v4, 7, v8
	v_ffbh_u32_e32 v4, v4
	v_and_b32_e32 v16, 0x7f, v8
	v_min_u32_e32 v4, 32, v4
	v_bfe_u32 v6, v8, 3, 4
	v_subrev_u32_e32 v7, 28, v4
	v_sub_u32_e32 v4, 29, v4
	v_cmp_gt_u32_e32 vcc, 8, v16
	v_cndmask_b32_e32 v4, v6, v4, vcc
	v_cndmask_b32_e32 v6, 0, v7, vcc
	v_lshlrev_b64 v[6:7], v6, v[8:9]
	v_lshlrev_b32_e32 v7, 24, v8
	v_lshlrev_b32_e32 v6, 20, v6
	v_and_b32_e32 v6, 0x700000, v6
	v_and_b32_e32 v7, 0x80000000, v7
	v_lshl_add_u32 v4, v4, 23, v49
	v_or3_b32 v4, v7, v4, v6
	v_cmp_ne_u32_e32 vcc, s71, v16
	v_cndmask_b32_e32 v4, v5, v4, vcc
.LBB2_1769:                             ;   in Loop: Header=BB2_1757 Depth=3
	s_or_b64 exec, exec, s[42:43]
	v_mul_f32_e32 v7, v2, v4
	v_and_b32_e32 v2, 0x7f800000, v7
	v_cmp_ne_u64_e32 vcc, s[62:63], v[2:3]
                                        ; implicit-def: $vgpr4
	s_and_saveexec_b64 s[40:41], vcc
	s_xor_b64 s[42:43], exec, s[40:41]
	s_cbranch_execz .LBB2_1783
; %bb.1770:                             ;   in Loop: Header=BB2_1757 Depth=3
	v_and_b32_e32 v2, 0x7fffffff, v7
	v_cmp_gt_u64_e32 vcc, s[72:73], v[2:3]
	v_and_b32_sdwa v6, v7, s70 dst_sel:DWORD dst_unused:UNUSED_PAD src0_sel:BYTE_3 src1_sel:DWORD
                                        ; implicit-def: $vgpr4
	s_and_saveexec_b64 s[40:41], vcc
	s_xor_b64 s[36:37], exec, s[40:41]
	s_cbranch_execz .LBB2_1780
; %bb.1771:                             ;   in Loop: Header=BB2_1757 Depth=3
	v_mov_b32_e32 v4, 0
	v_cmp_ne_u32_e32 vcc, 0, v7
	s_and_saveexec_b64 s[38:39], vcc
	s_cbranch_execz .LBB2_1779
; %bb.1772:                             ;   in Loop: Header=BB2_1757 Depth=3
	v_bfe_u32 v4, v7, 23, 8
	v_and_b32_e32 v2, 0x7fffff, v7
	v_cmp_gt_u32_e64 s[40:41], s80, v4
	v_sub_u32_e32 v7, 0x79, v4
	v_cmp_eq_u32_e32 vcc, 0, v4
	v_cndmask_b32_e64 v7, 0, v7, s[40:41]
	v_or_b32_e32 v16, 0x800000, v2
	v_cndmask_b32_e32 v7, v7, v1, vcc
	v_cndmask_b32_e32 v2, v16, v2, vcc
	v_add_u32_e32 v16, 20, v7
	v_lshlrev_b64 v[24:25], v16, -1
	v_add_u32_e32 v16, 19, v7
	v_lshlrev_b64 v[26:27], v16, 1
	v_lshrrev_b64 v[57:58], v7, v[2:3]
	v_bfi_b32 v25, v25, 0, 0
	v_bfi_b32 v24, v24, 0, v2
	v_cmp_eq_u64_e64 s[40:41], v[24:25], v[26:27]
	v_mov_b32_e32 v59, v58
	v_mov_b32_e32 v58, v57
	s_and_saveexec_b64 s[48:49], s[40:41]
; %bb.1773:                             ;   in Loop: Header=BB2_1757 Depth=3
	v_bfe_u32 v2, v57, 20, 1
	v_add_co_u32_e64 v2, s[40:41], v57, v2
	v_add_co_u32_e64 v58, s[40:41], -1, v2
; %bb.1774:                             ;   in Loop: Header=BB2_1757 Depth=3
	s_or_b64 exec, exec, s[48:49]
	v_add_u32_e32 v2, 0xffffff81, v4
	v_cndmask_b32_e32 v2, v2, v0, vcc
	v_lshrrev_b32_e32 v4, 23, v57
	v_add3_u32 v16, v7, v2, v4
	v_add_u32_e32 v7, 6, v16
	v_and_b32_e32 v2, 0xfffff, v58
	v_add_u32_e32 v2, v2, v57
	v_cmp_ne_u32_e32 vcc, 0, v7
                                        ; implicit-def: $vgpr57_vgpr58
                                        ; implicit-def: $vgpr4
	s_and_saveexec_b64 s[40:41], vcc
	s_xor_b64 s[40:41], exec, s[40:41]
; %bb.1775:                             ;   in Loop: Header=BB2_1757 Depth=3
	v_cmp_lt_u64_e32 vcc, s[88:89], v[2:3]
	v_add_u32_e32 v4, 7, v16
	v_cndmask_b32_e32 v4, v7, v4, vcc
	v_cndmask_b32_e64 v7, 0, 1, vcc
	v_lshrrev_b64 v[57:58], v7, v[2:3]
; %bb.1776:                             ;   in Loop: Header=BB2_1757 Depth=3
	s_andn2_saveexec_b64 s[40:41], s[40:41]
; %bb.1777:                             ;   in Loop: Header=BB2_1757 Depth=3
	v_mov_b32_e32 v58, v3
	v_bfe_u32 v4, v2, 23, 1
	v_mov_b32_e32 v57, v2
; %bb.1778:                             ;   in Loop: Header=BB2_1757 Depth=3
	s_or_b64 exec, exec, s[40:41]
	v_lshrrev_b64 v[24:25], 20, v[57:58]
	v_cmp_gt_i32_e32 vcc, 16, v4
	v_cndmask_b32_e32 v25, 0, v25, vcc
	v_cndmask_b32_e32 v24, 7, v24, vcc
	v_min_i32_e32 v2, 15, v4
	v_cmp_eq_u64_e64 s[40:41], 0, v[24:25]
	v_lshlrev_b32_e32 v2, 3, v2
	v_cmp_eq_u32_e32 vcc, 0, v4
	v_and_b32_e32 v2, 0xf8, v2
	v_and_or_b32 v2, v24, 7, v2
	s_and_b64 s[40:41], vcc, s[40:41]
	v_cndmask_b32_e64 v2, v2, 0, s[40:41]
	v_or_b32_e32 v4, v2, v6
.LBB2_1779:                             ;   in Loop: Header=BB2_1757 Depth=3
	s_or_b64 exec, exec, s[38:39]
                                        ; implicit-def: $vgpr6
.LBB2_1780:                             ;   in Loop: Header=BB2_1757 Depth=3
	s_andn2_saveexec_b64 s[40:41], s[36:37]
; %bb.1781:                             ;   in Loop: Header=BB2_1757 Depth=3
	v_or_b32_e32 v4, 0x7e, v6
; %bb.1782:                             ;   in Loop: Header=BB2_1757 Depth=3
	s_or_b64 exec, exec, s[40:41]
                                        ; implicit-def: $vgpr7
.LBB2_1783:                             ;   in Loop: Header=BB2_1757 Depth=3
	s_andn2_saveexec_b64 s[40:41], s[42:43]
; %bb.1784:                             ;   in Loop: Header=BB2_1757 Depth=3
	v_or_b32_sdwa v4, v7, s71 dst_sel:DWORD dst_unused:UNUSED_PAD src0_sel:BYTE_3 src1_sel:DWORD
; %bb.1785:                             ;   in Loop: Header=BB2_1757 Depth=3
	s_or_b64 exec, exec, s[40:41]
	v_lshrrev_b16_e32 v2, 8, v12
	v_cmp_ne_u16_e32 vcc, 0, v2
	v_mov_b32_e32 v6, 0
	s_and_saveexec_b64 s[40:41], vcc
	s_cbranch_execz .LBB2_1791
; %bb.1786:                             ;   in Loop: Header=BB2_1757 Depth=3
	v_cmp_ne_u16_e32 vcc, s70, v2
	v_bfrev_b32_e32 v6, 1
	s_and_saveexec_b64 s[42:43], vcc
	s_cbranch_execz .LBB2_1790
; %bb.1787:                             ;   in Loop: Header=BB2_1757 Depth=3
	v_and_b32_e32 v7, 0x7f, v2
	v_cmp_ne_u32_e32 vcc, s71, v7
	v_mov_b32_e32 v6, 0x7f800001
	s_and_saveexec_b64 s[36:37], vcc
	s_cbranch_execz .LBB2_1789
; %bb.1788:                             ;   in Loop: Header=BB2_1757 Depth=3
	v_and_b32_e32 v16, 7, v2
	v_ffbh_u32_e32 v6, v16
	v_min_u32_e32 v24, 32, v6
	v_subrev_u32_e32 v6, 28, v24
	v_lshrrev_b32_e32 v21, 3, v7
	v_cmp_gt_u32_e32 vcc, 8, v7
	v_lshlrev_b64 v[6:7], v6, v[2:3]
	v_sub_u32_e32 v2, 29, v24
	v_and_b32_e32 v6, 7, v6
	v_cndmask_b32_e32 v2, v21, v2, vcc
	v_cndmask_b32_e32 v6, v16, v6, vcc
	v_lshlrev_b32_e32 v7, 16, v12
	v_lshlrev_b32_e32 v6, 20, v6
	v_and_b32_e32 v7, 0x80000000, v7
	v_lshl_add_u32 v2, v2, 23, v49
	v_or3_b32 v6, v7, v2, v6
.LBB2_1789:                             ;   in Loop: Header=BB2_1757 Depth=3
	s_or_b64 exec, exec, s[36:37]
.LBB2_1790:                             ;   in Loop: Header=BB2_1757 Depth=3
	s_or_b64 exec, exec, s[42:43]
.LBB2_1791:                             ;   in Loop: Header=BB2_1757 Depth=3
	s_or_b64 exec, exec, s[40:41]
	v_lshrrev_b16_e32 v2, 8, v8
	v_cmp_lt_i16_e32 vcc, s71, v2
	s_mov_b64 s[40:41], 0
	s_and_saveexec_b64 s[42:43], vcc
	s_xor_b64 s[42:43], exec, s[42:43]
	s_cbranch_execz .LBB2_2190
; %bb.1792:                             ;   in Loop: Header=BB2_1757 Depth=3
	v_cmp_eq_u16_e32 vcc, s70, v2
	s_mov_b64 s[40:41], -1
	s_and_saveexec_b64 s[36:37], vcc
; %bb.1793:                             ;   in Loop: Header=BB2_1757 Depth=3
	s_xor_b64 s[40:41], exec, -1
; %bb.1794:                             ;   in Loop: Header=BB2_1757 Depth=3
	s_or_b64 exec, exec, s[36:37]
	s_and_b64 s[40:41], s[40:41], exec
	s_or_saveexec_b64 s[42:43], s[42:43]
	v_bfrev_b32_e32 v7, 1
	s_xor_b64 exec, exec, s[42:43]
	s_cbranch_execnz .LBB2_2191
.LBB2_1795:                             ;   in Loop: Header=BB2_1757 Depth=3
	s_or_b64 exec, exec, s[42:43]
	s_and_saveexec_b64 s[42:43], s[40:41]
	s_cbranch_execz .LBB2_1797
.LBB2_1796:                             ;   in Loop: Header=BB2_1757 Depth=3
	v_and_b32_e32 v7, 7, v2
	v_ffbh_u32_e32 v24, v7
	v_min_u32_e32 v26, 32, v24
	v_subrev_u32_e32 v24, 28, v26
	v_lshlrev_b64 v[24:25], v24, v[2:3]
	v_and_b32_e32 v16, 0x7f, v2
	v_bfe_u32 v21, v2, 3, 4
	v_sub_u32_e32 v25, 29, v26
	v_and_b32_e32 v24, 7, v24
	v_cmp_gt_u32_e32 vcc, 8, v16
	v_cndmask_b32_e32 v21, v21, v25, vcc
	v_cndmask_b32_e32 v7, v7, v24, vcc
	v_lshlrev_b32_e32 v2, 24, v2
	v_lshlrev_b32_e32 v7, 20, v7
	v_and_b32_e32 v2, 0x80000000, v2
	v_lshl_add_u32 v21, v21, 23, v49
	v_or3_b32 v2, v2, v21, v7
	v_cmp_ne_u32_e32 vcc, s71, v16
	v_cndmask_b32_e32 v7, v5, v2, vcc
.LBB2_1797:                             ;   in Loop: Header=BB2_1757 Depth=3
	s_or_b64 exec, exec, s[42:43]
	v_mul_f32_e32 v16, v6, v7
	v_and_b32_e32 v2, 0x7f800000, v16
	v_cmp_ne_u64_e32 vcc, s[62:63], v[2:3]
                                        ; implicit-def: $vgpr6
	s_and_saveexec_b64 s[40:41], vcc
	s_xor_b64 s[42:43], exec, s[40:41]
	s_cbranch_execz .LBB2_1811
; %bb.1798:                             ;   in Loop: Header=BB2_1757 Depth=3
	v_and_b32_e32 v2, 0x7fffffff, v16
	v_cmp_gt_u64_e32 vcc, s[72:73], v[2:3]
	v_and_b32_sdwa v7, v16, s70 dst_sel:DWORD dst_unused:UNUSED_PAD src0_sel:BYTE_3 src1_sel:DWORD
                                        ; implicit-def: $vgpr6
	s_and_saveexec_b64 s[40:41], vcc
	s_xor_b64 s[36:37], exec, s[40:41]
	s_cbranch_execz .LBB2_1808
; %bb.1799:                             ;   in Loop: Header=BB2_1757 Depth=3
	v_mov_b32_e32 v6, 0
	v_cmp_ne_u32_e32 vcc, 0, v16
	s_and_saveexec_b64 s[38:39], vcc
	s_cbranch_execz .LBB2_1807
; %bb.1800:                             ;   in Loop: Header=BB2_1757 Depth=3
	v_bfe_u32 v6, v16, 23, 8
	v_and_b32_e32 v2, 0x7fffff, v16
	v_cmp_gt_u32_e64 s[40:41], s80, v6
	v_sub_u32_e32 v16, 0x79, v6
	v_cmp_eq_u32_e32 vcc, 0, v6
	v_cndmask_b32_e64 v16, 0, v16, s[40:41]
	v_or_b32_e32 v21, 0x800000, v2
	v_cndmask_b32_e32 v16, v16, v1, vcc
	v_cndmask_b32_e32 v2, v21, v2, vcc
	v_add_u32_e32 v21, 20, v16
	v_lshlrev_b64 v[24:25], v21, -1
	v_add_u32_e32 v21, 19, v16
	v_lshlrev_b64 v[26:27], v21, 1
	v_lshrrev_b64 v[57:58], v16, v[2:3]
	v_bfi_b32 v25, v25, 0, 0
	v_bfi_b32 v24, v24, 0, v2
	v_cmp_eq_u64_e64 s[40:41], v[24:25], v[26:27]
	v_mov_b32_e32 v59, v58
	v_mov_b32_e32 v58, v57
	s_and_saveexec_b64 s[48:49], s[40:41]
; %bb.1801:                             ;   in Loop: Header=BB2_1757 Depth=3
	v_bfe_u32 v2, v57, 20, 1
	v_add_co_u32_e64 v2, s[40:41], v57, v2
	v_add_co_u32_e64 v58, s[40:41], -1, v2
; %bb.1802:                             ;   in Loop: Header=BB2_1757 Depth=3
	s_or_b64 exec, exec, s[48:49]
	v_add_u32_e32 v2, 0xffffff81, v6
	v_cndmask_b32_e32 v2, v2, v0, vcc
	v_lshrrev_b32_e32 v6, 23, v57
	v_add3_u32 v21, v16, v2, v6
	v_add_u32_e32 v16, 6, v21
	v_and_b32_e32 v2, 0xfffff, v58
	v_add_u32_e32 v2, v2, v57
	v_cmp_ne_u32_e32 vcc, 0, v16
                                        ; implicit-def: $vgpr57_vgpr58
                                        ; implicit-def: $vgpr6
	s_and_saveexec_b64 s[40:41], vcc
	s_xor_b64 s[40:41], exec, s[40:41]
; %bb.1803:                             ;   in Loop: Header=BB2_1757 Depth=3
	v_cmp_lt_u64_e32 vcc, s[88:89], v[2:3]
	v_add_u32_e32 v6, 7, v21
	v_cndmask_b32_e32 v6, v16, v6, vcc
	v_cndmask_b32_e64 v16, 0, 1, vcc
	v_lshrrev_b64 v[57:58], v16, v[2:3]
; %bb.1804:                             ;   in Loop: Header=BB2_1757 Depth=3
	s_andn2_saveexec_b64 s[40:41], s[40:41]
; %bb.1805:                             ;   in Loop: Header=BB2_1757 Depth=3
	v_mov_b32_e32 v58, v3
	v_bfe_u32 v6, v2, 23, 1
	v_mov_b32_e32 v57, v2
; %bb.1806:                             ;   in Loop: Header=BB2_1757 Depth=3
	s_or_b64 exec, exec, s[40:41]
	v_lshrrev_b64 v[24:25], 20, v[57:58]
	v_cmp_gt_i32_e32 vcc, 16, v6
	v_cndmask_b32_e32 v25, 0, v25, vcc
	v_cndmask_b32_e32 v24, 7, v24, vcc
	v_min_i32_e32 v2, 15, v6
	v_cmp_eq_u64_e64 s[40:41], 0, v[24:25]
	v_lshlrev_b32_e32 v2, 3, v2
	v_cmp_eq_u32_e32 vcc, 0, v6
	v_and_b32_e32 v2, 0xf8, v2
	v_and_or_b32 v2, v24, 7, v2
	s_and_b64 s[40:41], vcc, s[40:41]
	v_cndmask_b32_e64 v2, v2, 0, s[40:41]
	v_or_b32_e32 v6, v2, v7
.LBB2_1807:                             ;   in Loop: Header=BB2_1757 Depth=3
	s_or_b64 exec, exec, s[38:39]
                                        ; implicit-def: $vgpr7
.LBB2_1808:                             ;   in Loop: Header=BB2_1757 Depth=3
	s_andn2_saveexec_b64 s[40:41], s[36:37]
; %bb.1809:                             ;   in Loop: Header=BB2_1757 Depth=3
	v_or_b32_e32 v6, 0x7e, v7
; %bb.1810:                             ;   in Loop: Header=BB2_1757 Depth=3
	s_or_b64 exec, exec, s[40:41]
                                        ; implicit-def: $vgpr16
.LBB2_1811:                             ;   in Loop: Header=BB2_1757 Depth=3
	s_andn2_saveexec_b64 s[40:41], s[42:43]
; %bb.1812:                             ;   in Loop: Header=BB2_1757 Depth=3
	v_or_b32_sdwa v6, v16, s71 dst_sel:DWORD dst_unused:UNUSED_PAD src0_sel:BYTE_3 src1_sel:DWORD
; %bb.1813:                             ;   in Loop: Header=BB2_1757 Depth=3
	s_or_b64 exec, exec, s[40:41]
	v_lshrrev_b32_e32 v2, 16, v12
	v_cmp_ne_u16_sdwa s[42:43], v2, v3 src0_sel:BYTE_0 src1_sel:DWORD
	v_mov_b32_e32 v7, 0
	s_and_saveexec_b64 s[40:41], s[42:43]
	s_cbranch_execz .LBB2_1819
; %bb.1814:                             ;   in Loop: Header=BB2_1757 Depth=3
	v_cmp_ne_u16_sdwa s[44:45], v2, s70 src0_sel:BYTE_0 src1_sel:DWORD
	v_bfrev_b32_e32 v7, 1
	s_and_saveexec_b64 s[42:43], s[44:45]
	s_cbranch_execz .LBB2_1818
; %bb.1815:                             ;   in Loop: Header=BB2_1757 Depth=3
	v_bfe_u32 v16, v12, 16, 7
	v_cmp_ne_u32_e32 vcc, s71, v16
	v_mov_b32_e32 v7, 0x7f800001
	s_and_saveexec_b64 s[36:37], vcc
	s_cbranch_execz .LBB2_1817
; %bb.1816:                             ;   in Loop: Header=BB2_1757 Depth=3
	v_and_b32_e32 v7, 7, v2
	v_lshrrev_b32_e32 v21, 3, v16
	v_cmp_gt_u32_e32 vcc, 8, v16
	v_ffbh_u32_e32 v16, v7
	v_min_u32_e32 v16, 32, v16
	v_subrev_u32_e32 v24, 28, v16
	v_lshlrev_b64 v[24:25], v24, v[2:3]
	v_sub_u32_e32 v16, 29, v16
	v_and_b32_e32 v24, 7, v24
	v_cndmask_b32_e32 v16, v21, v16, vcc
	v_cndmask_b32_e32 v7, v7, v24, vcc
	v_lshlrev_b32_e32 v2, 24, v2
	v_lshlrev_b32_e32 v7, 20, v7
	v_and_b32_e32 v2, 0x80000000, v2
	v_lshl_add_u32 v16, v16, 23, v49
	v_or3_b32 v7, v2, v16, v7
.LBB2_1817:                             ;   in Loop: Header=BB2_1757 Depth=3
	s_or_b64 exec, exec, s[36:37]
.LBB2_1818:                             ;   in Loop: Header=BB2_1757 Depth=3
	s_or_b64 exec, exec, s[42:43]
.LBB2_1819:                             ;   in Loop: Header=BB2_1757 Depth=3
	s_or_b64 exec, exec, s[40:41]
	v_lshrrev_b32_e32 v2, 16, v8
	v_cmp_gt_i16_sdwa s[42:43], v2, s71 src0_sel:BYTE_0 src1_sel:DWORD
	s_mov_b64 s[40:41], 0
	s_and_saveexec_b64 s[44:45], s[42:43]
	s_xor_b64 s[42:43], exec, s[44:45]
	s_cbranch_execz .LBB2_2192
; %bb.1820:                             ;   in Loop: Header=BB2_1757 Depth=3
	v_cmp_eq_u16_sdwa s[44:45], v2, s70 src0_sel:BYTE_0 src1_sel:DWORD
	s_mov_b64 s[40:41], -1
	s_and_saveexec_b64 vcc, s[44:45]
; %bb.1821:                             ;   in Loop: Header=BB2_1757 Depth=3
	s_xor_b64 s[40:41], exec, -1
; %bb.1822:                             ;   in Loop: Header=BB2_1757 Depth=3
	s_or_b64 exec, exec, vcc
	s_and_b64 s[40:41], s[40:41], exec
	s_or_saveexec_b64 s[42:43], s[42:43]
	v_bfrev_b32_e32 v16, 1
	s_xor_b64 exec, exec, s[42:43]
	s_cbranch_execnz .LBB2_2193
.LBB2_1823:                             ;   in Loop: Header=BB2_1757 Depth=3
	s_or_b64 exec, exec, s[42:43]
	s_and_saveexec_b64 s[42:43], s[40:41]
	s_cbranch_execz .LBB2_1825
.LBB2_1824:                             ;   in Loop: Header=BB2_1757 Depth=3
	v_and_b32_e32 v16, 7, v2
	v_ffbh_u32_e32 v24, v16
	v_min_u32_e32 v27, 32, v24
	v_subrev_u32_e32 v24, 28, v27
	v_lshlrev_b64 v[24:25], v24, v[2:3]
	v_and_b32_e32 v21, 0x7f, v2
	v_bfe_u32 v26, v2, 3, 4
	v_sub_u32_e32 v25, 29, v27
	v_and_b32_e32 v24, 7, v24
	v_cmp_gt_u32_e32 vcc, 8, v21
	v_cndmask_b32_e32 v25, v26, v25, vcc
	v_cndmask_b32_e32 v16, v16, v24, vcc
	v_lshlrev_b32_e32 v2, 24, v2
	v_lshlrev_b32_e32 v16, 20, v16
	v_and_b32_e32 v2, 0x80000000, v2
	v_lshl_add_u32 v24, v25, 23, v49
	v_or3_b32 v2, v2, v24, v16
	v_cmp_ne_u32_e32 vcc, s71, v21
	v_cndmask_b32_e32 v16, v5, v2, vcc
.LBB2_1825:                             ;   in Loop: Header=BB2_1757 Depth=3
	s_or_b64 exec, exec, s[42:43]
	v_mul_f32_e32 v21, v7, v16
	v_and_b32_e32 v2, 0x7f800000, v21
	v_cmp_ne_u64_e32 vcc, s[62:63], v[2:3]
                                        ; implicit-def: $vgpr7
	s_and_saveexec_b64 s[40:41], vcc
	s_xor_b64 s[42:43], exec, s[40:41]
	s_cbranch_execz .LBB2_1839
; %bb.1826:                             ;   in Loop: Header=BB2_1757 Depth=3
	v_and_b32_e32 v2, 0x7fffffff, v21
	v_cmp_gt_u64_e32 vcc, s[72:73], v[2:3]
	v_and_b32_sdwa v16, v21, s70 dst_sel:DWORD dst_unused:UNUSED_PAD src0_sel:BYTE_3 src1_sel:DWORD
                                        ; implicit-def: $vgpr7
	s_and_saveexec_b64 s[40:41], vcc
	s_xor_b64 s[36:37], exec, s[40:41]
	s_cbranch_execz .LBB2_1836
; %bb.1827:                             ;   in Loop: Header=BB2_1757 Depth=3
	v_mov_b32_e32 v7, 0
	v_cmp_ne_u32_e32 vcc, 0, v21
	s_and_saveexec_b64 s[38:39], vcc
	s_cbranch_execz .LBB2_1835
; %bb.1828:                             ;   in Loop: Header=BB2_1757 Depth=3
	v_bfe_u32 v7, v21, 23, 8
	v_and_b32_e32 v2, 0x7fffff, v21
	v_cmp_gt_u32_e64 s[40:41], s80, v7
	v_sub_u32_e32 v21, 0x79, v7
	v_cmp_eq_u32_e32 vcc, 0, v7
	v_cndmask_b32_e64 v21, 0, v21, s[40:41]
	v_or_b32_e32 v24, 0x800000, v2
	v_cndmask_b32_e32 v21, v21, v1, vcc
	v_cndmask_b32_e32 v2, v24, v2, vcc
	v_add_u32_e32 v24, 20, v21
	v_lshlrev_b64 v[24:25], v24, -1
	v_add_u32_e32 v26, 19, v21
	v_lshlrev_b64 v[26:27], v26, 1
	v_lshrrev_b64 v[57:58], v21, v[2:3]
	v_bfi_b32 v25, v25, 0, 0
	v_bfi_b32 v24, v24, 0, v2
	v_cmp_eq_u64_e64 s[40:41], v[24:25], v[26:27]
	v_mov_b32_e32 v59, v58
	v_mov_b32_e32 v58, v57
	s_and_saveexec_b64 s[48:49], s[40:41]
; %bb.1829:                             ;   in Loop: Header=BB2_1757 Depth=3
	v_bfe_u32 v2, v57, 20, 1
	v_add_co_u32_e64 v2, s[40:41], v57, v2
	v_add_co_u32_e64 v58, s[40:41], -1, v2
; %bb.1830:                             ;   in Loop: Header=BB2_1757 Depth=3
	s_or_b64 exec, exec, s[48:49]
	v_add_u32_e32 v2, 0xffffff81, v7
	v_cndmask_b32_e32 v2, v2, v0, vcc
	v_lshrrev_b32_e32 v7, 23, v57
	v_add3_u32 v24, v21, v2, v7
	v_add_u32_e32 v21, 6, v24
	v_and_b32_e32 v2, 0xfffff, v58
	v_add_u32_e32 v2, v2, v57
	v_cmp_ne_u32_e32 vcc, 0, v21
                                        ; implicit-def: $vgpr57_vgpr58
                                        ; implicit-def: $vgpr7
	s_and_saveexec_b64 s[40:41], vcc
	s_xor_b64 s[40:41], exec, s[40:41]
; %bb.1831:                             ;   in Loop: Header=BB2_1757 Depth=3
	v_cmp_lt_u64_e32 vcc, s[88:89], v[2:3]
	v_add_u32_e32 v7, 7, v24
	v_cndmask_b32_e32 v7, v21, v7, vcc
	v_cndmask_b32_e64 v21, 0, 1, vcc
	v_lshrrev_b64 v[57:58], v21, v[2:3]
; %bb.1832:                             ;   in Loop: Header=BB2_1757 Depth=3
	s_andn2_saveexec_b64 s[40:41], s[40:41]
; %bb.1833:                             ;   in Loop: Header=BB2_1757 Depth=3
	v_mov_b32_e32 v58, v3
	v_bfe_u32 v7, v2, 23, 1
	v_mov_b32_e32 v57, v2
; %bb.1834:                             ;   in Loop: Header=BB2_1757 Depth=3
	s_or_b64 exec, exec, s[40:41]
	v_lshrrev_b64 v[24:25], 20, v[57:58]
	v_cmp_gt_i32_e32 vcc, 16, v7
	v_cndmask_b32_e32 v25, 0, v25, vcc
	v_cndmask_b32_e32 v24, 7, v24, vcc
	v_min_i32_e32 v2, 15, v7
	v_cmp_eq_u64_e64 s[40:41], 0, v[24:25]
	v_lshlrev_b32_e32 v2, 3, v2
	v_cmp_eq_u32_e32 vcc, 0, v7
	v_and_b32_e32 v2, 0xf8, v2
	v_and_or_b32 v2, v24, 7, v2
	s_and_b64 s[40:41], vcc, s[40:41]
	v_cndmask_b32_e64 v2, v2, 0, s[40:41]
	v_or_b32_e32 v7, v2, v16
.LBB2_1835:                             ;   in Loop: Header=BB2_1757 Depth=3
	s_or_b64 exec, exec, s[38:39]
                                        ; implicit-def: $vgpr16
.LBB2_1836:                             ;   in Loop: Header=BB2_1757 Depth=3
	s_andn2_saveexec_b64 s[40:41], s[36:37]
; %bb.1837:                             ;   in Loop: Header=BB2_1757 Depth=3
	v_or_b32_e32 v7, 0x7e, v16
; %bb.1838:                             ;   in Loop: Header=BB2_1757 Depth=3
	s_or_b64 exec, exec, s[40:41]
                                        ; implicit-def: $vgpr21
.LBB2_1839:                             ;   in Loop: Header=BB2_1757 Depth=3
	s_andn2_saveexec_b64 s[40:41], s[42:43]
; %bb.1840:                             ;   in Loop: Header=BB2_1757 Depth=3
	v_or_b32_sdwa v7, v21, s71 dst_sel:DWORD dst_unused:UNUSED_PAD src0_sel:BYTE_3 src1_sel:DWORD
; %bb.1841:                             ;   in Loop: Header=BB2_1757 Depth=3
	s_or_b64 exec, exec, s[40:41]
	v_cmp_lt_u32_e32 vcc, s57, v12
	v_mov_b32_e32 v16, 0
	s_and_saveexec_b64 s[40:41], vcc
	s_cbranch_execz .LBB2_1847
; %bb.1842:                             ;   in Loop: Header=BB2_1757 Depth=3
	v_lshrrev_b32_e32 v2, 24, v12
	v_cmp_ne_u32_e32 vcc, s70, v2
	v_bfrev_b32_e32 v16, 1
	s_and_saveexec_b64 s[42:43], vcc
	s_cbranch_execz .LBB2_1846
; %bb.1843:                             ;   in Loop: Header=BB2_1757 Depth=3
	v_bfe_u32 v21, v12, 24, 7
	v_cmp_ne_u32_e32 vcc, s71, v21
	v_mov_b32_e32 v16, 0x7f800001
	s_and_saveexec_b64 s[36:37], vcc
	s_cbranch_execz .LBB2_1845
; %bb.1844:                             ;   in Loop: Header=BB2_1757 Depth=3
	v_and_b32_e32 v16, 7, v2
	v_lshrrev_b32_e32 v26, 3, v21
	v_cmp_gt_u32_e32 vcc, 8, v21
	v_ffbh_u32_e32 v21, v16
	v_min_u32_e32 v21, 32, v21
	v_subrev_u32_e32 v24, 28, v21
	v_lshlrev_b64 v[24:25], v24, v[2:3]
	v_sub_u32_e32 v21, 29, v21
	v_and_b32_e32 v24, 7, v24
	v_cndmask_b32_e32 v21, v26, v21, vcc
	v_cndmask_b32_e32 v16, v16, v24, vcc
	v_lshlrev_b32_e32 v2, 24, v2
	v_lshlrev_b32_e32 v16, 20, v16
	v_and_b32_e32 v2, 0x80000000, v2
	v_lshl_add_u32 v21, v21, 23, v49
	v_or3_b32 v16, v2, v21, v16
.LBB2_1845:                             ;   in Loop: Header=BB2_1757 Depth=3
	s_or_b64 exec, exec, s[36:37]
.LBB2_1846:                             ;   in Loop: Header=BB2_1757 Depth=3
	s_or_b64 exec, exec, s[42:43]
.LBB2_1847:                             ;   in Loop: Header=BB2_1757 Depth=3
	s_or_b64 exec, exec, s[40:41]
	v_bfe_u32 v21, v8, 24, 3
	v_ffbh_u32_e32 v24, v21
	v_min_u32_e32 v30, 32, v24
	v_lshrrev_b32_e32 v2, 24, v8
	v_subrev_u32_e32 v24, 28, v30
	v_lshlrev_b64 v[24:25], v24, v[2:3]
	v_bfe_u32 v26, v8, 24, 7
	v_bfe_u32 v27, v2, 3, 4
	v_sub_u32_e32 v25, 29, v30
	v_and_b32_e32 v24, 7, v24
	v_cmp_gt_u32_e32 vcc, 8, v26
	v_cndmask_b32_e32 v25, v27, v25, vcc
	v_cndmask_b32_e32 v21, v21, v24, vcc
	v_lshlrev_b32_e32 v21, 20, v21
	v_and_b32_e32 v24, 0x80000000, v8
	v_lshl_add_u32 v25, v25, 23, v49
	v_or3_b32 v21, v24, v25, v21
	v_cmp_ne_u32_e32 vcc, s71, v26
	v_cndmask_b32_e32 v21, v5, v21, vcc
	v_cmp_ne_u32_e32 vcc, s70, v2
	v_cndmask_b32_e32 v2, v35, v21, vcc
	v_cmp_lt_u32_e32 vcc, s57, v8
	v_cndmask_b32_e32 v2, 0, v2, vcc
	v_mul_f32_e32 v24, v2, v16
	v_and_b32_e32 v2, 0x7f800000, v24
	v_cmp_ne_u64_e32 vcc, s[62:63], v[2:3]
                                        ; implicit-def: $vgpr21
	s_and_saveexec_b64 s[40:41], vcc
	s_xor_b64 s[42:43], exec, s[40:41]
	s_cbranch_execz .LBB2_1861
; %bb.1848:                             ;   in Loop: Header=BB2_1757 Depth=3
	v_and_b32_e32 v2, 0x7fffffff, v24
	v_cmp_gt_u64_e32 vcc, s[72:73], v[2:3]
	v_and_b32_sdwa v16, v24, s70 dst_sel:DWORD dst_unused:UNUSED_PAD src0_sel:BYTE_3 src1_sel:DWORD
                                        ; implicit-def: $vgpr21
	s_and_saveexec_b64 s[40:41], vcc
	s_xor_b64 s[36:37], exec, s[40:41]
	s_cbranch_execz .LBB2_1858
; %bb.1849:                             ;   in Loop: Header=BB2_1757 Depth=3
	v_mov_b32_e32 v21, 0
	v_cmp_ne_u32_e32 vcc, 0, v24
	s_and_saveexec_b64 s[38:39], vcc
	s_cbranch_execz .LBB2_1857
; %bb.1850:                             ;   in Loop: Header=BB2_1757 Depth=3
	v_bfe_u32 v21, v24, 23, 8
	v_and_b32_e32 v2, 0x7fffff, v24
	v_cmp_gt_u32_e64 s[40:41], s80, v21
	v_sub_u32_e32 v24, 0x79, v21
	v_cmp_eq_u32_e32 vcc, 0, v21
	v_cndmask_b32_e64 v24, 0, v24, s[40:41]
	v_or_b32_e32 v25, 0x800000, v2
	v_cndmask_b32_e32 v24, v24, v1, vcc
	v_cndmask_b32_e32 v2, v25, v2, vcc
	v_add_u32_e32 v25, 20, v24
	v_lshlrev_b64 v[25:26], v25, -1
	v_add_u32_e32 v27, 19, v24
	v_lshlrev_b64 v[57:58], v27, 1
	v_bfi_b32 v26, v26, 0, 0
	v_bfi_b32 v25, v25, 0, v2
	v_cmp_eq_u64_e64 s[40:41], v[25:26], v[57:58]
	v_lshrrev_b64 v[57:58], v24, v[2:3]
	v_mov_b32_e32 v59, v58
	v_mov_b32_e32 v58, v57
	s_and_saveexec_b64 s[48:49], s[40:41]
; %bb.1851:                             ;   in Loop: Header=BB2_1757 Depth=3
	v_bfe_u32 v2, v57, 20, 1
	v_add_co_u32_e64 v2, s[40:41], v57, v2
	v_add_co_u32_e64 v58, s[40:41], -1, v2
; %bb.1852:                             ;   in Loop: Header=BB2_1757 Depth=3
	s_or_b64 exec, exec, s[48:49]
	v_add_u32_e32 v2, 0xffffff81, v21
	v_cndmask_b32_e32 v2, v2, v0, vcc
	v_lshrrev_b32_e32 v21, 23, v57
	v_add3_u32 v25, v24, v2, v21
	v_add_u32_e32 v24, 6, v25
	v_and_b32_e32 v2, 0xfffff, v58
	v_add_u32_e32 v2, v2, v57
	v_cmp_ne_u32_e32 vcc, 0, v24
                                        ; implicit-def: $vgpr57_vgpr58
                                        ; implicit-def: $vgpr21
	s_and_saveexec_b64 s[40:41], vcc
	s_xor_b64 s[40:41], exec, s[40:41]
; %bb.1853:                             ;   in Loop: Header=BB2_1757 Depth=3
	v_cmp_lt_u64_e32 vcc, s[88:89], v[2:3]
	v_add_u32_e32 v21, 7, v25
	v_cndmask_b32_e32 v21, v24, v21, vcc
	v_cndmask_b32_e64 v24, 0, 1, vcc
	v_lshrrev_b64 v[57:58], v24, v[2:3]
; %bb.1854:                             ;   in Loop: Header=BB2_1757 Depth=3
	s_andn2_saveexec_b64 s[40:41], s[40:41]
; %bb.1855:                             ;   in Loop: Header=BB2_1757 Depth=3
	v_mov_b32_e32 v58, v3
	v_bfe_u32 v21, v2, 23, 1
	v_mov_b32_e32 v57, v2
; %bb.1856:                             ;   in Loop: Header=BB2_1757 Depth=3
	s_or_b64 exec, exec, s[40:41]
	v_lshrrev_b64 v[24:25], 20, v[57:58]
	v_cmp_gt_i32_e32 vcc, 16, v21
	v_cndmask_b32_e32 v25, 0, v25, vcc
	v_cndmask_b32_e32 v24, 7, v24, vcc
	v_min_i32_e32 v2, 15, v21
	v_cmp_eq_u64_e64 s[40:41], 0, v[24:25]
	v_lshlrev_b32_e32 v2, 3, v2
	v_cmp_eq_u32_e32 vcc, 0, v21
	v_and_b32_e32 v2, 0xf8, v2
	v_and_or_b32 v2, v24, 7, v2
	s_and_b64 s[40:41], vcc, s[40:41]
	v_cndmask_b32_e64 v2, v2, 0, s[40:41]
	v_or_b32_e32 v21, v2, v16
.LBB2_1857:                             ;   in Loop: Header=BB2_1757 Depth=3
	s_or_b64 exec, exec, s[38:39]
                                        ; implicit-def: $vgpr16
.LBB2_1858:                             ;   in Loop: Header=BB2_1757 Depth=3
	s_andn2_saveexec_b64 s[40:41], s[36:37]
; %bb.1859:                             ;   in Loop: Header=BB2_1757 Depth=3
	v_or_b32_e32 v21, 0x7e, v16
; %bb.1860:                             ;   in Loop: Header=BB2_1757 Depth=3
	s_or_b64 exec, exec, s[40:41]
                                        ; implicit-def: $vgpr24
.LBB2_1861:                             ;   in Loop: Header=BB2_1757 Depth=3
	s_andn2_saveexec_b64 s[40:41], s[42:43]
; %bb.1862:                             ;   in Loop: Header=BB2_1757 Depth=3
	v_or_b32_sdwa v21, v24, s71 dst_sel:DWORD dst_unused:UNUSED_PAD src0_sel:BYTE_3 src1_sel:DWORD
; %bb.1863:                             ;   in Loop: Header=BB2_1757 Depth=3
	s_or_b64 exec, exec, s[40:41]
	v_mov_b32_e32 v2, v13
	v_cmp_ne_u16_sdwa s[42:43], v13, v3 src0_sel:BYTE_0 src1_sel:DWORD
	v_mov_b32_e32 v16, 0
	s_and_saveexec_b64 s[40:41], s[42:43]
	s_cbranch_execz .LBB2_1869
; %bb.1864:                             ;   in Loop: Header=BB2_1757 Depth=3
	v_cmp_ne_u16_sdwa s[44:45], v13, s70 src0_sel:BYTE_0 src1_sel:DWORD
	v_bfrev_b32_e32 v16, 1
	s_and_saveexec_b64 s[42:43], s[44:45]
	s_cbranch_execz .LBB2_1868
; %bb.1865:                             ;   in Loop: Header=BB2_1757 Depth=3
	v_and_b32_e32 v24, 0x7f, v13
	v_cmp_ne_u32_e32 vcc, s71, v24
	v_mov_b32_e32 v16, 0x7f800001
	s_and_saveexec_b64 s[36:37], vcc
	s_cbranch_execz .LBB2_1867
; %bb.1866:                             ;   in Loop: Header=BB2_1757 Depth=3
	v_and_b32_e32 v16, 7, v13
	v_ffbh_u32_e32 v16, v16
	v_min_u32_e32 v16, 32, v16
	v_lshrrev_b32_e32 v25, 3, v24
	v_cmp_gt_u32_e32 vcc, 8, v24
	v_subrev_u32_e32 v24, 28, v16
	v_sub_u32_e32 v16, 29, v16
	v_cndmask_b32_e32 v24, 0, v24, vcc
	v_cndmask_b32_e32 v16, v25, v16, vcc
	v_lshlrev_b64 v[24:25], v24, v[2:3]
	v_lshlrev_b32_e32 v25, 24, v2
	v_lshlrev_b32_e32 v24, 20, v24
	v_and_b32_e32 v24, 0x700000, v24
	v_and_b32_e32 v25, 0x80000000, v25
	v_lshl_add_u32 v16, v16, 23, v49
	v_or3_b32 v16, v25, v16, v24
.LBB2_1867:                             ;   in Loop: Header=BB2_1757 Depth=3
	s_or_b64 exec, exec, s[36:37]
.LBB2_1868:                             ;   in Loop: Header=BB2_1757 Depth=3
	s_or_b64 exec, exec, s[42:43]
.LBB2_1869:                             ;   in Loop: Header=BB2_1757 Depth=3
	s_or_b64 exec, exec, s[40:41]
	v_cmp_gt_i16_sdwa s[42:43], v9, s71 src0_sel:BYTE_0 src1_sel:DWORD
	s_mov_b64 s[40:41], 0
	s_and_saveexec_b64 s[44:45], s[42:43]
	s_xor_b64 s[42:43], exec, s[44:45]
	s_cbranch_execz .LBB2_1873
; %bb.1870:                             ;   in Loop: Header=BB2_1757 Depth=3
	v_cmp_eq_u16_sdwa s[44:45], v9, s70 src0_sel:BYTE_0 src1_sel:DWORD
	s_mov_b64 s[40:41], -1
	s_and_saveexec_b64 vcc, s[44:45]
; %bb.1871:                             ;   in Loop: Header=BB2_1757 Depth=3
	s_xor_b64 s[40:41], exec, -1
; %bb.1872:                             ;   in Loop: Header=BB2_1757 Depth=3
	s_or_b64 exec, exec, vcc
	s_and_b64 s[40:41], s[40:41], exec
.LBB2_1873:                             ;   in Loop: Header=BB2_1757 Depth=3
	s_or_saveexec_b64 s[42:43], s[42:43]
	v_bfrev_b32_e32 v24, 1
	s_xor_b64 exec, exec, s[42:43]
; %bb.1874:                             ;   in Loop: Header=BB2_1757 Depth=3
	v_cmp_ne_u16_sdwa s[44:45], v9, v3 src0_sel:BYTE_0 src1_sel:DWORD
	s_andn2_b64 s[40:41], s[40:41], exec
	s_and_b64 s[44:45], s[44:45], exec
	v_mov_b32_e32 v24, 0
	s_or_b64 s[40:41], s[40:41], s[44:45]
; %bb.1875:                             ;   in Loop: Header=BB2_1757 Depth=3
	s_or_b64 exec, exec, s[42:43]
	v_mov_b32_e32 v57, v9
	v_mov_b32_e32 v58, v3
	s_and_saveexec_b64 s[42:43], s[40:41]
	s_cbranch_execz .LBB2_1877
; %bb.1876:                             ;   in Loop: Header=BB2_1757 Depth=3
	v_and_b32_e32 v24, 7, v9
	v_ffbh_u32_e32 v24, v24
	v_and_b32_e32 v26, 0x7f, v9
	v_min_u32_e32 v24, 32, v24
	v_bfe_u32 v25, v9, 3, 4
	v_subrev_u32_e32 v27, 28, v24
	v_sub_u32_e32 v24, 29, v24
	v_cmp_gt_u32_e32 vcc, 8, v26
	v_cndmask_b32_e32 v30, v25, v24, vcc
	v_cndmask_b32_e32 v24, 0, v27, vcc
	v_lshlrev_b64 v[24:25], v24, v[57:58]
	v_lshlrev_b32_e32 v25, 24, v57
	v_lshlrev_b32_e32 v24, 20, v24
	v_and_b32_e32 v24, 0x700000, v24
	v_and_b32_e32 v25, 0x80000000, v25
	v_lshl_add_u32 v27, v30, 23, v49
	v_or3_b32 v24, v25, v27, v24
	v_cmp_ne_u32_e32 vcc, s71, v26
	v_cndmask_b32_e32 v24, v5, v24, vcc
.LBB2_1877:                             ;   in Loop: Header=BB2_1757 Depth=3
	s_or_b64 exec, exec, s[42:43]
	v_mul_f32_e32 v24, v16, v24
	v_and_b32_e32 v25, 0x7f800000, v24
	v_mov_b32_e32 v26, v3
	v_cmp_ne_u64_e32 vcc, s[62:63], v[25:26]
                                        ; implicit-def: $vgpr26
	s_and_saveexec_b64 s[40:41], vcc
	s_xor_b64 s[42:43], exec, s[40:41]
	s_cbranch_execz .LBB2_1891
; %bb.1878:                             ;   in Loop: Header=BB2_1757 Depth=3
	v_and_b32_e32 v25, 0x7fffffff, v24
	v_mov_b32_e32 v26, v3
	v_cmp_gt_u64_e32 vcc, s[72:73], v[25:26]
	v_and_b32_sdwa v16, v24, s70 dst_sel:DWORD dst_unused:UNUSED_PAD src0_sel:BYTE_3 src1_sel:DWORD
                                        ; implicit-def: $vgpr26
	s_and_saveexec_b64 s[40:41], vcc
	s_xor_b64 s[36:37], exec, s[40:41]
	s_cbranch_execz .LBB2_1888
; %bb.1879:                             ;   in Loop: Header=BB2_1757 Depth=3
	v_mov_b32_e32 v26, 0
	v_cmp_ne_u32_e32 vcc, 0, v24
	s_and_saveexec_b64 s[38:39], vcc
	s_cbranch_execz .LBB2_1887
; %bb.1880:                             ;   in Loop: Header=BB2_1757 Depth=3
	v_and_b32_e32 v26, 0x7fffff, v24
	v_bfe_u32 v24, v24, 23, 8
	v_cmp_gt_u32_e64 s[40:41], s80, v24
	v_sub_u32_e32 v25, 0x79, v24
	v_cmp_eq_u32_e32 vcc, 0, v24
	v_cndmask_b32_e64 v25, 0, v25, s[40:41]
	v_cndmask_b32_e32 v25, v25, v1, vcc
	v_add_u32_e32 v30, 20, v25
	v_or_b32_e32 v27, 0x800000, v26
	v_lshlrev_b64 v[58:59], v30, -1
	v_add_u32_e32 v30, 19, v25
	v_cndmask_b32_e32 v26, v27, v26, vcc
	v_lshlrev_b64 v[44:45], v30, 1
	v_mov_b32_e32 v27, v3
	v_bfi_b32 v59, v59, 0, 0
	v_bfi_b32 v58, v58, 0, v26
	v_cmp_eq_u64_e64 s[40:41], v[58:59], v[44:45]
	v_lshrrev_b64 v[58:59], v25, v[26:27]
	v_mov_b32_e32 v60, v59
	v_mov_b32_e32 v59, v58
	s_and_saveexec_b64 s[48:49], s[40:41]
; %bb.1881:                             ;   in Loop: Header=BB2_1757 Depth=3
	v_bfe_u32 v26, v58, 20, 1
	v_add_co_u32_e64 v26, s[40:41], v58, v26
	v_add_co_u32_e64 v59, s[40:41], -1, v26
; %bb.1882:                             ;   in Loop: Header=BB2_1757 Depth=3
	s_or_b64 exec, exec, s[48:49]
	v_add_u32_e32 v24, 0xffffff81, v24
	v_cndmask_b32_e32 v24, v24, v0, vcc
	v_lshrrev_b32_e32 v26, 23, v58
	v_add3_u32 v26, v25, v24, v26
	v_add_u32_e32 v25, 6, v26
	v_and_b32_e32 v24, 0xfffff, v59
	v_add_u32_e32 v58, v24, v58
	v_mov_b32_e32 v59, v3
	v_cmp_ne_u32_e32 vcc, 0, v25
                                        ; implicit-def: $vgpr24
	s_and_saveexec_b64 s[40:41], vcc
	s_xor_b64 s[40:41], exec, s[40:41]
; %bb.1883:                             ;   in Loop: Header=BB2_1757 Depth=3
	v_cmp_lt_u64_e32 vcc, s[88:89], v[58:59]
	v_add_u32_e32 v24, 7, v26
	v_cndmask_b32_e32 v24, v25, v24, vcc
	v_cndmask_b32_e64 v25, 0, 1, vcc
	v_lshrrev_b64 v[58:59], v25, v[58:59]
; %bb.1884:                             ;   in Loop: Header=BB2_1757 Depth=3
	s_andn2_saveexec_b64 s[40:41], s[40:41]
; %bb.1885:                             ;   in Loop: Header=BB2_1757 Depth=3
	v_bfe_u32 v24, v58, 23, 1
; %bb.1886:                             ;   in Loop: Header=BB2_1757 Depth=3
	s_or_b64 exec, exec, s[40:41]
	v_lshrrev_b64 v[25:26], 20, v[58:59]
	v_cmp_gt_i32_e32 vcc, 16, v24
	v_cndmask_b32_e32 v26, 0, v26, vcc
	v_cndmask_b32_e32 v25, 7, v25, vcc
	v_cmp_eq_u32_e32 vcc, 0, v24
	v_min_i32_e32 v24, 15, v24
	v_cmp_eq_u64_e64 s[40:41], 0, v[25:26]
	v_lshlrev_b32_e32 v24, 3, v24
	v_and_b32_e32 v24, 0xf8, v24
	v_and_or_b32 v24, v25, 7, v24
	s_and_b64 s[40:41], vcc, s[40:41]
	v_cndmask_b32_e64 v24, v24, 0, s[40:41]
	v_or_b32_e32 v26, v24, v16
.LBB2_1887:                             ;   in Loop: Header=BB2_1757 Depth=3
	s_or_b64 exec, exec, s[38:39]
                                        ; implicit-def: $vgpr16
.LBB2_1888:                             ;   in Loop: Header=BB2_1757 Depth=3
	s_andn2_saveexec_b64 s[40:41], s[36:37]
; %bb.1889:                             ;   in Loop: Header=BB2_1757 Depth=3
	v_or_b32_e32 v26, 0x7e, v16
; %bb.1890:                             ;   in Loop: Header=BB2_1757 Depth=3
	s_or_b64 exec, exec, s[40:41]
                                        ; implicit-def: $vgpr24
.LBB2_1891:                             ;   in Loop: Header=BB2_1757 Depth=3
	s_andn2_saveexec_b64 s[40:41], s[42:43]
; %bb.1892:                             ;   in Loop: Header=BB2_1757 Depth=3
	v_or_b32_sdwa v26, v24, s71 dst_sel:DWORD dst_unused:UNUSED_PAD src0_sel:BYTE_3 src1_sel:DWORD
; %bb.1893:                             ;   in Loop: Header=BB2_1757 Depth=3
	s_or_b64 exec, exec, s[40:41]
	v_lshrrev_b16_e32 v30, 8, v2
	v_cmp_ne_u16_e32 vcc, 0, v30
	v_mov_b32_e32 v16, 0
	s_and_saveexec_b64 s[40:41], vcc
	s_cbranch_execz .LBB2_1899
; %bb.1894:                             ;   in Loop: Header=BB2_1757 Depth=3
	v_cmp_ne_u16_e32 vcc, s70, v30
	v_bfrev_b32_e32 v16, 1
	s_and_saveexec_b64 s[42:43], vcc
	s_cbranch_execz .LBB2_1898
; %bb.1895:                             ;   in Loop: Header=BB2_1757 Depth=3
	v_and_b32_e32 v24, 0x7f, v30
	v_cmp_ne_u32_e32 vcc, s71, v24
	v_mov_b32_e32 v16, 0x7f800001
	s_and_saveexec_b64 s[36:37], vcc
	s_cbranch_execz .LBB2_1897
; %bb.1896:                             ;   in Loop: Header=BB2_1757 Depth=3
	v_and_b32_e32 v16, 7, v30
	v_lshrrev_b32_e32 v27, 3, v24
	v_cmp_gt_u32_e32 vcc, 8, v24
	v_ffbh_u32_e32 v24, v16
	v_min_u32_e32 v34, 32, v24
	v_subrev_u32_e32 v24, 28, v34
	v_lshlrev_b64 v[24:25], v24, v[30:31]
	v_sub_u32_e32 v25, 29, v34
	v_and_b32_e32 v24, 7, v24
	v_cndmask_b32_e32 v25, v27, v25, vcc
	v_cndmask_b32_e32 v16, v16, v24, vcc
	v_lshlrev_b32_e32 v2, 16, v2
	v_lshlrev_b32_e32 v16, 20, v16
	v_and_b32_e32 v2, 0x80000000, v2
	v_lshl_add_u32 v24, v25, 23, v49
	v_or3_b32 v16, v2, v24, v16
.LBB2_1897:                             ;   in Loop: Header=BB2_1757 Depth=3
	s_or_b64 exec, exec, s[36:37]
.LBB2_1898:                             ;   in Loop: Header=BB2_1757 Depth=3
	s_or_b64 exec, exec, s[42:43]
.LBB2_1899:                             ;   in Loop: Header=BB2_1757 Depth=3
	s_or_b64 exec, exec, s[40:41]
	v_lshrrev_b16_e32 v2, 8, v57
	v_cmp_lt_i16_e32 vcc, s71, v2
	s_mov_b64 s[40:41], 0
	s_and_saveexec_b64 s[42:43], vcc
	s_xor_b64 s[42:43], exec, s[42:43]
	s_cbranch_execz .LBB2_2194
; %bb.1900:                             ;   in Loop: Header=BB2_1757 Depth=3
	v_cmp_eq_u16_e32 vcc, s70, v2
	s_mov_b64 s[40:41], -1
	s_and_saveexec_b64 s[36:37], vcc
; %bb.1901:                             ;   in Loop: Header=BB2_1757 Depth=3
	s_xor_b64 s[40:41], exec, -1
; %bb.1902:                             ;   in Loop: Header=BB2_1757 Depth=3
	s_or_b64 exec, exec, s[36:37]
	s_and_b64 s[40:41], s[40:41], exec
	s_or_saveexec_b64 s[42:43], s[42:43]
	v_bfrev_b32_e32 v24, 1
	s_xor_b64 exec, exec, s[42:43]
	s_cbranch_execnz .LBB2_2195
.LBB2_1903:                             ;   in Loop: Header=BB2_1757 Depth=3
	s_or_b64 exec, exec, s[42:43]
	s_and_saveexec_b64 s[42:43], s[40:41]
	s_cbranch_execz .LBB2_1905
.LBB2_1904:                             ;   in Loop: Header=BB2_1757 Depth=3
	v_and_b32_e32 v27, 7, v2
	v_ffbh_u32_e32 v24, v27
	v_min_u32_e32 v36, 32, v24
	v_subrev_u32_e32 v24, 28, v36
	v_lshlrev_b64 v[24:25], v24, v[2:3]
	v_and_b32_e32 v30, 0x7f, v2
	v_bfe_u32 v34, v2, 3, 4
	v_sub_u32_e32 v25, 29, v36
	v_and_b32_e32 v24, 7, v24
	v_cmp_gt_u32_e32 vcc, 8, v30
	v_cndmask_b32_e32 v25, v34, v25, vcc
	v_cndmask_b32_e32 v24, v27, v24, vcc
	v_lshlrev_b32_e32 v2, 24, v2
	v_lshlrev_b32_e32 v24, 20, v24
	v_and_b32_e32 v2, 0x80000000, v2
	v_lshl_add_u32 v25, v25, 23, v49
	v_or3_b32 v2, v2, v25, v24
	v_cmp_ne_u32_e32 vcc, s71, v30
	v_cndmask_b32_e32 v24, v5, v2, vcc
.LBB2_1905:                             ;   in Loop: Header=BB2_1757 Depth=3
	s_or_b64 exec, exec, s[42:43]
	v_mul_f32_e32 v24, v16, v24
	v_and_b32_e32 v2, 0x7f800000, v24
	v_cmp_ne_u64_e32 vcc, s[62:63], v[2:3]
                                        ; implicit-def: $vgpr27
	s_and_saveexec_b64 s[40:41], vcc
	s_xor_b64 s[42:43], exec, s[40:41]
	s_cbranch_execz .LBB2_1919
; %bb.1906:                             ;   in Loop: Header=BB2_1757 Depth=3
	v_and_b32_e32 v2, 0x7fffffff, v24
	v_cmp_gt_u64_e32 vcc, s[72:73], v[2:3]
	v_and_b32_sdwa v16, v24, s70 dst_sel:DWORD dst_unused:UNUSED_PAD src0_sel:BYTE_3 src1_sel:DWORD
                                        ; implicit-def: $vgpr27
	s_and_saveexec_b64 s[40:41], vcc
	s_xor_b64 s[36:37], exec, s[40:41]
	s_cbranch_execz .LBB2_1916
; %bb.1907:                             ;   in Loop: Header=BB2_1757 Depth=3
	v_mov_b32_e32 v27, 0
	v_cmp_ne_u32_e32 vcc, 0, v24
	s_and_saveexec_b64 s[38:39], vcc
	s_cbranch_execz .LBB2_1915
; %bb.1908:                             ;   in Loop: Header=BB2_1757 Depth=3
	v_and_b32_e32 v2, 0x7fffff, v24
	v_bfe_u32 v24, v24, 23, 8
	v_cmp_gt_u32_e64 s[40:41], s80, v24
	v_sub_u32_e32 v25, 0x79, v24
	v_cmp_eq_u32_e32 vcc, 0, v24
	v_cndmask_b32_e64 v25, 0, v25, s[40:41]
	v_or_b32_e32 v27, 0x800000, v2
	v_cndmask_b32_e32 v25, v25, v1, vcc
	v_cndmask_b32_e32 v2, v27, v2, vcc
	v_add_u32_e32 v27, 20, v25
	v_lshlrev_b64 v[44:45], v27, -1
	v_add_u32_e32 v27, 19, v25
	v_lshlrev_b64 v[57:58], v27, 1
	v_bfi_b32 v45, v45, 0, 0
	v_bfi_b32 v44, v44, 0, v2
	v_cmp_eq_u64_e64 s[40:41], v[44:45], v[57:58]
	v_lshrrev_b64 v[57:58], v25, v[2:3]
	v_mov_b32_e32 v59, v58
	v_mov_b32_e32 v58, v57
	s_and_saveexec_b64 s[48:49], s[40:41]
; %bb.1909:                             ;   in Loop: Header=BB2_1757 Depth=3
	v_bfe_u32 v2, v57, 20, 1
	v_add_co_u32_e64 v2, s[40:41], v57, v2
	v_add_co_u32_e64 v58, s[40:41], -1, v2
; %bb.1910:                             ;   in Loop: Header=BB2_1757 Depth=3
	s_or_b64 exec, exec, s[48:49]
	v_add_u32_e32 v2, 0xffffff81, v24
	v_cndmask_b32_e32 v2, v2, v0, vcc
	v_lshrrev_b32_e32 v24, 23, v57
	v_add3_u32 v27, v25, v2, v24
	v_add_u32_e32 v25, 6, v27
	v_and_b32_e32 v2, 0xfffff, v58
	v_add_u32_e32 v2, v2, v57
	v_cmp_ne_u32_e32 vcc, 0, v25
                                        ; implicit-def: $vgpr57_vgpr58
                                        ; implicit-def: $vgpr24
	s_and_saveexec_b64 s[40:41], vcc
	s_xor_b64 s[40:41], exec, s[40:41]
; %bb.1911:                             ;   in Loop: Header=BB2_1757 Depth=3
	v_cmp_lt_u64_e32 vcc, s[88:89], v[2:3]
	v_add_u32_e32 v24, 7, v27
	v_cndmask_b32_e32 v24, v25, v24, vcc
	v_cndmask_b32_e64 v25, 0, 1, vcc
	v_lshrrev_b64 v[57:58], v25, v[2:3]
; %bb.1912:                             ;   in Loop: Header=BB2_1757 Depth=3
	s_andn2_saveexec_b64 s[40:41], s[40:41]
; %bb.1913:                             ;   in Loop: Header=BB2_1757 Depth=3
	v_mov_b32_e32 v58, v3
	v_bfe_u32 v24, v2, 23, 1
	v_mov_b32_e32 v57, v2
; %bb.1914:                             ;   in Loop: Header=BB2_1757 Depth=3
	s_or_b64 exec, exec, s[40:41]
	v_lshrrev_b64 v[44:45], 20, v[57:58]
	v_cmp_gt_i32_e32 vcc, 16, v24
	v_cndmask_b32_e32 v45, 0, v45, vcc
	v_cndmask_b32_e32 v44, 7, v44, vcc
	v_min_i32_e32 v2, 15, v24
	v_cmp_eq_u64_e64 s[40:41], 0, v[44:45]
	v_lshlrev_b32_e32 v2, 3, v2
	v_cmp_eq_u32_e32 vcc, 0, v24
	v_and_b32_e32 v2, 0xf8, v2
	v_and_or_b32 v2, v44, 7, v2
	s_and_b64 s[40:41], vcc, s[40:41]
	v_cndmask_b32_e64 v2, v2, 0, s[40:41]
	v_or_b32_e32 v27, v2, v16
.LBB2_1915:                             ;   in Loop: Header=BB2_1757 Depth=3
	s_or_b64 exec, exec, s[38:39]
                                        ; implicit-def: $vgpr16
.LBB2_1916:                             ;   in Loop: Header=BB2_1757 Depth=3
	s_andn2_saveexec_b64 s[40:41], s[36:37]
; %bb.1917:                             ;   in Loop: Header=BB2_1757 Depth=3
	v_or_b32_e32 v27, 0x7e, v16
; %bb.1918:                             ;   in Loop: Header=BB2_1757 Depth=3
	s_or_b64 exec, exec, s[40:41]
                                        ; implicit-def: $vgpr24
.LBB2_1919:                             ;   in Loop: Header=BB2_1757 Depth=3
	s_andn2_saveexec_b64 s[40:41], s[42:43]
; %bb.1920:                             ;   in Loop: Header=BB2_1757 Depth=3
	v_or_b32_sdwa v27, v24, s71 dst_sel:DWORD dst_unused:UNUSED_PAD src0_sel:BYTE_3 src1_sel:DWORD
; %bb.1921:                             ;   in Loop: Header=BB2_1757 Depth=3
	s_or_b64 exec, exec, s[40:41]
	v_lshrrev_b32_e32 v2, 16, v13
	v_cmp_ne_u16_sdwa s[42:43], v2, v3 src0_sel:BYTE_0 src1_sel:DWORD
	v_mov_b32_e32 v16, 0
	s_and_saveexec_b64 s[40:41], s[42:43]
	s_cbranch_execz .LBB2_1927
; %bb.1922:                             ;   in Loop: Header=BB2_1757 Depth=3
	v_cmp_ne_u16_sdwa s[44:45], v2, s70 src0_sel:BYTE_0 src1_sel:DWORD
	v_bfrev_b32_e32 v16, 1
	s_and_saveexec_b64 s[42:43], s[44:45]
	s_cbranch_execz .LBB2_1926
; %bb.1923:                             ;   in Loop: Header=BB2_1757 Depth=3
	v_bfe_u32 v24, v13, 16, 7
	v_cmp_ne_u32_e32 vcc, s71, v24
	v_mov_b32_e32 v16, 0x7f800001
	s_and_saveexec_b64 s[36:37], vcc
	s_cbranch_execz .LBB2_1925
; %bb.1924:                             ;   in Loop: Header=BB2_1757 Depth=3
	v_and_b32_e32 v16, 7, v2
	v_lshrrev_b32_e32 v30, 3, v24
	v_cmp_gt_u32_e32 vcc, 8, v24
	v_ffbh_u32_e32 v24, v16
	v_min_u32_e32 v34, 32, v24
	v_subrev_u32_e32 v24, 28, v34
	v_lshlrev_b64 v[24:25], v24, v[2:3]
	v_sub_u32_e32 v25, 29, v34
	v_and_b32_e32 v24, 7, v24
	v_cndmask_b32_e32 v25, v30, v25, vcc
	v_cndmask_b32_e32 v16, v16, v24, vcc
	v_lshlrev_b32_e32 v2, 24, v2
	v_lshlrev_b32_e32 v16, 20, v16
	v_and_b32_e32 v2, 0x80000000, v2
	v_lshl_add_u32 v24, v25, 23, v49
	v_or3_b32 v16, v2, v24, v16
.LBB2_1925:                             ;   in Loop: Header=BB2_1757 Depth=3
	s_or_b64 exec, exec, s[36:37]
.LBB2_1926:                             ;   in Loop: Header=BB2_1757 Depth=3
	s_or_b64 exec, exec, s[42:43]
.LBB2_1927:                             ;   in Loop: Header=BB2_1757 Depth=3
	s_or_b64 exec, exec, s[40:41]
	v_lshrrev_b32_e32 v2, 16, v9
	v_cmp_gt_i16_sdwa s[42:43], v2, s71 src0_sel:BYTE_0 src1_sel:DWORD
	s_mov_b64 s[40:41], 0
	s_and_saveexec_b64 s[44:45], s[42:43]
	s_xor_b64 s[42:43], exec, s[44:45]
	s_cbranch_execz .LBB2_2196
; %bb.1928:                             ;   in Loop: Header=BB2_1757 Depth=3
	v_cmp_eq_u16_sdwa s[44:45], v2, s70 src0_sel:BYTE_0 src1_sel:DWORD
	s_mov_b64 s[40:41], -1
	s_and_saveexec_b64 vcc, s[44:45]
; %bb.1929:                             ;   in Loop: Header=BB2_1757 Depth=3
	s_xor_b64 s[40:41], exec, -1
; %bb.1930:                             ;   in Loop: Header=BB2_1757 Depth=3
	s_or_b64 exec, exec, vcc
	s_and_b64 s[40:41], s[40:41], exec
	s_or_saveexec_b64 s[42:43], s[42:43]
	v_bfrev_b32_e32 v24, 1
	s_xor_b64 exec, exec, s[42:43]
	s_cbranch_execnz .LBB2_2197
.LBB2_1931:                             ;   in Loop: Header=BB2_1757 Depth=3
	s_or_b64 exec, exec, s[42:43]
	s_and_saveexec_b64 s[42:43], s[40:41]
	s_cbranch_execz .LBB2_1933
.LBB2_1932:                             ;   in Loop: Header=BB2_1757 Depth=3
	v_and_b32_e32 v30, 7, v2
	v_ffbh_u32_e32 v24, v30
	v_min_u32_e32 v48, 32, v24
	v_subrev_u32_e32 v24, 28, v48
	v_lshlrev_b64 v[24:25], v24, v[2:3]
	v_and_b32_e32 v34, 0x7f, v2
	v_bfe_u32 v36, v2, 3, 4
	v_sub_u32_e32 v25, 29, v48
	v_and_b32_e32 v24, 7, v24
	v_cmp_gt_u32_e32 vcc, 8, v34
	v_cndmask_b32_e32 v25, v36, v25, vcc
	v_cndmask_b32_e32 v24, v30, v24, vcc
	v_lshlrev_b32_e32 v2, 24, v2
	v_lshlrev_b32_e32 v24, 20, v24
	v_and_b32_e32 v2, 0x80000000, v2
	v_lshl_add_u32 v25, v25, 23, v49
	v_or3_b32 v2, v2, v25, v24
	v_cmp_ne_u32_e32 vcc, s71, v34
	v_cndmask_b32_e32 v24, v5, v2, vcc
.LBB2_1933:                             ;   in Loop: Header=BB2_1757 Depth=3
	s_or_b64 exec, exec, s[42:43]
	v_mul_f32_e32 v24, v16, v24
	v_and_b32_e32 v2, 0x7f800000, v24
	v_cmp_ne_u64_e32 vcc, s[62:63], v[2:3]
                                        ; implicit-def: $vgpr30
	s_and_saveexec_b64 s[40:41], vcc
	s_xor_b64 s[42:43], exec, s[40:41]
	s_cbranch_execz .LBB2_1947
; %bb.1934:                             ;   in Loop: Header=BB2_1757 Depth=3
	v_and_b32_e32 v2, 0x7fffffff, v24
	v_cmp_gt_u64_e32 vcc, s[72:73], v[2:3]
	v_and_b32_sdwa v16, v24, s70 dst_sel:DWORD dst_unused:UNUSED_PAD src0_sel:BYTE_3 src1_sel:DWORD
                                        ; implicit-def: $vgpr30
	s_and_saveexec_b64 s[40:41], vcc
	s_xor_b64 s[36:37], exec, s[40:41]
	s_cbranch_execz .LBB2_1944
; %bb.1935:                             ;   in Loop: Header=BB2_1757 Depth=3
	v_mov_b32_e32 v30, 0
	v_cmp_ne_u32_e32 vcc, 0, v24
	s_and_saveexec_b64 s[38:39], vcc
	s_cbranch_execz .LBB2_1943
; %bb.1936:                             ;   in Loop: Header=BB2_1757 Depth=3
	v_and_b32_e32 v2, 0x7fffff, v24
	v_bfe_u32 v24, v24, 23, 8
	v_cmp_gt_u32_e64 s[40:41], s80, v24
	v_sub_u32_e32 v25, 0x79, v24
	v_cmp_eq_u32_e32 vcc, 0, v24
	v_cndmask_b32_e64 v25, 0, v25, s[40:41]
	v_or_b32_e32 v30, 0x800000, v2
	v_cndmask_b32_e32 v25, v25, v1, vcc
	v_cndmask_b32_e32 v2, v30, v2, vcc
	v_add_u32_e32 v30, 20, v25
	v_lshlrev_b64 v[44:45], v30, -1
	v_add_u32_e32 v30, 19, v25
	v_lshlrev_b64 v[57:58], v30, 1
	v_bfi_b32 v45, v45, 0, 0
	v_bfi_b32 v44, v44, 0, v2
	v_cmp_eq_u64_e64 s[40:41], v[44:45], v[57:58]
	v_lshrrev_b64 v[57:58], v25, v[2:3]
	v_mov_b32_e32 v59, v58
	v_mov_b32_e32 v58, v57
	s_and_saveexec_b64 s[48:49], s[40:41]
; %bb.1937:                             ;   in Loop: Header=BB2_1757 Depth=3
	v_bfe_u32 v2, v57, 20, 1
	v_add_co_u32_e64 v2, s[40:41], v57, v2
	v_add_co_u32_e64 v58, s[40:41], -1, v2
; %bb.1938:                             ;   in Loop: Header=BB2_1757 Depth=3
	s_or_b64 exec, exec, s[48:49]
	v_add_u32_e32 v2, 0xffffff81, v24
	v_cndmask_b32_e32 v2, v2, v0, vcc
	v_lshrrev_b32_e32 v24, 23, v57
	v_add3_u32 v30, v25, v2, v24
	v_add_u32_e32 v25, 6, v30
	v_and_b32_e32 v2, 0xfffff, v58
	v_add_u32_e32 v2, v2, v57
	v_cmp_ne_u32_e32 vcc, 0, v25
                                        ; implicit-def: $vgpr57_vgpr58
                                        ; implicit-def: $vgpr24
	s_and_saveexec_b64 s[40:41], vcc
	s_xor_b64 s[40:41], exec, s[40:41]
; %bb.1939:                             ;   in Loop: Header=BB2_1757 Depth=3
	v_cmp_lt_u64_e32 vcc, s[88:89], v[2:3]
	v_add_u32_e32 v24, 7, v30
	v_cndmask_b32_e32 v24, v25, v24, vcc
	v_cndmask_b32_e64 v25, 0, 1, vcc
	v_lshrrev_b64 v[57:58], v25, v[2:3]
; %bb.1940:                             ;   in Loop: Header=BB2_1757 Depth=3
	s_andn2_saveexec_b64 s[40:41], s[40:41]
; %bb.1941:                             ;   in Loop: Header=BB2_1757 Depth=3
	v_mov_b32_e32 v58, v3
	v_bfe_u32 v24, v2, 23, 1
	v_mov_b32_e32 v57, v2
; %bb.1942:                             ;   in Loop: Header=BB2_1757 Depth=3
	s_or_b64 exec, exec, s[40:41]
	v_lshrrev_b64 v[44:45], 20, v[57:58]
	v_cmp_gt_i32_e32 vcc, 16, v24
	v_cndmask_b32_e32 v45, 0, v45, vcc
	v_cndmask_b32_e32 v44, 7, v44, vcc
	v_min_i32_e32 v2, 15, v24
	v_cmp_eq_u64_e64 s[40:41], 0, v[44:45]
	v_lshlrev_b32_e32 v2, 3, v2
	v_cmp_eq_u32_e32 vcc, 0, v24
	v_and_b32_e32 v2, 0xf8, v2
	v_and_or_b32 v2, v44, 7, v2
	s_and_b64 s[40:41], vcc, s[40:41]
	v_cndmask_b32_e64 v2, v2, 0, s[40:41]
	v_or_b32_e32 v30, v2, v16
.LBB2_1943:                             ;   in Loop: Header=BB2_1757 Depth=3
	s_or_b64 exec, exec, s[38:39]
                                        ; implicit-def: $vgpr16
.LBB2_1944:                             ;   in Loop: Header=BB2_1757 Depth=3
	s_andn2_saveexec_b64 s[40:41], s[36:37]
; %bb.1945:                             ;   in Loop: Header=BB2_1757 Depth=3
	v_or_b32_e32 v30, 0x7e, v16
; %bb.1946:                             ;   in Loop: Header=BB2_1757 Depth=3
	s_or_b64 exec, exec, s[40:41]
                                        ; implicit-def: $vgpr24
.LBB2_1947:                             ;   in Loop: Header=BB2_1757 Depth=3
	s_andn2_saveexec_b64 s[40:41], s[42:43]
; %bb.1948:                             ;   in Loop: Header=BB2_1757 Depth=3
	v_or_b32_sdwa v30, v24, s71 dst_sel:DWORD dst_unused:UNUSED_PAD src0_sel:BYTE_3 src1_sel:DWORD
; %bb.1949:                             ;   in Loop: Header=BB2_1757 Depth=3
	s_or_b64 exec, exec, s[40:41]
	v_cmp_lt_u64_e32 vcc, s[56:57], v[12:13]
	v_mov_b32_e32 v12, 0
	s_and_saveexec_b64 s[40:41], vcc
	s_cbranch_execz .LBB2_1955
; %bb.1950:                             ;   in Loop: Header=BB2_1757 Depth=3
	v_lshrrev_b32_e32 v2, 24, v13
	v_cmp_ne_u32_e32 vcc, s70, v2
	v_bfrev_b32_e32 v12, 1
	s_and_saveexec_b64 s[42:43], vcc
	s_cbranch_execz .LBB2_1954
; %bb.1951:                             ;   in Loop: Header=BB2_1757 Depth=3
	v_bfe_u32 v13, v13, 24, 7
	v_cmp_ne_u32_e32 vcc, s71, v13
	v_mov_b32_e32 v12, 0x7f800001
	s_and_saveexec_b64 s[36:37], vcc
	s_cbranch_execz .LBB2_1953
; %bb.1952:                             ;   in Loop: Header=BB2_1757 Depth=3
	v_and_b32_e32 v16, 7, v2
	v_ffbh_u32_e32 v12, v16
	v_min_u32_e32 v25, 32, v12
	v_subrev_u32_e32 v12, 28, v25
	v_lshrrev_b32_e32 v24, 3, v13
	v_cmp_gt_u32_e32 vcc, 8, v13
	v_lshlrev_b64 v[12:13], v12, v[2:3]
	v_sub_u32_e32 v13, 29, v25
	v_and_b32_e32 v12, 7, v12
	v_cndmask_b32_e32 v13, v24, v13, vcc
	v_cndmask_b32_e32 v12, v16, v12, vcc
	v_lshlrev_b32_e32 v2, 24, v2
	v_lshlrev_b32_e32 v12, 20, v12
	v_and_b32_e32 v2, 0x80000000, v2
	v_lshl_add_u32 v13, v13, 23, v49
	v_or3_b32 v12, v2, v13, v12
.LBB2_1953:                             ;   in Loop: Header=BB2_1757 Depth=3
	s_or_b64 exec, exec, s[36:37]
.LBB2_1954:                             ;   in Loop: Header=BB2_1757 Depth=3
	s_or_b64 exec, exec, s[42:43]
.LBB2_1955:                             ;   in Loop: Header=BB2_1757 Depth=3
	s_or_b64 exec, exec, s[40:41]
	v_bfe_u32 v13, v9, 24, 3
	v_ffbh_u32_e32 v24, v13
	v_min_u32_e32 v36, 32, v24
	v_lshrrev_b32_e32 v2, 24, v9
	v_subrev_u32_e32 v24, 28, v36
	v_lshlrev_b64 v[24:25], v24, v[2:3]
	v_bfe_u32 v16, v9, 24, 7
	v_bfe_u32 v34, v2, 3, 4
	v_sub_u32_e32 v25, 29, v36
	v_and_b32_e32 v24, 7, v24
	v_cmp_gt_u32_e32 vcc, 8, v16
	v_cndmask_b32_e32 v25, v34, v25, vcc
	v_cndmask_b32_e32 v13, v13, v24, vcc
	v_lshlrev_b32_e32 v13, 20, v13
	v_and_b32_e32 v24, 0x80000000, v9
	v_lshl_add_u32 v25, v25, 23, v49
	v_or3_b32 v13, v24, v25, v13
	v_cmp_ne_u32_e32 vcc, s71, v16
	v_cndmask_b32_e32 v13, v5, v13, vcc
	v_cmp_ne_u32_e32 vcc, s70, v2
	v_cndmask_b32_e32 v2, v35, v13, vcc
	v_cmp_lt_u64_e32 vcc, s[56:57], v[8:9]
                                        ; implicit-def: $vgpr34
	v_cndmask_b32_e32 v2, 0, v2, vcc
	v_mul_f32_e32 v8, v2, v12
	v_and_b32_e32 v2, 0x7f800000, v8
	v_cmp_ne_u64_e32 vcc, s[62:63], v[2:3]
	s_and_saveexec_b64 s[40:41], vcc
	s_xor_b64 s[42:43], exec, s[40:41]
	s_cbranch_execz .LBB2_1969
; %bb.1956:                             ;   in Loop: Header=BB2_1757 Depth=3
	v_and_b32_e32 v2, 0x7fffffff, v8
	v_cmp_gt_u64_e32 vcc, s[72:73], v[2:3]
	v_and_b32_sdwa v16, v8, s70 dst_sel:DWORD dst_unused:UNUSED_PAD src0_sel:BYTE_3 src1_sel:DWORD
                                        ; implicit-def: $vgpr34
	s_and_saveexec_b64 s[40:41], vcc
	s_xor_b64 s[36:37], exec, s[40:41]
	s_cbranch_execz .LBB2_1966
; %bb.1957:                             ;   in Loop: Header=BB2_1757 Depth=3
	v_mov_b32_e32 v34, 0
	v_cmp_ne_u32_e32 vcc, 0, v8
	s_and_saveexec_b64 s[38:39], vcc
	s_cbranch_execz .LBB2_1965
; %bb.1958:                             ;   in Loop: Header=BB2_1757 Depth=3
	v_bfe_u32 v24, v8, 23, 8
	v_and_b32_e32 v2, 0x7fffff, v8
	v_cmp_gt_u32_e64 s[40:41], s80, v24
	v_sub_u32_e32 v8, 0x79, v24
	v_cmp_eq_u32_e32 vcc, 0, v24
	v_cndmask_b32_e64 v8, 0, v8, s[40:41]
	v_cndmask_b32_e32 v25, v8, v1, vcc
	v_or_b32_e32 v9, 0x800000, v2
	v_add_u32_e32 v8, 20, v25
	v_cndmask_b32_e32 v2, v9, v2, vcc
	v_lshlrev_b64 v[8:9], v8, -1
	v_add_u32_e32 v12, 19, v25
	v_lshlrev_b64 v[12:13], v12, 1
	v_bfi_b32 v9, v9, 0, 0
	v_bfi_b32 v8, v8, 0, v2
	v_cmp_eq_u64_e64 s[40:41], v[8:9], v[12:13]
	v_lshrrev_b64 v[8:9], v25, v[2:3]
	v_mov_b32_e32 v13, v9
	v_mov_b32_e32 v12, v8
	s_and_saveexec_b64 s[48:49], s[40:41]
; %bb.1959:                             ;   in Loop: Header=BB2_1757 Depth=3
	v_bfe_u32 v2, v8, 20, 1
	v_add_co_u32_e64 v2, s[40:41], v8, v2
	v_add_co_u32_e64 v12, s[40:41], -1, v2
; %bb.1960:                             ;   in Loop: Header=BB2_1757 Depth=3
	s_or_b64 exec, exec, s[48:49]
	v_add_u32_e32 v2, 0xffffff81, v24
	v_cndmask_b32_e32 v2, v2, v0, vcc
	v_lshrrev_b32_e32 v9, 23, v8
	v_add3_u32 v24, v25, v2, v9
	v_add_u32_e32 v13, 6, v24
	v_and_b32_e32 v2, 0xfffff, v12
	v_add_u32_e32 v2, v2, v8
	v_cmp_ne_u32_e32 vcc, 0, v13
                                        ; implicit-def: $vgpr8_vgpr9
                                        ; implicit-def: $vgpr12
	s_and_saveexec_b64 s[40:41], vcc
	s_xor_b64 s[40:41], exec, s[40:41]
; %bb.1961:                             ;   in Loop: Header=BB2_1757 Depth=3
	v_cmp_lt_u64_e32 vcc, s[88:89], v[2:3]
	v_add_u32_e32 v8, 7, v24
	v_cndmask_b32_e32 v12, v13, v8, vcc
	v_cndmask_b32_e64 v8, 0, 1, vcc
	v_lshrrev_b64 v[8:9], v8, v[2:3]
; %bb.1962:                             ;   in Loop: Header=BB2_1757 Depth=3
	s_andn2_saveexec_b64 s[40:41], s[40:41]
; %bb.1963:                             ;   in Loop: Header=BB2_1757 Depth=3
	v_mov_b32_e32 v9, v3
	v_bfe_u32 v12, v2, 23, 1
	v_mov_b32_e32 v8, v2
; %bb.1964:                             ;   in Loop: Header=BB2_1757 Depth=3
	s_or_b64 exec, exec, s[40:41]
	v_lshrrev_b64 v[8:9], 20, v[8:9]
	v_cmp_gt_i32_e32 vcc, 16, v12
	v_cndmask_b32_e32 v9, 0, v9, vcc
	v_cndmask_b32_e32 v8, 7, v8, vcc
	v_min_i32_e32 v2, 15, v12
	v_cmp_eq_u64_e64 s[40:41], 0, v[8:9]
	v_lshlrev_b32_e32 v2, 3, v2
	v_cmp_eq_u32_e32 vcc, 0, v12
	v_and_b32_e32 v2, 0xf8, v2
	v_and_or_b32 v2, v8, 7, v2
	s_and_b64 s[40:41], vcc, s[40:41]
	v_cndmask_b32_e64 v2, v2, 0, s[40:41]
	v_or_b32_e32 v34, v2, v16
.LBB2_1965:                             ;   in Loop: Header=BB2_1757 Depth=3
	s_or_b64 exec, exec, s[38:39]
                                        ; implicit-def: $vgpr16
.LBB2_1966:                             ;   in Loop: Header=BB2_1757 Depth=3
	s_andn2_saveexec_b64 s[40:41], s[36:37]
; %bb.1967:                             ;   in Loop: Header=BB2_1757 Depth=3
	v_or_b32_e32 v34, 0x7e, v16
; %bb.1968:                             ;   in Loop: Header=BB2_1757 Depth=3
	s_or_b64 exec, exec, s[40:41]
                                        ; implicit-def: $vgpr8
.LBB2_1969:                             ;   in Loop: Header=BB2_1757 Depth=3
	s_andn2_saveexec_b64 s[40:41], s[42:43]
; %bb.1970:                             ;   in Loop: Header=BB2_1757 Depth=3
	v_or_b32_sdwa v34, v8, s71 dst_sel:DWORD dst_unused:UNUSED_PAD src0_sel:BYTE_3 src1_sel:DWORD
; %bb.1971:                             ;   in Loop: Header=BB2_1757 Depth=3
	s_or_b64 exec, exec, s[40:41]
	v_cmp_ne_u16_sdwa s[42:43], v14, v3 src0_sel:BYTE_0 src1_sel:DWORD
	v_mov_b32_e32 v2, 0
	s_and_saveexec_b64 s[40:41], s[42:43]
	s_cbranch_execz .LBB2_1977
; %bb.1972:                             ;   in Loop: Header=BB2_1757 Depth=3
	v_cmp_ne_u16_sdwa s[44:45], v14, s70 src0_sel:BYTE_0 src1_sel:DWORD
	v_bfrev_b32_e32 v2, 1
	s_and_saveexec_b64 s[42:43], s[44:45]
	s_cbranch_execz .LBB2_1976
; %bb.1973:                             ;   in Loop: Header=BB2_1757 Depth=3
	v_and_b32_e32 v8, 0x7f, v14
	v_cmp_ne_u32_e32 vcc, s71, v8
	v_mov_b32_e32 v2, 0x7f800001
	s_and_saveexec_b64 s[36:37], vcc
	s_cbranch_execz .LBB2_1975
; %bb.1974:                             ;   in Loop: Header=BB2_1757 Depth=3
	v_and_b32_e32 v2, 7, v14
	v_ffbh_u32_e32 v2, v2
	v_min_u32_e32 v2, 32, v2
	v_lshrrev_b32_e32 v9, 3, v8
	v_cmp_gt_u32_e32 vcc, 8, v8
	v_subrev_u32_e32 v8, 28, v2
	v_sub_u32_e32 v2, 29, v2
	v_cndmask_b32_e32 v8, 0, v8, vcc
	v_cndmask_b32_e32 v2, v9, v2, vcc
	v_lshlrev_b64 v[8:9], v8, v[14:15]
	v_lshlrev_b32_e32 v9, 24, v14
	v_lshlrev_b32_e32 v8, 20, v8
	v_and_b32_e32 v8, 0x700000, v8
	v_and_b32_e32 v9, 0x80000000, v9
	v_lshl_add_u32 v2, v2, 23, v49
	v_or3_b32 v2, v9, v2, v8
.LBB2_1975:                             ;   in Loop: Header=BB2_1757 Depth=3
	s_or_b64 exec, exec, s[36:37]
.LBB2_1976:                             ;   in Loop: Header=BB2_1757 Depth=3
	s_or_b64 exec, exec, s[42:43]
.LBB2_1977:                             ;   in Loop: Header=BB2_1757 Depth=3
	s_or_b64 exec, exec, s[40:41]
	v_cmp_gt_i16_sdwa s[42:43], v10, s71 src0_sel:BYTE_0 src1_sel:DWORD
	s_mov_b64 s[40:41], 0
	s_and_saveexec_b64 s[44:45], s[42:43]
	s_xor_b64 s[42:43], exec, s[44:45]
	s_cbranch_execz .LBB2_2198
; %bb.1978:                             ;   in Loop: Header=BB2_1757 Depth=3
	v_cmp_eq_u16_sdwa s[44:45], v10, s70 src0_sel:BYTE_0 src1_sel:DWORD
	s_mov_b64 s[40:41], -1
	s_and_saveexec_b64 vcc, s[44:45]
; %bb.1979:                             ;   in Loop: Header=BB2_1757 Depth=3
	s_xor_b64 s[40:41], exec, -1
; %bb.1980:                             ;   in Loop: Header=BB2_1757 Depth=3
	s_or_b64 exec, exec, vcc
	s_and_b64 s[40:41], s[40:41], exec
	s_or_saveexec_b64 s[42:43], s[42:43]
	v_bfrev_b32_e32 v8, 1
	s_xor_b64 exec, exec, s[42:43]
	s_cbranch_execnz .LBB2_2199
.LBB2_1981:                             ;   in Loop: Header=BB2_1757 Depth=3
	s_or_b64 exec, exec, s[42:43]
	s_and_saveexec_b64 s[42:43], s[40:41]
	s_cbranch_execz .LBB2_1983
.LBB2_1982:                             ;   in Loop: Header=BB2_1757 Depth=3
	v_and_b32_e32 v8, 7, v10
	v_ffbh_u32_e32 v8, v8
	v_and_b32_e32 v12, 0x7f, v10
	v_min_u32_e32 v8, 32, v8
	v_bfe_u32 v9, v10, 3, 4
	v_subrev_u32_e32 v13, 28, v8
	v_sub_u32_e32 v8, 29, v8
	v_cmp_gt_u32_e32 vcc, 8, v12
	v_cndmask_b32_e32 v16, v9, v8, vcc
	v_cndmask_b32_e32 v8, 0, v13, vcc
	v_lshlrev_b64 v[8:9], v8, v[10:11]
	v_lshlrev_b32_e32 v9, 24, v10
	v_lshlrev_b32_e32 v8, 20, v8
	v_and_b32_e32 v8, 0x700000, v8
	v_and_b32_e32 v9, 0x80000000, v9
	v_lshl_add_u32 v13, v16, 23, v49
	v_or3_b32 v8, v9, v13, v8
	v_cmp_ne_u32_e32 vcc, s71, v12
	v_cndmask_b32_e32 v8, v5, v8, vcc
.LBB2_1983:                             ;   in Loop: Header=BB2_1757 Depth=3
	s_or_b64 exec, exec, s[42:43]
	v_mul_f32_e32 v8, v2, v8
	v_and_b32_e32 v2, 0x7f800000, v8
	v_cmp_ne_u64_e32 vcc, s[62:63], v[2:3]
                                        ; implicit-def: $vgpr52
	s_and_saveexec_b64 s[40:41], vcc
	s_xor_b64 s[42:43], exec, s[40:41]
	s_cbranch_execz .LBB2_1997
; %bb.1984:                             ;   in Loop: Header=BB2_1757 Depth=3
	v_and_b32_e32 v2, 0x7fffffff, v8
	v_cmp_gt_u64_e32 vcc, s[72:73], v[2:3]
	v_and_b32_sdwa v16, v8, s70 dst_sel:DWORD dst_unused:UNUSED_PAD src0_sel:BYTE_3 src1_sel:DWORD
                                        ; implicit-def: $vgpr52
	s_and_saveexec_b64 s[40:41], vcc
	s_xor_b64 s[36:37], exec, s[40:41]
	s_cbranch_execz .LBB2_1994
; %bb.1985:                             ;   in Loop: Header=BB2_1757 Depth=3
	v_mov_b32_e32 v52, 0
	v_cmp_ne_u32_e32 vcc, 0, v8
	s_and_saveexec_b64 s[38:39], vcc
	s_cbranch_execz .LBB2_1993
; %bb.1986:                             ;   in Loop: Header=BB2_1757 Depth=3
	v_bfe_u32 v24, v8, 23, 8
	v_and_b32_e32 v2, 0x7fffff, v8
	v_cmp_gt_u32_e64 s[40:41], s80, v24
	v_sub_u32_e32 v8, 0x79, v24
	v_cmp_eq_u32_e32 vcc, 0, v24
	v_cndmask_b32_e64 v8, 0, v8, s[40:41]
	v_cndmask_b32_e32 v25, v8, v1, vcc
	v_or_b32_e32 v9, 0x800000, v2
	v_add_u32_e32 v8, 20, v25
	v_cndmask_b32_e32 v2, v9, v2, vcc
	v_lshlrev_b64 v[8:9], v8, -1
	v_add_u32_e32 v12, 19, v25
	v_lshlrev_b64 v[12:13], v12, 1
	v_bfi_b32 v9, v9, 0, 0
	v_bfi_b32 v8, v8, 0, v2
	v_cmp_eq_u64_e64 s[40:41], v[8:9], v[12:13]
	v_lshrrev_b64 v[8:9], v25, v[2:3]
	v_mov_b32_e32 v13, v9
	v_mov_b32_e32 v12, v8
	s_and_saveexec_b64 s[48:49], s[40:41]
; %bb.1987:                             ;   in Loop: Header=BB2_1757 Depth=3
	v_bfe_u32 v2, v8, 20, 1
	v_add_co_u32_e64 v2, s[40:41], v8, v2
	v_add_co_u32_e64 v12, s[40:41], -1, v2
; %bb.1988:                             ;   in Loop: Header=BB2_1757 Depth=3
	s_or_b64 exec, exec, s[48:49]
	v_add_u32_e32 v2, 0xffffff81, v24
	v_cndmask_b32_e32 v2, v2, v0, vcc
	v_lshrrev_b32_e32 v9, 23, v8
	v_add3_u32 v24, v25, v2, v9
	v_add_u32_e32 v13, 6, v24
	v_and_b32_e32 v2, 0xfffff, v12
	v_add_u32_e32 v2, v2, v8
	v_cmp_ne_u32_e32 vcc, 0, v13
                                        ; implicit-def: $vgpr8_vgpr9
                                        ; implicit-def: $vgpr12
	s_and_saveexec_b64 s[40:41], vcc
	s_xor_b64 s[40:41], exec, s[40:41]
; %bb.1989:                             ;   in Loop: Header=BB2_1757 Depth=3
	v_cmp_lt_u64_e32 vcc, s[88:89], v[2:3]
	v_add_u32_e32 v8, 7, v24
	v_cndmask_b32_e32 v12, v13, v8, vcc
	v_cndmask_b32_e64 v8, 0, 1, vcc
	v_lshrrev_b64 v[8:9], v8, v[2:3]
; %bb.1990:                             ;   in Loop: Header=BB2_1757 Depth=3
	s_andn2_saveexec_b64 s[40:41], s[40:41]
; %bb.1991:                             ;   in Loop: Header=BB2_1757 Depth=3
	v_mov_b32_e32 v9, v3
	v_bfe_u32 v12, v2, 23, 1
	v_mov_b32_e32 v8, v2
; %bb.1992:                             ;   in Loop: Header=BB2_1757 Depth=3
	s_or_b64 exec, exec, s[40:41]
	v_lshrrev_b64 v[8:9], 20, v[8:9]
	v_cmp_gt_i32_e32 vcc, 16, v12
	v_cndmask_b32_e32 v9, 0, v9, vcc
	v_cndmask_b32_e32 v8, 7, v8, vcc
	v_min_i32_e32 v2, 15, v12
	v_cmp_eq_u64_e64 s[40:41], 0, v[8:9]
	v_lshlrev_b32_e32 v2, 3, v2
	v_cmp_eq_u32_e32 vcc, 0, v12
	v_and_b32_e32 v2, 0xf8, v2
	v_and_or_b32 v2, v8, 7, v2
	s_and_b64 s[40:41], vcc, s[40:41]
	v_cndmask_b32_e64 v2, v2, 0, s[40:41]
	v_or_b32_e32 v52, v2, v16
.LBB2_1993:                             ;   in Loop: Header=BB2_1757 Depth=3
	s_or_b64 exec, exec, s[38:39]
                                        ; implicit-def: $vgpr16
.LBB2_1994:                             ;   in Loop: Header=BB2_1757 Depth=3
	s_andn2_saveexec_b64 s[40:41], s[36:37]
; %bb.1995:                             ;   in Loop: Header=BB2_1757 Depth=3
	v_or_b32_e32 v52, 0x7e, v16
; %bb.1996:                             ;   in Loop: Header=BB2_1757 Depth=3
	s_or_b64 exec, exec, s[40:41]
                                        ; implicit-def: $vgpr8
.LBB2_1997:                             ;   in Loop: Header=BB2_1757 Depth=3
	s_andn2_saveexec_b64 s[40:41], s[42:43]
; %bb.1998:                             ;   in Loop: Header=BB2_1757 Depth=3
	v_or_b32_sdwa v52, v8, s71 dst_sel:DWORD dst_unused:UNUSED_PAD src0_sel:BYTE_3 src1_sel:DWORD
; %bb.1999:                             ;   in Loop: Header=BB2_1757 Depth=3
	s_or_b64 exec, exec, s[40:41]
	v_lshrrev_b16_e32 v2, 8, v14
	v_cmp_ne_u16_e32 vcc, 0, v2
	v_mov_b32_e32 v8, 0
	s_and_saveexec_b64 s[40:41], vcc
	s_cbranch_execz .LBB2_2005
; %bb.2000:                             ;   in Loop: Header=BB2_1757 Depth=3
	v_cmp_ne_u16_e32 vcc, s70, v2
	v_bfrev_b32_e32 v8, 1
	s_and_saveexec_b64 s[42:43], vcc
	s_cbranch_execz .LBB2_2004
; %bb.2001:                             ;   in Loop: Header=BB2_1757 Depth=3
	v_and_b32_e32 v9, 0x7f, v2
	v_cmp_ne_u32_e32 vcc, s71, v9
	v_mov_b32_e32 v8, 0x7f800001
	s_and_saveexec_b64 s[36:37], vcc
	s_cbranch_execz .LBB2_2003
; %bb.2002:                             ;   in Loop: Header=BB2_1757 Depth=3
	v_and_b32_e32 v12, 7, v2
	v_ffbh_u32_e32 v8, v12
	v_min_u32_e32 v16, 32, v8
	v_subrev_u32_e32 v8, 28, v16
	v_lshrrev_b32_e32 v13, 3, v9
	v_cmp_gt_u32_e32 vcc, 8, v9
	v_lshlrev_b64 v[8:9], v8, v[2:3]
	v_sub_u32_e32 v2, 29, v16
	v_and_b32_e32 v8, 7, v8
	v_cndmask_b32_e32 v2, v13, v2, vcc
	v_cndmask_b32_e32 v8, v12, v8, vcc
	v_lshlrev_b32_e32 v9, 16, v14
	v_lshlrev_b32_e32 v8, 20, v8
	v_and_b32_e32 v9, 0x80000000, v9
	v_lshl_add_u32 v2, v2, 23, v49
	v_or3_b32 v8, v9, v2, v8
.LBB2_2003:                             ;   in Loop: Header=BB2_1757 Depth=3
	s_or_b64 exec, exec, s[36:37]
.LBB2_2004:                             ;   in Loop: Header=BB2_1757 Depth=3
	s_or_b64 exec, exec, s[42:43]
.LBB2_2005:                             ;   in Loop: Header=BB2_1757 Depth=3
	s_or_b64 exec, exec, s[40:41]
	v_lshrrev_b16_e32 v2, 8, v10
	v_cmp_lt_i16_e32 vcc, s71, v2
	s_mov_b64 s[40:41], 0
	s_and_saveexec_b64 s[42:43], vcc
	s_xor_b64 s[42:43], exec, s[42:43]
	s_cbranch_execz .LBB2_2200
; %bb.2006:                             ;   in Loop: Header=BB2_1757 Depth=3
	v_cmp_eq_u16_e32 vcc, s70, v2
	s_mov_b64 s[40:41], -1
	s_and_saveexec_b64 s[36:37], vcc
; %bb.2007:                             ;   in Loop: Header=BB2_1757 Depth=3
	s_xor_b64 s[40:41], exec, -1
; %bb.2008:                             ;   in Loop: Header=BB2_1757 Depth=3
	s_or_b64 exec, exec, s[36:37]
	s_and_b64 s[40:41], s[40:41], exec
	s_or_saveexec_b64 s[42:43], s[42:43]
	v_bfrev_b32_e32 v9, 1
	s_xor_b64 exec, exec, s[42:43]
	s_cbranch_execnz .LBB2_2201
.LBB2_2009:                             ;   in Loop: Header=BB2_1757 Depth=3
	s_or_b64 exec, exec, s[42:43]
	s_and_saveexec_b64 s[42:43], s[40:41]
	s_cbranch_execz .LBB2_2011
.LBB2_2010:                             ;   in Loop: Header=BB2_1757 Depth=3
	v_and_b32_e32 v9, 7, v2
	v_ffbh_u32_e32 v12, v9
	v_min_u32_e32 v25, 32, v12
	v_subrev_u32_e32 v12, 28, v25
	v_lshlrev_b64 v[12:13], v12, v[2:3]
	v_and_b32_e32 v16, 0x7f, v2
	v_bfe_u32 v24, v2, 3, 4
	v_sub_u32_e32 v13, 29, v25
	v_and_b32_e32 v12, 7, v12
	v_cmp_gt_u32_e32 vcc, 8, v16
	v_cndmask_b32_e32 v13, v24, v13, vcc
	v_cndmask_b32_e32 v9, v9, v12, vcc
	v_lshlrev_b32_e32 v2, 24, v2
	v_lshlrev_b32_e32 v9, 20, v9
	v_and_b32_e32 v2, 0x80000000, v2
	v_lshl_add_u32 v12, v13, 23, v49
	v_or3_b32 v2, v2, v12, v9
	v_cmp_ne_u32_e32 vcc, s71, v16
	v_cndmask_b32_e32 v9, v5, v2, vcc
.LBB2_2011:                             ;   in Loop: Header=BB2_1757 Depth=3
	s_or_b64 exec, exec, s[42:43]
	v_mul_f32_e32 v8, v8, v9
	v_and_b32_e32 v2, 0x7f800000, v8
	v_cmp_ne_u64_e32 vcc, s[62:63], v[2:3]
                                        ; implicit-def: $vgpr16
	s_and_saveexec_b64 s[40:41], vcc
	s_xor_b64 s[42:43], exec, s[40:41]
	s_cbranch_execz .LBB2_2025
; %bb.2012:                             ;   in Loop: Header=BB2_1757 Depth=3
	v_and_b32_e32 v2, 0x7fffffff, v8
	v_cmp_gt_u64_e32 vcc, s[72:73], v[2:3]
	v_and_b32_sdwa v24, v8, s70 dst_sel:DWORD dst_unused:UNUSED_PAD src0_sel:BYTE_3 src1_sel:DWORD
                                        ; implicit-def: $vgpr16
	s_and_saveexec_b64 s[40:41], vcc
	s_xor_b64 s[36:37], exec, s[40:41]
	s_cbranch_execz .LBB2_2022
; %bb.2013:                             ;   in Loop: Header=BB2_1757 Depth=3
	v_mov_b32_e32 v16, 0
	v_cmp_ne_u32_e32 vcc, 0, v8
	s_and_saveexec_b64 s[38:39], vcc
	s_cbranch_execz .LBB2_2021
; %bb.2014:                             ;   in Loop: Header=BB2_1757 Depth=3
	v_bfe_u32 v16, v8, 23, 8
	v_and_b32_e32 v2, 0x7fffff, v8
	v_cmp_gt_u32_e64 s[40:41], s80, v16
	v_sub_u32_e32 v8, 0x79, v16
	v_cmp_eq_u32_e32 vcc, 0, v16
	v_cndmask_b32_e64 v8, 0, v8, s[40:41]
	v_cndmask_b32_e32 v25, v8, v1, vcc
	v_or_b32_e32 v9, 0x800000, v2
	v_add_u32_e32 v8, 20, v25
	v_cndmask_b32_e32 v2, v9, v2, vcc
	v_lshlrev_b64 v[8:9], v8, -1
	v_add_u32_e32 v12, 19, v25
	v_lshlrev_b64 v[12:13], v12, 1
	v_bfi_b32 v9, v9, 0, 0
	v_bfi_b32 v8, v8, 0, v2
	v_cmp_eq_u64_e64 s[40:41], v[8:9], v[12:13]
	v_lshrrev_b64 v[8:9], v25, v[2:3]
	v_mov_b32_e32 v13, v9
	v_mov_b32_e32 v12, v8
	s_and_saveexec_b64 s[48:49], s[40:41]
; %bb.2015:                             ;   in Loop: Header=BB2_1757 Depth=3
	v_bfe_u32 v2, v8, 20, 1
	v_add_co_u32_e64 v2, s[40:41], v8, v2
	v_add_co_u32_e64 v12, s[40:41], -1, v2
; %bb.2016:                             ;   in Loop: Header=BB2_1757 Depth=3
	s_or_b64 exec, exec, s[48:49]
	v_add_u32_e32 v2, 0xffffff81, v16
	v_cndmask_b32_e32 v2, v2, v0, vcc
	v_lshrrev_b32_e32 v9, 23, v8
	v_add3_u32 v16, v25, v2, v9
	v_add_u32_e32 v13, 6, v16
	v_and_b32_e32 v2, 0xfffff, v12
	v_add_u32_e32 v2, v2, v8
	v_cmp_ne_u32_e32 vcc, 0, v13
                                        ; implicit-def: $vgpr8_vgpr9
                                        ; implicit-def: $vgpr12
	s_and_saveexec_b64 s[40:41], vcc
	s_xor_b64 s[40:41], exec, s[40:41]
; %bb.2017:                             ;   in Loop: Header=BB2_1757 Depth=3
	v_cmp_lt_u64_e32 vcc, s[88:89], v[2:3]
	v_add_u32_e32 v8, 7, v16
	v_cndmask_b32_e32 v12, v13, v8, vcc
	v_cndmask_b32_e64 v8, 0, 1, vcc
	v_lshrrev_b64 v[8:9], v8, v[2:3]
; %bb.2018:                             ;   in Loop: Header=BB2_1757 Depth=3
	s_andn2_saveexec_b64 s[40:41], s[40:41]
; %bb.2019:                             ;   in Loop: Header=BB2_1757 Depth=3
	v_mov_b32_e32 v9, v3
	v_bfe_u32 v12, v2, 23, 1
	v_mov_b32_e32 v8, v2
; %bb.2020:                             ;   in Loop: Header=BB2_1757 Depth=3
	s_or_b64 exec, exec, s[40:41]
	v_lshrrev_b64 v[8:9], 20, v[8:9]
	v_cmp_gt_i32_e32 vcc, 16, v12
	v_cndmask_b32_e32 v9, 0, v9, vcc
	v_cndmask_b32_e32 v8, 7, v8, vcc
	v_min_i32_e32 v2, 15, v12
	v_cmp_eq_u64_e64 s[40:41], 0, v[8:9]
	v_lshlrev_b32_e32 v2, 3, v2
	v_cmp_eq_u32_e32 vcc, 0, v12
	v_and_b32_e32 v2, 0xf8, v2
	v_and_or_b32 v2, v8, 7, v2
	s_and_b64 s[40:41], vcc, s[40:41]
	v_cndmask_b32_e64 v2, v2, 0, s[40:41]
	v_or_b32_e32 v16, v2, v24
.LBB2_2021:                             ;   in Loop: Header=BB2_1757 Depth=3
	s_or_b64 exec, exec, s[38:39]
                                        ; implicit-def: $vgpr24
.LBB2_2022:                             ;   in Loop: Header=BB2_1757 Depth=3
	s_andn2_saveexec_b64 s[40:41], s[36:37]
; %bb.2023:                             ;   in Loop: Header=BB2_1757 Depth=3
	v_or_b32_e32 v16, 0x7e, v24
; %bb.2024:                             ;   in Loop: Header=BB2_1757 Depth=3
	s_or_b64 exec, exec, s[40:41]
                                        ; implicit-def: $vgpr8
.LBB2_2025:                             ;   in Loop: Header=BB2_1757 Depth=3
	s_andn2_saveexec_b64 s[40:41], s[42:43]
; %bb.2026:                             ;   in Loop: Header=BB2_1757 Depth=3
	v_or_b32_sdwa v16, v8, s71 dst_sel:DWORD dst_unused:UNUSED_PAD src0_sel:BYTE_3 src1_sel:DWORD
; %bb.2027:                             ;   in Loop: Header=BB2_1757 Depth=3
	s_or_b64 exec, exec, s[40:41]
	v_lshrrev_b32_e32 v2, 16, v14
	v_cmp_ne_u16_sdwa s[42:43], v2, v3 src0_sel:BYTE_0 src1_sel:DWORD
	v_mov_b32_e32 v8, 0
	s_and_saveexec_b64 s[40:41], s[42:43]
	s_cbranch_execz .LBB2_2033
; %bb.2028:                             ;   in Loop: Header=BB2_1757 Depth=3
	v_cmp_ne_u16_sdwa s[44:45], v2, s70 src0_sel:BYTE_0 src1_sel:DWORD
	v_bfrev_b32_e32 v8, 1
	s_and_saveexec_b64 s[42:43], s[44:45]
	s_cbranch_execz .LBB2_2032
; %bb.2029:                             ;   in Loop: Header=BB2_1757 Depth=3
	v_bfe_u32 v9, v14, 16, 7
	v_cmp_ne_u32_e32 vcc, s71, v9
	v_mov_b32_e32 v8, 0x7f800001
	s_and_saveexec_b64 s[36:37], vcc
	s_cbranch_execz .LBB2_2031
; %bb.2030:                             ;   in Loop: Header=BB2_1757 Depth=3
	v_and_b32_e32 v12, 7, v2
	v_ffbh_u32_e32 v8, v12
	v_min_u32_e32 v24, 32, v8
	v_subrev_u32_e32 v8, 28, v24
	v_lshrrev_b32_e32 v13, 3, v9
	v_cmp_gt_u32_e32 vcc, 8, v9
	v_lshlrev_b64 v[8:9], v8, v[2:3]
	v_sub_u32_e32 v9, 29, v24
	v_and_b32_e32 v8, 7, v8
	v_cndmask_b32_e32 v9, v13, v9, vcc
	v_cndmask_b32_e32 v8, v12, v8, vcc
	v_lshlrev_b32_e32 v2, 24, v2
	v_lshlrev_b32_e32 v8, 20, v8
	v_and_b32_e32 v2, 0x80000000, v2
	v_lshl_add_u32 v9, v9, 23, v49
	v_or3_b32 v8, v2, v9, v8
.LBB2_2031:                             ;   in Loop: Header=BB2_1757 Depth=3
	s_or_b64 exec, exec, s[36:37]
.LBB2_2032:                             ;   in Loop: Header=BB2_1757 Depth=3
	s_or_b64 exec, exec, s[42:43]
.LBB2_2033:                             ;   in Loop: Header=BB2_1757 Depth=3
	s_or_b64 exec, exec, s[40:41]
	v_lshrrev_b32_e32 v2, 16, v10
	v_cmp_gt_i16_sdwa s[42:43], v2, s71 src0_sel:BYTE_0 src1_sel:DWORD
	s_mov_b64 s[40:41], 0
	s_and_saveexec_b64 s[44:45], s[42:43]
	s_xor_b64 s[42:43], exec, s[44:45]
	s_cbranch_execz .LBB2_2202
; %bb.2034:                             ;   in Loop: Header=BB2_1757 Depth=3
	v_cmp_eq_u16_sdwa s[44:45], v2, s70 src0_sel:BYTE_0 src1_sel:DWORD
	s_mov_b64 s[40:41], -1
	s_and_saveexec_b64 vcc, s[44:45]
; %bb.2035:                             ;   in Loop: Header=BB2_1757 Depth=3
	s_xor_b64 s[40:41], exec, -1
; %bb.2036:                             ;   in Loop: Header=BB2_1757 Depth=3
	s_or_b64 exec, exec, vcc
	s_and_b64 s[40:41], s[40:41], exec
	s_or_saveexec_b64 s[42:43], s[42:43]
	v_bfrev_b32_e32 v9, 1
	s_xor_b64 exec, exec, s[42:43]
	s_cbranch_execnz .LBB2_2203
.LBB2_2037:                             ;   in Loop: Header=BB2_1757 Depth=3
	s_or_b64 exec, exec, s[42:43]
	s_and_saveexec_b64 s[42:43], s[40:41]
	s_cbranch_execz .LBB2_2039
.LBB2_2038:                             ;   in Loop: Header=BB2_1757 Depth=3
	v_and_b32_e32 v9, 7, v2
	v_ffbh_u32_e32 v12, v9
	v_min_u32_e32 v36, 32, v12
	v_subrev_u32_e32 v12, 28, v36
	v_lshlrev_b64 v[12:13], v12, v[2:3]
	v_and_b32_e32 v24, 0x7f, v2
	v_bfe_u32 v25, v2, 3, 4
	v_sub_u32_e32 v13, 29, v36
	v_and_b32_e32 v12, 7, v12
	v_cmp_gt_u32_e32 vcc, 8, v24
	v_cndmask_b32_e32 v13, v25, v13, vcc
	v_cndmask_b32_e32 v9, v9, v12, vcc
	v_lshlrev_b32_e32 v2, 24, v2
	v_lshlrev_b32_e32 v9, 20, v9
	v_and_b32_e32 v2, 0x80000000, v2
	v_lshl_add_u32 v12, v13, 23, v49
	v_or3_b32 v2, v2, v12, v9
	v_cmp_ne_u32_e32 vcc, s71, v24
	v_cndmask_b32_e32 v9, v5, v2, vcc
.LBB2_2039:                             ;   in Loop: Header=BB2_1757 Depth=3
	s_or_b64 exec, exec, s[42:43]
	v_mul_f32_e32 v8, v8, v9
	v_and_b32_e32 v2, 0x7f800000, v8
	v_cmp_ne_u64_e32 vcc, s[62:63], v[2:3]
                                        ; implicit-def: $vgpr48
	s_and_saveexec_b64 s[40:41], vcc
	s_xor_b64 s[42:43], exec, s[40:41]
	s_cbranch_execz .LBB2_2053
; %bb.2040:                             ;   in Loop: Header=BB2_1757 Depth=3
	v_and_b32_e32 v2, 0x7fffffff, v8
	v_cmp_gt_u64_e32 vcc, s[72:73], v[2:3]
	v_and_b32_sdwa v24, v8, s70 dst_sel:DWORD dst_unused:UNUSED_PAD src0_sel:BYTE_3 src1_sel:DWORD
                                        ; implicit-def: $vgpr48
	s_and_saveexec_b64 s[40:41], vcc
	s_xor_b64 s[36:37], exec, s[40:41]
	s_cbranch_execz .LBB2_2050
; %bb.2041:                             ;   in Loop: Header=BB2_1757 Depth=3
	v_mov_b32_e32 v48, 0
	v_cmp_ne_u32_e32 vcc, 0, v8
	s_and_saveexec_b64 s[38:39], vcc
	s_cbranch_execz .LBB2_2049
; %bb.2042:                             ;   in Loop: Header=BB2_1757 Depth=3
	v_bfe_u32 v25, v8, 23, 8
	v_and_b32_e32 v2, 0x7fffff, v8
	v_cmp_gt_u32_e64 s[40:41], s80, v25
	v_sub_u32_e32 v8, 0x79, v25
	v_cmp_eq_u32_e32 vcc, 0, v25
	v_cndmask_b32_e64 v8, 0, v8, s[40:41]
	v_cndmask_b32_e32 v36, v8, v1, vcc
	v_or_b32_e32 v9, 0x800000, v2
	v_add_u32_e32 v8, 20, v36
	v_cndmask_b32_e32 v2, v9, v2, vcc
	v_lshlrev_b64 v[8:9], v8, -1
	v_add_u32_e32 v12, 19, v36
	v_lshlrev_b64 v[12:13], v12, 1
	v_bfi_b32 v9, v9, 0, 0
	v_bfi_b32 v8, v8, 0, v2
	v_cmp_eq_u64_e64 s[40:41], v[8:9], v[12:13]
	v_lshrrev_b64 v[8:9], v36, v[2:3]
	v_mov_b32_e32 v13, v9
	v_mov_b32_e32 v12, v8
	s_and_saveexec_b64 s[48:49], s[40:41]
; %bb.2043:                             ;   in Loop: Header=BB2_1757 Depth=3
	v_bfe_u32 v2, v8, 20, 1
	v_add_co_u32_e64 v2, s[40:41], v8, v2
	v_add_co_u32_e64 v12, s[40:41], -1, v2
; %bb.2044:                             ;   in Loop: Header=BB2_1757 Depth=3
	s_or_b64 exec, exec, s[48:49]
	v_add_u32_e32 v2, 0xffffff81, v25
	v_cndmask_b32_e32 v2, v2, v0, vcc
	v_lshrrev_b32_e32 v9, 23, v8
	v_add3_u32 v25, v36, v2, v9
	v_add_u32_e32 v13, 6, v25
	v_and_b32_e32 v2, 0xfffff, v12
	v_add_u32_e32 v2, v2, v8
	v_cmp_ne_u32_e32 vcc, 0, v13
                                        ; implicit-def: $vgpr8_vgpr9
                                        ; implicit-def: $vgpr12
	s_and_saveexec_b64 s[40:41], vcc
	s_xor_b64 s[40:41], exec, s[40:41]
; %bb.2045:                             ;   in Loop: Header=BB2_1757 Depth=3
	v_cmp_lt_u64_e32 vcc, s[88:89], v[2:3]
	v_add_u32_e32 v8, 7, v25
	v_cndmask_b32_e32 v12, v13, v8, vcc
	v_cndmask_b32_e64 v8, 0, 1, vcc
	v_lshrrev_b64 v[8:9], v8, v[2:3]
; %bb.2046:                             ;   in Loop: Header=BB2_1757 Depth=3
	s_andn2_saveexec_b64 s[40:41], s[40:41]
; %bb.2047:                             ;   in Loop: Header=BB2_1757 Depth=3
	v_mov_b32_e32 v9, v3
	v_bfe_u32 v12, v2, 23, 1
	v_mov_b32_e32 v8, v2
; %bb.2048:                             ;   in Loop: Header=BB2_1757 Depth=3
	s_or_b64 exec, exec, s[40:41]
	v_lshrrev_b64 v[8:9], 20, v[8:9]
	v_cmp_gt_i32_e32 vcc, 16, v12
	v_cndmask_b32_e32 v9, 0, v9, vcc
	v_cndmask_b32_e32 v8, 7, v8, vcc
	v_min_i32_e32 v2, 15, v12
	v_cmp_eq_u64_e64 s[40:41], 0, v[8:9]
	v_lshlrev_b32_e32 v2, 3, v2
	v_cmp_eq_u32_e32 vcc, 0, v12
	v_and_b32_e32 v2, 0xf8, v2
	v_and_or_b32 v2, v8, 7, v2
	s_and_b64 s[40:41], vcc, s[40:41]
	v_cndmask_b32_e64 v2, v2, 0, s[40:41]
	v_or_b32_e32 v48, v2, v24
.LBB2_2049:                             ;   in Loop: Header=BB2_1757 Depth=3
	s_or_b64 exec, exec, s[38:39]
                                        ; implicit-def: $vgpr24
.LBB2_2050:                             ;   in Loop: Header=BB2_1757 Depth=3
	s_andn2_saveexec_b64 s[40:41], s[36:37]
; %bb.2051:                             ;   in Loop: Header=BB2_1757 Depth=3
	v_or_b32_e32 v48, 0x7e, v24
; %bb.2052:                             ;   in Loop: Header=BB2_1757 Depth=3
	s_or_b64 exec, exec, s[40:41]
                                        ; implicit-def: $vgpr8
.LBB2_2053:                             ;   in Loop: Header=BB2_1757 Depth=3
	s_andn2_saveexec_b64 s[40:41], s[42:43]
; %bb.2054:                             ;   in Loop: Header=BB2_1757 Depth=3
	v_or_b32_sdwa v48, v8, s71 dst_sel:DWORD dst_unused:UNUSED_PAD src0_sel:BYTE_3 src1_sel:DWORD
; %bb.2055:                             ;   in Loop: Header=BB2_1757 Depth=3
	s_or_b64 exec, exec, s[40:41]
	v_cmp_lt_u32_e32 vcc, s57, v14
	v_mov_b32_e32 v8, 0
	s_and_saveexec_b64 s[40:41], vcc
	s_cbranch_execz .LBB2_2061
; %bb.2056:                             ;   in Loop: Header=BB2_1757 Depth=3
	v_lshrrev_b32_e32 v2, 24, v14
	v_cmp_ne_u32_e32 vcc, s70, v2
	v_bfrev_b32_e32 v8, 1
	s_and_saveexec_b64 s[42:43], vcc
	s_cbranch_execz .LBB2_2060
; %bb.2057:                             ;   in Loop: Header=BB2_1757 Depth=3
	v_bfe_u32 v9, v14, 24, 7
	v_cmp_ne_u32_e32 vcc, s71, v9
	v_mov_b32_e32 v8, 0x7f800001
	s_and_saveexec_b64 s[36:37], vcc
	s_cbranch_execz .LBB2_2059
; %bb.2058:                             ;   in Loop: Header=BB2_1757 Depth=3
	v_and_b32_e32 v12, 7, v2
	v_ffbh_u32_e32 v8, v12
	v_min_u32_e32 v24, 32, v8
	v_subrev_u32_e32 v8, 28, v24
	v_lshrrev_b32_e32 v13, 3, v9
	v_cmp_gt_u32_e32 vcc, 8, v9
	v_lshlrev_b64 v[8:9], v8, v[2:3]
	v_sub_u32_e32 v9, 29, v24
	v_and_b32_e32 v8, 7, v8
	v_cndmask_b32_e32 v9, v13, v9, vcc
	v_cndmask_b32_e32 v8, v12, v8, vcc
	v_lshlrev_b32_e32 v2, 24, v2
	v_lshlrev_b32_e32 v8, 20, v8
	v_and_b32_e32 v2, 0x80000000, v2
	v_lshl_add_u32 v9, v9, 23, v49
	v_or3_b32 v8, v2, v9, v8
.LBB2_2059:                             ;   in Loop: Header=BB2_1757 Depth=3
	s_or_b64 exec, exec, s[36:37]
.LBB2_2060:                             ;   in Loop: Header=BB2_1757 Depth=3
	s_or_b64 exec, exec, s[42:43]
.LBB2_2061:                             ;   in Loop: Header=BB2_1757 Depth=3
	s_or_b64 exec, exec, s[40:41]
	v_bfe_u32 v9, v10, 24, 3
	v_ffbh_u32_e32 v12, v9
	v_min_u32_e32 v36, 32, v12
	v_lshrrev_b32_e32 v2, 24, v10
	v_subrev_u32_e32 v12, 28, v36
	v_lshlrev_b64 v[12:13], v12, v[2:3]
	v_bfe_u32 v24, v10, 24, 7
	v_bfe_u32 v25, v2, 3, 4
	v_sub_u32_e32 v13, 29, v36
	v_and_b32_e32 v12, 7, v12
	v_cmp_gt_u32_e32 vcc, 8, v24
	v_cndmask_b32_e32 v13, v25, v13, vcc
	v_cndmask_b32_e32 v9, v9, v12, vcc
	v_lshlrev_b32_e32 v9, 20, v9
	v_and_b32_e32 v12, 0x80000000, v10
	v_lshl_add_u32 v13, v13, 23, v49
	v_or3_b32 v9, v12, v13, v9
	v_cmp_ne_u32_e32 vcc, s71, v24
	v_cndmask_b32_e32 v9, v5, v9, vcc
	v_cmp_ne_u32_e32 vcc, s70, v2
	v_cndmask_b32_e32 v2, v35, v9, vcc
	v_cmp_lt_u32_e32 vcc, s57, v10
	v_cndmask_b32_e32 v2, 0, v2, vcc
	v_mul_f32_e32 v8, v2, v8
	v_and_b32_e32 v2, 0x7f800000, v8
	v_cmp_ne_u64_e32 vcc, s[62:63], v[2:3]
                                        ; implicit-def: $vgpr59
	s_and_saveexec_b64 s[40:41], vcc
	s_xor_b64 s[42:43], exec, s[40:41]
	s_cbranch_execz .LBB2_2075
; %bb.2062:                             ;   in Loop: Header=BB2_1757 Depth=3
	v_and_b32_e32 v2, 0x7fffffff, v8
	v_cmp_gt_u64_e32 vcc, s[72:73], v[2:3]
	v_and_b32_sdwa v24, v8, s70 dst_sel:DWORD dst_unused:UNUSED_PAD src0_sel:BYTE_3 src1_sel:DWORD
                                        ; implicit-def: $vgpr59
	s_and_saveexec_b64 s[40:41], vcc
	s_xor_b64 s[36:37], exec, s[40:41]
	s_cbranch_execz .LBB2_2072
; %bb.2063:                             ;   in Loop: Header=BB2_1757 Depth=3
	v_mov_b32_e32 v59, 0
	v_cmp_ne_u32_e32 vcc, 0, v8
	s_and_saveexec_b64 s[38:39], vcc
	s_cbranch_execz .LBB2_2071
; %bb.2064:                             ;   in Loop: Header=BB2_1757 Depth=3
	v_bfe_u32 v25, v8, 23, 8
	v_and_b32_e32 v2, 0x7fffff, v8
	v_cmp_gt_u32_e64 s[40:41], s80, v25
	v_sub_u32_e32 v8, 0x79, v25
	v_cmp_eq_u32_e32 vcc, 0, v25
	v_cndmask_b32_e64 v8, 0, v8, s[40:41]
	v_cndmask_b32_e32 v36, v8, v1, vcc
	v_or_b32_e32 v9, 0x800000, v2
	v_add_u32_e32 v8, 20, v36
	v_cndmask_b32_e32 v2, v9, v2, vcc
	v_lshlrev_b64 v[8:9], v8, -1
	v_add_u32_e32 v12, 19, v36
	v_lshlrev_b64 v[12:13], v12, 1
	v_bfi_b32 v9, v9, 0, 0
	v_bfi_b32 v8, v8, 0, v2
	v_cmp_eq_u64_e64 s[40:41], v[8:9], v[12:13]
	v_lshrrev_b64 v[8:9], v36, v[2:3]
	v_mov_b32_e32 v13, v9
	v_mov_b32_e32 v12, v8
	s_and_saveexec_b64 s[48:49], s[40:41]
; %bb.2065:                             ;   in Loop: Header=BB2_1757 Depth=3
	v_bfe_u32 v2, v8, 20, 1
	v_add_co_u32_e64 v2, s[40:41], v8, v2
	v_add_co_u32_e64 v12, s[40:41], -1, v2
; %bb.2066:                             ;   in Loop: Header=BB2_1757 Depth=3
	s_or_b64 exec, exec, s[48:49]
	v_add_u32_e32 v2, 0xffffff81, v25
	v_cndmask_b32_e32 v2, v2, v0, vcc
	v_lshrrev_b32_e32 v9, 23, v8
	v_add3_u32 v25, v36, v2, v9
	v_add_u32_e32 v13, 6, v25
	v_and_b32_e32 v2, 0xfffff, v12
	v_add_u32_e32 v2, v2, v8
	v_cmp_ne_u32_e32 vcc, 0, v13
                                        ; implicit-def: $vgpr8_vgpr9
                                        ; implicit-def: $vgpr12
	s_and_saveexec_b64 s[40:41], vcc
	s_xor_b64 s[40:41], exec, s[40:41]
; %bb.2067:                             ;   in Loop: Header=BB2_1757 Depth=3
	v_cmp_lt_u64_e32 vcc, s[88:89], v[2:3]
	v_add_u32_e32 v8, 7, v25
	v_cndmask_b32_e32 v12, v13, v8, vcc
	v_cndmask_b32_e64 v8, 0, 1, vcc
	v_lshrrev_b64 v[8:9], v8, v[2:3]
; %bb.2068:                             ;   in Loop: Header=BB2_1757 Depth=3
	s_andn2_saveexec_b64 s[40:41], s[40:41]
; %bb.2069:                             ;   in Loop: Header=BB2_1757 Depth=3
	v_mov_b32_e32 v9, v3
	v_bfe_u32 v12, v2, 23, 1
	v_mov_b32_e32 v8, v2
; %bb.2070:                             ;   in Loop: Header=BB2_1757 Depth=3
	s_or_b64 exec, exec, s[40:41]
	v_lshrrev_b64 v[8:9], 20, v[8:9]
	v_cmp_gt_i32_e32 vcc, 16, v12
	v_cndmask_b32_e32 v9, 0, v9, vcc
	v_cndmask_b32_e32 v8, 7, v8, vcc
	v_min_i32_e32 v2, 15, v12
	v_cmp_eq_u64_e64 s[40:41], 0, v[8:9]
	v_lshlrev_b32_e32 v2, 3, v2
	v_cmp_eq_u32_e32 vcc, 0, v12
	v_and_b32_e32 v2, 0xf8, v2
	v_and_or_b32 v2, v8, 7, v2
	s_and_b64 s[40:41], vcc, s[40:41]
	v_cndmask_b32_e64 v2, v2, 0, s[40:41]
	v_or_b32_e32 v59, v2, v24
.LBB2_2071:                             ;   in Loop: Header=BB2_1757 Depth=3
	s_or_b64 exec, exec, s[38:39]
                                        ; implicit-def: $vgpr24
.LBB2_2072:                             ;   in Loop: Header=BB2_1757 Depth=3
	s_andn2_saveexec_b64 s[40:41], s[36:37]
; %bb.2073:                             ;   in Loop: Header=BB2_1757 Depth=3
	v_or_b32_e32 v59, 0x7e, v24
; %bb.2074:                             ;   in Loop: Header=BB2_1757 Depth=3
	s_or_b64 exec, exec, s[40:41]
                                        ; implicit-def: $vgpr8
.LBB2_2075:                             ;   in Loop: Header=BB2_1757 Depth=3
	s_andn2_saveexec_b64 s[40:41], s[42:43]
; %bb.2076:                             ;   in Loop: Header=BB2_1757 Depth=3
	v_or_b32_sdwa v59, v8, s71 dst_sel:DWORD dst_unused:UNUSED_PAD src0_sel:BYTE_3 src1_sel:DWORD
; %bb.2077:                             ;   in Loop: Header=BB2_1757 Depth=3
	s_or_b64 exec, exec, s[40:41]
	v_mov_b32_e32 v2, v15
	v_cmp_ne_u16_sdwa s[42:43], v15, v3 src0_sel:BYTE_0 src1_sel:DWORD
	v_mov_b32_e32 v12, 0
	s_and_saveexec_b64 s[40:41], s[42:43]
	s_cbranch_execz .LBB2_2083
; %bb.2078:                             ;   in Loop: Header=BB2_1757 Depth=3
	v_cmp_ne_u16_sdwa s[44:45], v15, s70 src0_sel:BYTE_0 src1_sel:DWORD
	v_bfrev_b32_e32 v12, 1
	s_and_saveexec_b64 s[42:43], s[44:45]
	s_cbranch_execz .LBB2_2082
; %bb.2079:                             ;   in Loop: Header=BB2_1757 Depth=3
	v_and_b32_e32 v8, 0x7f, v15
	v_cmp_ne_u32_e32 vcc, s71, v8
	v_mov_b32_e32 v12, 0x7f800001
	s_and_saveexec_b64 s[36:37], vcc
	s_cbranch_execz .LBB2_2081
; %bb.2080:                             ;   in Loop: Header=BB2_1757 Depth=3
	v_and_b32_e32 v9, 7, v15
	v_lshrrev_b32_e32 v12, 3, v8
	v_cmp_gt_u32_e32 vcc, 8, v8
	v_ffbh_u32_e32 v8, v9
	v_min_u32_e32 v8, 32, v8
	v_subrev_u32_e32 v9, 28, v8
	v_sub_u32_e32 v8, 29, v8
	v_cndmask_b32_e32 v12, v12, v8, vcc
	v_cndmask_b32_e32 v8, 0, v9, vcc
	v_lshlrev_b64 v[8:9], v8, v[2:3]
	v_lshlrev_b32_e32 v9, 24, v2
	v_lshlrev_b32_e32 v8, 20, v8
	v_and_b32_e32 v8, 0x700000, v8
	v_and_b32_e32 v9, 0x80000000, v9
	v_lshl_add_u32 v12, v12, 23, v49
	v_or3_b32 v12, v9, v12, v8
.LBB2_2081:                             ;   in Loop: Header=BB2_1757 Depth=3
	s_or_b64 exec, exec, s[36:37]
.LBB2_2082:                             ;   in Loop: Header=BB2_1757 Depth=3
	s_or_b64 exec, exec, s[42:43]
.LBB2_2083:                             ;   in Loop: Header=BB2_1757 Depth=3
	s_or_b64 exec, exec, s[40:41]
	v_cmp_gt_i16_sdwa s[42:43], v11, s71 src0_sel:BYTE_0 src1_sel:DWORD
	s_mov_b64 s[40:41], 0
	s_and_saveexec_b64 s[44:45], s[42:43]
	s_xor_b64 s[42:43], exec, s[44:45]
	s_cbranch_execz .LBB2_2087
; %bb.2084:                             ;   in Loop: Header=BB2_1757 Depth=3
	v_cmp_eq_u16_sdwa s[44:45], v11, s70 src0_sel:BYTE_0 src1_sel:DWORD
	s_mov_b64 s[40:41], -1
	s_and_saveexec_b64 vcc, s[44:45]
; %bb.2085:                             ;   in Loop: Header=BB2_1757 Depth=3
	s_xor_b64 s[40:41], exec, -1
; %bb.2086:                             ;   in Loop: Header=BB2_1757 Depth=3
	s_or_b64 exec, exec, vcc
	s_and_b64 s[40:41], s[40:41], exec
.LBB2_2087:                             ;   in Loop: Header=BB2_1757 Depth=3
	s_or_saveexec_b64 s[42:43], s[42:43]
	v_bfrev_b32_e32 v13, 1
	s_xor_b64 exec, exec, s[42:43]
; %bb.2088:                             ;   in Loop: Header=BB2_1757 Depth=3
	v_cmp_ne_u16_sdwa s[44:45], v11, v3 src0_sel:BYTE_0 src1_sel:DWORD
	s_andn2_b64 s[40:41], s[40:41], exec
	s_and_b64 s[44:45], s[44:45], exec
	v_mov_b32_e32 v13, 0
	s_or_b64 s[40:41], s[40:41], s[44:45]
; %bb.2089:                             ;   in Loop: Header=BB2_1757 Depth=3
	s_or_b64 exec, exec, s[42:43]
	v_mov_b32_e32 v8, v11
	v_mov_b32_e32 v9, v3
	s_and_saveexec_b64 s[42:43], s[40:41]
	s_cbranch_execz .LBB2_2091
; %bb.2090:                             ;   in Loop: Header=BB2_1757 Depth=3
	v_and_b32_e32 v13, 7, v11
	v_ffbh_u32_e32 v13, v13
	v_and_b32_e32 v36, 0x7f, v11
	v_min_u32_e32 v13, 32, v13
	v_bfe_u32 v24, v11, 3, 4
	v_subrev_u32_e32 v25, 28, v13
	v_sub_u32_e32 v13, 29, v13
	v_cmp_gt_u32_e32 vcc, 8, v36
	v_cndmask_b32_e32 v13, v24, v13, vcc
	v_cndmask_b32_e32 v24, 0, v25, vcc
	v_lshlrev_b64 v[24:25], v24, v[8:9]
	v_lshl_add_u32 v13, v13, 23, v49
	v_lshlrev_b32_e32 v9, 20, v24
	v_lshlrev_b32_e32 v24, 24, v8
	v_and_b32_e32 v9, 0x700000, v9
	v_and_b32_e32 v24, 0x80000000, v24
	v_or3_b32 v9, v24, v13, v9
	v_cmp_ne_u32_e32 vcc, s71, v36
	v_cndmask_b32_e32 v13, v5, v9, vcc
.LBB2_2091:                             ;   in Loop: Header=BB2_1757 Depth=3
	s_or_b64 exec, exec, s[42:43]
	v_mul_f32_e32 v12, v12, v13
	v_and_b32_e32 v24, 0x7f800000, v12
	v_mov_b32_e32 v25, v3
	v_cmp_ne_u64_e32 vcc, s[62:63], v[24:25]
                                        ; implicit-def: $vgpr24
	s_and_saveexec_b64 s[40:41], vcc
	s_xor_b64 s[42:43], exec, s[40:41]
	s_cbranch_execz .LBB2_2105
; %bb.2092:                             ;   in Loop: Header=BB2_1757 Depth=3
	v_and_b32_e32 v24, 0x7fffffff, v12
	v_mov_b32_e32 v25, v3
	v_cmp_gt_u64_e32 vcc, s[72:73], v[24:25]
	v_and_b32_sdwa v9, v12, s70 dst_sel:DWORD dst_unused:UNUSED_PAD src0_sel:BYTE_3 src1_sel:DWORD
                                        ; implicit-def: $vgpr24
	s_and_saveexec_b64 s[40:41], vcc
	s_xor_b64 s[36:37], exec, s[40:41]
	s_cbranch_execz .LBB2_2102
; %bb.2093:                             ;   in Loop: Header=BB2_1757 Depth=3
	v_mov_b32_e32 v24, 0
	v_cmp_ne_u32_e32 vcc, 0, v12
	s_and_saveexec_b64 s[38:39], vcc
	s_cbranch_execz .LBB2_2101
; %bb.2094:                             ;   in Loop: Header=BB2_1757 Depth=3
	v_bfe_u32 v24, v12, 23, 8
	v_and_b32_e32 v13, 0x7fffff, v12
	v_cmp_gt_u32_e64 s[40:41], s80, v24
	v_sub_u32_e32 v12, 0x79, v24
	v_cmp_eq_u32_e32 vcc, 0, v24
	v_cndmask_b32_e64 v12, 0, v12, s[40:41]
	v_or_b32_e32 v36, 0x800000, v13
	v_cndmask_b32_e32 v25, v12, v1, vcc
	v_cndmask_b32_e32 v12, v36, v13, vcc
	v_add_u32_e32 v36, 20, v25
	v_lshlrev_b64 v[44:45], v36, -1
	v_mov_b32_e32 v13, v3
	v_add_u32_e32 v36, 19, v25
	v_bfi_b32 v44, v44, 0, v12
	v_lshlrev_b64 v[57:58], v36, 1
	v_lshrrev_b64 v[12:13], v25, v[12:13]
	v_bfi_b32 v45, v45, 0, 0
	v_cmp_eq_u64_e64 s[40:41], v[44:45], v[57:58]
	v_mov_b32_e32 v58, v13
	v_mov_b32_e32 v57, v12
	s_and_saveexec_b64 s[48:49], s[40:41]
; %bb.2095:                             ;   in Loop: Header=BB2_1757 Depth=3
	v_bfe_u32 v13, v12, 20, 1
	v_add_co_u32_e64 v13, s[40:41], v12, v13
	v_add_co_u32_e64 v57, s[40:41], -1, v13
; %bb.2096:                             ;   in Loop: Header=BB2_1757 Depth=3
	s_or_b64 exec, exec, s[48:49]
	v_add_u32_e32 v13, 0xffffff81, v24
	v_cndmask_b32_e32 v13, v13, v0, vcc
	v_lshrrev_b32_e32 v24, 23, v12
	v_add3_u32 v36, v25, v13, v24
	v_add_u32_e32 v25, 6, v36
	v_and_b32_e32 v13, 0xfffff, v57
	v_add_u32_e32 v12, v13, v12
	v_mov_b32_e32 v13, v3
	v_cmp_ne_u32_e32 vcc, 0, v25
                                        ; implicit-def: $vgpr24
	s_and_saveexec_b64 s[40:41], vcc
	s_xor_b64 s[40:41], exec, s[40:41]
; %bb.2097:                             ;   in Loop: Header=BB2_1757 Depth=3
	v_cmp_lt_u64_e32 vcc, s[88:89], v[12:13]
	v_add_u32_e32 v24, 7, v36
	v_cndmask_b32_e32 v24, v25, v24, vcc
	v_cndmask_b32_e64 v25, 0, 1, vcc
	v_lshrrev_b64 v[12:13], v25, v[12:13]
; %bb.2098:                             ;   in Loop: Header=BB2_1757 Depth=3
	s_andn2_saveexec_b64 s[40:41], s[40:41]
; %bb.2099:                             ;   in Loop: Header=BB2_1757 Depth=3
	v_bfe_u32 v24, v12, 23, 1
; %bb.2100:                             ;   in Loop: Header=BB2_1757 Depth=3
	s_or_b64 exec, exec, s[40:41]
	v_lshrrev_b64 v[12:13], 20, v[12:13]
	v_cmp_gt_i32_e32 vcc, 16, v24
	v_cndmask_b32_e32 v13, 0, v13, vcc
	v_cndmask_b32_e32 v12, 7, v12, vcc
	v_cmp_eq_u64_e64 s[40:41], 0, v[12:13]
	v_min_i32_e32 v13, 15, v24
	v_lshlrev_b32_e32 v13, 3, v13
	v_cmp_eq_u32_e32 vcc, 0, v24
	v_and_b32_e32 v13, 0xf8, v13
	v_and_or_b32 v12, v12, 7, v13
	s_and_b64 s[40:41], vcc, s[40:41]
	v_cndmask_b32_e64 v12, v12, 0, s[40:41]
	v_or_b32_e32 v24, v12, v9
.LBB2_2101:                             ;   in Loop: Header=BB2_1757 Depth=3
	s_or_b64 exec, exec, s[38:39]
                                        ; implicit-def: $vgpr9
.LBB2_2102:                             ;   in Loop: Header=BB2_1757 Depth=3
	s_andn2_saveexec_b64 s[40:41], s[36:37]
; %bb.2103:                             ;   in Loop: Header=BB2_1757 Depth=3
	v_or_b32_e32 v24, 0x7e, v9
; %bb.2104:                             ;   in Loop: Header=BB2_1757 Depth=3
	s_or_b64 exec, exec, s[40:41]
                                        ; implicit-def: $vgpr12
.LBB2_2105:                             ;   in Loop: Header=BB2_1757 Depth=3
	s_andn2_saveexec_b64 s[40:41], s[42:43]
; %bb.2106:                             ;   in Loop: Header=BB2_1757 Depth=3
	v_or_b32_sdwa v24, v12, s71 dst_sel:DWORD dst_unused:UNUSED_PAD src0_sel:BYTE_3 src1_sel:DWORD
; %bb.2107:                             ;   in Loop: Header=BB2_1757 Depth=3
	s_or_b64 exec, exec, s[40:41]
	v_lshrrev_b16_e32 v9, 8, v2
	v_cmp_ne_u16_e32 vcc, 0, v9
	v_mov_b32_e32 v12, 0
	s_and_saveexec_b64 s[40:41], vcc
	s_cbranch_execz .LBB2_2113
; %bb.2108:                             ;   in Loop: Header=BB2_1757 Depth=3
	v_cmp_ne_u16_e32 vcc, s70, v9
	v_bfrev_b32_e32 v12, 1
	s_and_saveexec_b64 s[42:43], vcc
	s_cbranch_execz .LBB2_2112
; %bb.2109:                             ;   in Loop: Header=BB2_1757 Depth=3
	v_and_b32_e32 v13, 0x7f, v9
	v_cmp_ne_u32_e32 vcc, s71, v13
	v_mov_b32_e32 v12, 0x7f800001
	s_and_saveexec_b64 s[36:37], vcc
	s_cbranch_execz .LBB2_2111
; %bb.2110:                             ;   in Loop: Header=BB2_1757 Depth=3
	v_and_b32_e32 v25, 7, v9
	v_ffbh_u32_e32 v12, v25
	v_min_u32_e32 v44, 32, v12
	v_subrev_u32_e32 v12, 28, v44
	v_lshrrev_b32_e32 v36, 3, v13
	v_cmp_gt_u32_e32 vcc, 8, v13
	v_lshlrev_b64 v[12:13], v12, v[9:10]
	v_sub_u32_e32 v9, 29, v44
	v_and_b32_e32 v12, 7, v12
	v_cndmask_b32_e32 v9, v36, v9, vcc
	v_cndmask_b32_e32 v12, v25, v12, vcc
	v_lshlrev_b32_e32 v2, 16, v2
	v_lshlrev_b32_e32 v12, 20, v12
	v_and_b32_e32 v2, 0x80000000, v2
	v_lshl_add_u32 v9, v9, 23, v49
	v_or3_b32 v12, v2, v9, v12
.LBB2_2111:                             ;   in Loop: Header=BB2_1757 Depth=3
	s_or_b64 exec, exec, s[36:37]
.LBB2_2112:                             ;   in Loop: Header=BB2_1757 Depth=3
	s_or_b64 exec, exec, s[42:43]
.LBB2_2113:                             ;   in Loop: Header=BB2_1757 Depth=3
	s_or_b64 exec, exec, s[40:41]
	v_lshrrev_b16_e32 v2, 8, v8
	v_cmp_lt_i16_e32 vcc, s71, v2
	s_mov_b64 s[40:41], 0
	s_and_saveexec_b64 s[42:43], vcc
	s_xor_b64 s[42:43], exec, s[42:43]
	s_cbranch_execz .LBB2_2204
; %bb.2114:                             ;   in Loop: Header=BB2_1757 Depth=3
	v_cmp_eq_u16_e32 vcc, s70, v2
	s_mov_b64 s[40:41], -1
	s_and_saveexec_b64 s[36:37], vcc
; %bb.2115:                             ;   in Loop: Header=BB2_1757 Depth=3
	s_xor_b64 s[40:41], exec, -1
; %bb.2116:                             ;   in Loop: Header=BB2_1757 Depth=3
	s_or_b64 exec, exec, s[36:37]
	s_and_b64 s[40:41], s[40:41], exec
	s_or_saveexec_b64 s[42:43], s[42:43]
	v_bfrev_b32_e32 v8, 1
	s_xor_b64 exec, exec, s[42:43]
	s_cbranch_execnz .LBB2_2205
.LBB2_2117:                             ;   in Loop: Header=BB2_1757 Depth=3
	s_or_b64 exec, exec, s[42:43]
	s_and_saveexec_b64 s[42:43], s[40:41]
	s_cbranch_execz .LBB2_2119
.LBB2_2118:                             ;   in Loop: Header=BB2_1757 Depth=3
	v_and_b32_e32 v13, 7, v2
	v_ffbh_u32_e32 v8, v13
	v_min_u32_e32 v44, 32, v8
	v_subrev_u32_e32 v8, 28, v44
	v_lshlrev_b64 v[8:9], v8, v[2:3]
	v_and_b32_e32 v25, 0x7f, v2
	v_bfe_u32 v36, v2, 3, 4
	v_sub_u32_e32 v9, 29, v44
	v_and_b32_e32 v8, 7, v8
	v_cmp_gt_u32_e32 vcc, 8, v25
	v_cndmask_b32_e32 v9, v36, v9, vcc
	v_cndmask_b32_e32 v8, v13, v8, vcc
	v_lshlrev_b32_e32 v2, 24, v2
	v_lshlrev_b32_e32 v8, 20, v8
	v_and_b32_e32 v2, 0x80000000, v2
	v_lshl_add_u32 v9, v9, 23, v49
	v_or3_b32 v2, v2, v9, v8
	v_cmp_ne_u32_e32 vcc, s71, v25
	v_cndmask_b32_e32 v8, v5, v2, vcc
.LBB2_2119:                             ;   in Loop: Header=BB2_1757 Depth=3
	s_or_b64 exec, exec, s[42:43]
	v_mul_f32_e32 v8, v12, v8
	v_and_b32_e32 v2, 0x7f800000, v8
	v_cmp_ne_u64_e32 vcc, s[62:63], v[2:3]
                                        ; implicit-def: $vgpr25
	s_and_saveexec_b64 s[40:41], vcc
	s_xor_b64 s[42:43], exec, s[40:41]
	s_cbranch_execz .LBB2_2133
; %bb.2120:                             ;   in Loop: Header=BB2_1757 Depth=3
	v_and_b32_e32 v2, 0x7fffffff, v8
	v_cmp_gt_u64_e32 vcc, s[72:73], v[2:3]
	v_and_b32_sdwa v57, v8, s70 dst_sel:DWORD dst_unused:UNUSED_PAD src0_sel:BYTE_3 src1_sel:DWORD
                                        ; implicit-def: $vgpr25
	s_and_saveexec_b64 s[40:41], vcc
	s_xor_b64 s[36:37], exec, s[40:41]
	s_cbranch_execz .LBB2_2130
; %bb.2121:                             ;   in Loop: Header=BB2_1757 Depth=3
	v_mov_b32_e32 v25, 0
	v_cmp_ne_u32_e32 vcc, 0, v8
	s_and_saveexec_b64 s[38:39], vcc
	s_cbranch_execz .LBB2_2129
; %bb.2122:                             ;   in Loop: Header=BB2_1757 Depth=3
	v_bfe_u32 v25, v8, 23, 8
	v_and_b32_e32 v2, 0x7fffff, v8
	v_cmp_gt_u32_e64 s[40:41], s80, v25
	v_sub_u32_e32 v8, 0x79, v25
	v_cmp_eq_u32_e32 vcc, 0, v25
	v_cndmask_b32_e64 v8, 0, v8, s[40:41]
	v_cndmask_b32_e32 v36, v8, v1, vcc
	v_or_b32_e32 v9, 0x800000, v2
	v_add_u32_e32 v8, 20, v36
	v_cndmask_b32_e32 v2, v9, v2, vcc
	v_lshlrev_b64 v[8:9], v8, -1
	v_add_u32_e32 v12, 19, v36
	v_lshlrev_b64 v[12:13], v12, 1
	v_bfi_b32 v9, v9, 0, 0
	v_bfi_b32 v8, v8, 0, v2
	v_cmp_eq_u64_e64 s[40:41], v[8:9], v[12:13]
	v_lshrrev_b64 v[8:9], v36, v[2:3]
	v_mov_b32_e32 v13, v9
	v_mov_b32_e32 v12, v8
	s_and_saveexec_b64 s[48:49], s[40:41]
; %bb.2123:                             ;   in Loop: Header=BB2_1757 Depth=3
	v_bfe_u32 v2, v8, 20, 1
	v_add_co_u32_e64 v2, s[40:41], v8, v2
	v_add_co_u32_e64 v12, s[40:41], -1, v2
; %bb.2124:                             ;   in Loop: Header=BB2_1757 Depth=3
	s_or_b64 exec, exec, s[48:49]
	v_add_u32_e32 v2, 0xffffff81, v25
	v_cndmask_b32_e32 v2, v2, v0, vcc
	v_lshrrev_b32_e32 v9, 23, v8
	v_add3_u32 v25, v36, v2, v9
	v_add_u32_e32 v13, 6, v25
	v_and_b32_e32 v2, 0xfffff, v12
	v_add_u32_e32 v2, v2, v8
	v_cmp_ne_u32_e32 vcc, 0, v13
                                        ; implicit-def: $vgpr8_vgpr9
                                        ; implicit-def: $vgpr12
	s_and_saveexec_b64 s[40:41], vcc
	s_xor_b64 s[40:41], exec, s[40:41]
; %bb.2125:                             ;   in Loop: Header=BB2_1757 Depth=3
	v_cmp_lt_u64_e32 vcc, s[88:89], v[2:3]
	v_add_u32_e32 v8, 7, v25
	v_cndmask_b32_e32 v12, v13, v8, vcc
	v_cndmask_b32_e64 v8, 0, 1, vcc
	v_lshrrev_b64 v[8:9], v8, v[2:3]
; %bb.2126:                             ;   in Loop: Header=BB2_1757 Depth=3
	s_andn2_saveexec_b64 s[40:41], s[40:41]
; %bb.2127:                             ;   in Loop: Header=BB2_1757 Depth=3
	v_mov_b32_e32 v9, v3
	v_bfe_u32 v12, v2, 23, 1
	v_mov_b32_e32 v8, v2
; %bb.2128:                             ;   in Loop: Header=BB2_1757 Depth=3
	s_or_b64 exec, exec, s[40:41]
	v_lshrrev_b64 v[8:9], 20, v[8:9]
	v_cmp_gt_i32_e32 vcc, 16, v12
	v_cndmask_b32_e32 v9, 0, v9, vcc
	v_cndmask_b32_e32 v8, 7, v8, vcc
	v_min_i32_e32 v2, 15, v12
	v_cmp_eq_u64_e64 s[40:41], 0, v[8:9]
	v_lshlrev_b32_e32 v2, 3, v2
	v_cmp_eq_u32_e32 vcc, 0, v12
	v_and_b32_e32 v2, 0xf8, v2
	v_and_or_b32 v2, v8, 7, v2
	s_and_b64 s[40:41], vcc, s[40:41]
	v_cndmask_b32_e64 v2, v2, 0, s[40:41]
	v_or_b32_e32 v25, v2, v57
.LBB2_2129:                             ;   in Loop: Header=BB2_1757 Depth=3
	s_or_b64 exec, exec, s[38:39]
                                        ; implicit-def: $vgpr57
.LBB2_2130:                             ;   in Loop: Header=BB2_1757 Depth=3
	s_andn2_saveexec_b64 s[40:41], s[36:37]
; %bb.2131:                             ;   in Loop: Header=BB2_1757 Depth=3
	v_or_b32_e32 v25, 0x7e, v57
; %bb.2132:                             ;   in Loop: Header=BB2_1757 Depth=3
	s_or_b64 exec, exec, s[40:41]
                                        ; implicit-def: $vgpr8
.LBB2_2133:                             ;   in Loop: Header=BB2_1757 Depth=3
	s_andn2_saveexec_b64 s[40:41], s[42:43]
; %bb.2134:                             ;   in Loop: Header=BB2_1757 Depth=3
	v_or_b32_sdwa v25, v8, s71 dst_sel:DWORD dst_unused:UNUSED_PAD src0_sel:BYTE_3 src1_sel:DWORD
; %bb.2135:                             ;   in Loop: Header=BB2_1757 Depth=3
	s_or_b64 exec, exec, s[40:41]
	v_lshrrev_b32_e32 v2, 16, v15
	v_cmp_ne_u16_sdwa s[42:43], v2, v3 src0_sel:BYTE_0 src1_sel:DWORD
	v_mov_b32_e32 v8, 0
	s_and_saveexec_b64 s[40:41], s[42:43]
	s_cbranch_execz .LBB2_2141
; %bb.2136:                             ;   in Loop: Header=BB2_1757 Depth=3
	v_cmp_ne_u16_sdwa s[44:45], v2, s70 src0_sel:BYTE_0 src1_sel:DWORD
	v_bfrev_b32_e32 v8, 1
	s_and_saveexec_b64 s[42:43], s[44:45]
	s_cbranch_execz .LBB2_2140
; %bb.2137:                             ;   in Loop: Header=BB2_1757 Depth=3
	v_bfe_u32 v9, v15, 16, 7
	v_cmp_ne_u32_e32 vcc, s71, v9
	v_mov_b32_e32 v8, 0x7f800001
	s_and_saveexec_b64 s[36:37], vcc
	s_cbranch_execz .LBB2_2139
; %bb.2138:                             ;   in Loop: Header=BB2_1757 Depth=3
	v_and_b32_e32 v12, 7, v2
	v_ffbh_u32_e32 v8, v12
	v_min_u32_e32 v36, 32, v8
	v_subrev_u32_e32 v8, 28, v36
	v_lshrrev_b32_e32 v13, 3, v9
	v_cmp_gt_u32_e32 vcc, 8, v9
	v_lshlrev_b64 v[8:9], v8, v[2:3]
	v_sub_u32_e32 v9, 29, v36
	v_and_b32_e32 v8, 7, v8
	v_cndmask_b32_e32 v9, v13, v9, vcc
	v_cndmask_b32_e32 v8, v12, v8, vcc
	v_lshlrev_b32_e32 v2, 24, v2
	v_lshlrev_b32_e32 v8, 20, v8
	v_and_b32_e32 v2, 0x80000000, v2
	v_lshl_add_u32 v9, v9, 23, v49
	v_or3_b32 v8, v2, v9, v8
.LBB2_2139:                             ;   in Loop: Header=BB2_1757 Depth=3
	s_or_b64 exec, exec, s[36:37]
.LBB2_2140:                             ;   in Loop: Header=BB2_1757 Depth=3
	s_or_b64 exec, exec, s[42:43]
.LBB2_2141:                             ;   in Loop: Header=BB2_1757 Depth=3
	s_or_b64 exec, exec, s[40:41]
	v_lshrrev_b32_e32 v2, 16, v11
	v_cmp_gt_i16_sdwa s[42:43], v2, s71 src0_sel:BYTE_0 src1_sel:DWORD
	s_mov_b64 s[40:41], 0
	s_and_saveexec_b64 s[44:45], s[42:43]
	s_xor_b64 s[42:43], exec, s[44:45]
	s_cbranch_execz .LBB2_2206
; %bb.2142:                             ;   in Loop: Header=BB2_1757 Depth=3
	v_cmp_eq_u16_sdwa s[44:45], v2, s70 src0_sel:BYTE_0 src1_sel:DWORD
	s_mov_b64 s[40:41], -1
	s_and_saveexec_b64 vcc, s[44:45]
; %bb.2143:                             ;   in Loop: Header=BB2_1757 Depth=3
	s_xor_b64 s[40:41], exec, -1
; %bb.2144:                             ;   in Loop: Header=BB2_1757 Depth=3
	s_or_b64 exec, exec, vcc
	s_and_b64 s[40:41], s[40:41], exec
	s_or_saveexec_b64 s[42:43], s[42:43]
	v_bfrev_b32_e32 v9, 1
	s_xor_b64 exec, exec, s[42:43]
	s_cbranch_execnz .LBB2_2207
.LBB2_2145:                             ;   in Loop: Header=BB2_1757 Depth=3
	s_or_b64 exec, exec, s[42:43]
	s_and_saveexec_b64 s[42:43], s[40:41]
	s_cbranch_execz .LBB2_2147
.LBB2_2146:                             ;   in Loop: Header=BB2_1757 Depth=3
	v_and_b32_e32 v9, 7, v2
	v_ffbh_u32_e32 v12, v9
	v_min_u32_e32 v45, 32, v12
	v_subrev_u32_e32 v12, 28, v45
	v_lshlrev_b64 v[12:13], v12, v[2:3]
	v_and_b32_e32 v36, 0x7f, v2
	v_bfe_u32 v44, v2, 3, 4
	v_sub_u32_e32 v13, 29, v45
	v_and_b32_e32 v12, 7, v12
	v_cmp_gt_u32_e32 vcc, 8, v36
	v_cndmask_b32_e32 v13, v44, v13, vcc
	v_cndmask_b32_e32 v9, v9, v12, vcc
	v_lshlrev_b32_e32 v2, 24, v2
	v_lshlrev_b32_e32 v9, 20, v9
	v_and_b32_e32 v2, 0x80000000, v2
	v_lshl_add_u32 v12, v13, 23, v49
	v_or3_b32 v2, v2, v12, v9
	v_cmp_ne_u32_e32 vcc, s71, v36
	v_cndmask_b32_e32 v9, v5, v2, vcc
.LBB2_2147:                             ;   in Loop: Header=BB2_1757 Depth=3
	s_or_b64 exec, exec, s[42:43]
	v_mul_f32_e32 v8, v8, v9
	v_and_b32_e32 v2, 0x7f800000, v8
	v_cmp_ne_u64_e32 vcc, s[62:63], v[2:3]
                                        ; implicit-def: $vgpr12
	s_and_saveexec_b64 s[40:41], vcc
	s_xor_b64 s[42:43], exec, s[40:41]
	s_cbranch_execz .LBB2_2161
; %bb.2148:                             ;   in Loop: Header=BB2_1757 Depth=3
	v_and_b32_e32 v2, 0x7fffffff, v8
	v_cmp_gt_u64_e32 vcc, s[72:73], v[2:3]
	v_and_b32_sdwa v57, v8, s70 dst_sel:DWORD dst_unused:UNUSED_PAD src0_sel:BYTE_3 src1_sel:DWORD
                                        ; implicit-def: $vgpr12
	s_and_saveexec_b64 s[40:41], vcc
	s_xor_b64 s[36:37], exec, s[40:41]
	s_cbranch_execz .LBB2_2158
; %bb.2149:                             ;   in Loop: Header=BB2_1757 Depth=3
	v_mov_b32_e32 v12, 0
	v_cmp_ne_u32_e32 vcc, 0, v8
	s_and_saveexec_b64 s[38:39], vcc
	s_cbranch_execz .LBB2_2157
; %bb.2150:                             ;   in Loop: Header=BB2_1757 Depth=3
	v_bfe_u32 v58, v8, 23, 8
	v_and_b32_e32 v2, 0x7fffff, v8
	v_cmp_gt_u32_e64 s[40:41], s80, v58
	v_sub_u32_e32 v8, 0x79, v58
	v_cmp_eq_u32_e32 vcc, 0, v58
	v_cndmask_b32_e64 v8, 0, v8, s[40:41]
	v_cndmask_b32_e32 v36, v8, v1, vcc
	v_or_b32_e32 v9, 0x800000, v2
	v_add_u32_e32 v8, 20, v36
	v_cndmask_b32_e32 v2, v9, v2, vcc
	v_lshlrev_b64 v[8:9], v8, -1
	v_add_u32_e32 v12, 19, v36
	v_lshlrev_b64 v[12:13], v12, 1
	v_bfi_b32 v9, v9, 0, 0
	v_bfi_b32 v8, v8, 0, v2
	v_cmp_eq_u64_e64 s[40:41], v[8:9], v[12:13]
	v_lshrrev_b64 v[8:9], v36, v[2:3]
	v_mov_b32_e32 v13, v9
	v_mov_b32_e32 v12, v8
	s_and_saveexec_b64 s[48:49], s[40:41]
; %bb.2151:                             ;   in Loop: Header=BB2_1757 Depth=3
	v_bfe_u32 v2, v8, 20, 1
	v_add_co_u32_e64 v2, s[40:41], v8, v2
	v_add_co_u32_e64 v12, s[40:41], -1, v2
; %bb.2152:                             ;   in Loop: Header=BB2_1757 Depth=3
	s_or_b64 exec, exec, s[48:49]
	v_add_u32_e32 v2, 0xffffff81, v58
	v_cndmask_b32_e32 v2, v2, v0, vcc
	v_lshrrev_b32_e32 v9, 23, v8
	v_add3_u32 v36, v36, v2, v9
	v_add_u32_e32 v13, 6, v36
	v_and_b32_e32 v2, 0xfffff, v12
	v_add_u32_e32 v2, v2, v8
	v_cmp_ne_u32_e32 vcc, 0, v13
                                        ; implicit-def: $vgpr8_vgpr9
                                        ; implicit-def: $vgpr12
	s_and_saveexec_b64 s[40:41], vcc
	s_xor_b64 s[40:41], exec, s[40:41]
; %bb.2153:                             ;   in Loop: Header=BB2_1757 Depth=3
	v_cmp_lt_u64_e32 vcc, s[88:89], v[2:3]
	v_add_u32_e32 v8, 7, v36
	v_cndmask_b32_e32 v12, v13, v8, vcc
	v_cndmask_b32_e64 v8, 0, 1, vcc
	v_lshrrev_b64 v[8:9], v8, v[2:3]
; %bb.2154:                             ;   in Loop: Header=BB2_1757 Depth=3
	s_andn2_saveexec_b64 s[40:41], s[40:41]
; %bb.2155:                             ;   in Loop: Header=BB2_1757 Depth=3
	v_mov_b32_e32 v9, v3
	v_bfe_u32 v12, v2, 23, 1
	v_mov_b32_e32 v8, v2
; %bb.2156:                             ;   in Loop: Header=BB2_1757 Depth=3
	s_or_b64 exec, exec, s[40:41]
	v_lshrrev_b64 v[8:9], 20, v[8:9]
	v_cmp_gt_i32_e32 vcc, 16, v12
	v_cndmask_b32_e32 v9, 0, v9, vcc
	v_cndmask_b32_e32 v8, 7, v8, vcc
	v_min_i32_e32 v2, 15, v12
	v_cmp_eq_u64_e64 s[40:41], 0, v[8:9]
	v_lshlrev_b32_e32 v2, 3, v2
	v_cmp_eq_u32_e32 vcc, 0, v12
	v_and_b32_e32 v2, 0xf8, v2
	v_and_or_b32 v2, v8, 7, v2
	s_and_b64 s[40:41], vcc, s[40:41]
	v_cndmask_b32_e64 v2, v2, 0, s[40:41]
	v_or_b32_e32 v12, v2, v57
.LBB2_2157:                             ;   in Loop: Header=BB2_1757 Depth=3
	s_or_b64 exec, exec, s[38:39]
                                        ; implicit-def: $vgpr57
.LBB2_2158:                             ;   in Loop: Header=BB2_1757 Depth=3
	s_andn2_saveexec_b64 s[40:41], s[36:37]
; %bb.2159:                             ;   in Loop: Header=BB2_1757 Depth=3
	v_or_b32_e32 v12, 0x7e, v57
; %bb.2160:                             ;   in Loop: Header=BB2_1757 Depth=3
	s_or_b64 exec, exec, s[40:41]
                                        ; implicit-def: $vgpr8
.LBB2_2161:                             ;   in Loop: Header=BB2_1757 Depth=3
	s_andn2_saveexec_b64 s[40:41], s[42:43]
; %bb.2162:                             ;   in Loop: Header=BB2_1757 Depth=3
	v_or_b32_sdwa v12, v8, s71 dst_sel:DWORD dst_unused:UNUSED_PAD src0_sel:BYTE_3 src1_sel:DWORD
; %bb.2163:                             ;   in Loop: Header=BB2_1757 Depth=3
	s_or_b64 exec, exec, s[40:41]
	v_cmp_lt_u64_e32 vcc, s[56:57], v[14:15]
	v_mov_b32_e32 v8, 0
	s_and_saveexec_b64 s[40:41], vcc
	s_cbranch_execz .LBB2_2169
; %bb.2164:                             ;   in Loop: Header=BB2_1757 Depth=3
	v_lshrrev_b32_e32 v2, 24, v15
	v_cmp_ne_u32_e32 vcc, s70, v2
	v_bfrev_b32_e32 v8, 1
	s_and_saveexec_b64 s[42:43], vcc
	s_cbranch_execz .LBB2_2168
; %bb.2165:                             ;   in Loop: Header=BB2_1757 Depth=3
	v_bfe_u32 v9, v15, 24, 7
	v_cmp_ne_u32_e32 vcc, s71, v9
	v_mov_b32_e32 v8, 0x7f800001
	s_and_saveexec_b64 s[36:37], vcc
	s_cbranch_execz .LBB2_2167
; %bb.2166:                             ;   in Loop: Header=BB2_1757 Depth=3
	v_and_b32_e32 v13, 7, v2
	v_ffbh_u32_e32 v8, v13
	v_min_u32_e32 v15, 32, v8
	v_subrev_u32_e32 v8, 28, v15
	v_lshrrev_b32_e32 v14, 3, v9
	v_cmp_gt_u32_e32 vcc, 8, v9
	v_lshlrev_b64 v[8:9], v8, v[2:3]
	v_sub_u32_e32 v9, 29, v15
	v_and_b32_e32 v8, 7, v8
	v_cndmask_b32_e32 v9, v14, v9, vcc
	v_cndmask_b32_e32 v8, v13, v8, vcc
	v_lshlrev_b32_e32 v2, 24, v2
	v_lshlrev_b32_e32 v8, 20, v8
	v_and_b32_e32 v2, 0x80000000, v2
	v_lshl_add_u32 v9, v9, 23, v49
	v_or3_b32 v8, v2, v9, v8
.LBB2_2167:                             ;   in Loop: Header=BB2_1757 Depth=3
	s_or_b64 exec, exec, s[36:37]
.LBB2_2168:                             ;   in Loop: Header=BB2_1757 Depth=3
	s_or_b64 exec, exec, s[42:43]
.LBB2_2169:                             ;   in Loop: Header=BB2_1757 Depth=3
	s_or_b64 exec, exec, s[40:41]
	v_bfe_u32 v9, v11, 24, 3
	v_ffbh_u32_e32 v13, v9
	v_min_u32_e32 v44, 32, v13
	v_lshrrev_b32_e32 v2, 24, v11
	v_subrev_u32_e32 v13, 28, v44
	v_lshlrev_b64 v[13:14], v13, v[2:3]
	v_bfe_u32 v15, v11, 24, 7
	v_bfe_u32 v36, v2, 3, 4
	v_sub_u32_e32 v14, 29, v44
	v_and_b32_e32 v13, 7, v13
	v_cmp_gt_u32_e32 vcc, 8, v15
	v_cndmask_b32_e32 v14, v36, v14, vcc
	v_cndmask_b32_e32 v9, v9, v13, vcc
	v_lshlrev_b32_e32 v9, 20, v9
	v_and_b32_e32 v13, 0x80000000, v11
	v_lshl_add_u32 v14, v14, 23, v49
	v_or3_b32 v9, v13, v14, v9
	v_cmp_ne_u32_e32 vcc, s71, v15
	v_cndmask_b32_e32 v9, v5, v9, vcc
	v_cmp_ne_u32_e32 vcc, s70, v2
	v_cndmask_b32_e32 v2, v35, v9, vcc
	v_cmp_lt_u64_e32 vcc, s[56:57], v[10:11]
	v_cndmask_b32_e32 v2, 0, v2, vcc
	v_mul_f32_e32 v8, v2, v8
	v_and_b32_e32 v2, 0x7f800000, v8
	v_cmp_ne_u64_e32 vcc, s[62:63], v[2:3]
                                        ; implicit-def: $vgpr2
	s_and_saveexec_b64 s[40:41], vcc
	s_xor_b64 s[42:43], exec, s[40:41]
	s_cbranch_execz .LBB2_2183
; %bb.2170:                             ;   in Loop: Header=BB2_1757 Depth=3
	v_and_b32_e32 v2, 0x7fffffff, v8
	v_cmp_gt_u64_e32 vcc, s[72:73], v[2:3]
	v_and_b32_sdwa v11, v8, s70 dst_sel:DWORD dst_unused:UNUSED_PAD src0_sel:BYTE_3 src1_sel:DWORD
                                        ; implicit-def: $vgpr2
	s_and_saveexec_b64 s[40:41], vcc
	s_xor_b64 s[36:37], exec, s[40:41]
	s_cbranch_execz .LBB2_2180
; %bb.2171:                             ;   in Loop: Header=BB2_1757 Depth=3
	v_mov_b32_e32 v2, 0
	v_cmp_ne_u32_e32 vcc, 0, v8
	s_and_saveexec_b64 s[38:39], vcc
	s_cbranch_execz .LBB2_2179
; %bb.2172:                             ;   in Loop: Header=BB2_1757 Depth=3
	v_bfe_u32 v13, v8, 23, 8
	v_and_b32_e32 v2, 0x7fffff, v8
	v_cmp_gt_u32_e64 s[40:41], s80, v13
	v_sub_u32_e32 v8, 0x79, v13
	v_cmp_eq_u32_e32 vcc, 0, v13
	v_cndmask_b32_e64 v8, 0, v8, s[40:41]
	v_cndmask_b32_e32 v14, v8, v1, vcc
	v_or_b32_e32 v9, 0x800000, v2
	v_add_u32_e32 v8, 20, v14
	v_cndmask_b32_e32 v2, v9, v2, vcc
	v_lshlrev_b64 v[8:9], v8, -1
	v_add_u32_e32 v10, 19, v14
	v_lshlrev_b64 v[44:45], v10, 1
	v_bfi_b32 v9, v9, 0, 0
	v_bfi_b32 v8, v8, 0, v2
	v_cmp_eq_u64_e64 s[40:41], v[8:9], v[44:45]
	v_lshrrev_b64 v[8:9], v14, v[2:3]
	v_mov_b32_e32 v10, v9
	v_mov_b32_e32 v9, v8
	s_and_saveexec_b64 s[48:49], s[40:41]
; %bb.2173:                             ;   in Loop: Header=BB2_1757 Depth=3
	v_bfe_u32 v2, v8, 20, 1
	v_add_co_u32_e64 v2, s[40:41], v8, v2
	v_add_co_u32_e64 v9, s[40:41], -1, v2
; %bb.2174:                             ;   in Loop: Header=BB2_1757 Depth=3
	s_or_b64 exec, exec, s[48:49]
	v_add_u32_e32 v2, 0xffffff81, v13
	v_cndmask_b32_e32 v2, v2, v0, vcc
	v_lshrrev_b32_e32 v10, 23, v8
	v_add3_u32 v14, v14, v2, v10
	v_add_u32_e32 v13, 6, v14
	v_and_b32_e32 v2, 0xfffff, v9
	v_add_u32_e32 v2, v2, v8
	v_cmp_ne_u32_e32 vcc, 0, v13
                                        ; implicit-def: $vgpr8_vgpr9
                                        ; implicit-def: $vgpr10
	s_and_saveexec_b64 s[40:41], vcc
	s_xor_b64 s[40:41], exec, s[40:41]
; %bb.2175:                             ;   in Loop: Header=BB2_1757 Depth=3
	v_cmp_lt_u64_e32 vcc, s[88:89], v[2:3]
	v_add_u32_e32 v8, 7, v14
	v_cndmask_b32_e32 v10, v13, v8, vcc
	v_cndmask_b32_e64 v8, 0, 1, vcc
	v_lshrrev_b64 v[8:9], v8, v[2:3]
; %bb.2176:                             ;   in Loop: Header=BB2_1757 Depth=3
	s_andn2_saveexec_b64 s[40:41], s[40:41]
; %bb.2177:                             ;   in Loop: Header=BB2_1757 Depth=3
	v_mov_b32_e32 v9, v3
	v_bfe_u32 v10, v2, 23, 1
	v_mov_b32_e32 v8, v2
; %bb.2178:                             ;   in Loop: Header=BB2_1757 Depth=3
	s_or_b64 exec, exec, s[40:41]
	v_lshrrev_b64 v[8:9], 20, v[8:9]
	v_cmp_gt_i32_e32 vcc, 16, v10
	v_cndmask_b32_e32 v9, 0, v9, vcc
	v_cndmask_b32_e32 v8, 7, v8, vcc
	v_min_i32_e32 v2, 15, v10
	v_cmp_eq_u64_e64 s[40:41], 0, v[8:9]
	v_lshlrev_b32_e32 v2, 3, v2
	v_cmp_eq_u32_e32 vcc, 0, v10
	v_and_b32_e32 v2, 0xf8, v2
	v_and_or_b32 v2, v8, 7, v2
	s_and_b64 s[40:41], vcc, s[40:41]
	v_cndmask_b32_e64 v2, v2, 0, s[40:41]
	v_or_b32_e32 v2, v2, v11
.LBB2_2179:                             ;   in Loop: Header=BB2_1757 Depth=3
	s_or_b64 exec, exec, s[38:39]
                                        ; implicit-def: $vgpr11
.LBB2_2180:                             ;   in Loop: Header=BB2_1757 Depth=3
	s_andn2_saveexec_b64 s[40:41], s[36:37]
; %bb.2181:                             ;   in Loop: Header=BB2_1757 Depth=3
	v_or_b32_e32 v2, 0x7e, v11
; %bb.2182:                             ;   in Loop: Header=BB2_1757 Depth=3
	s_or_b64 exec, exec, s[40:41]
                                        ; implicit-def: $vgpr8
.LBB2_2183:                             ;   in Loop: Header=BB2_1757 Depth=3
	s_andn2_saveexec_b64 s[40:41], s[42:43]
; %bb.2184:                             ;   in Loop: Header=BB2_1757 Depth=3
	v_or_b32_sdwa v2, v8, s71 dst_sel:DWORD dst_unused:UNUSED_PAD src0_sel:BYTE_3 src1_sel:DWORD
; %bb.2185:                             ;   in Loop: Header=BB2_1757 Depth=3
	s_or_b64 exec, exec, s[40:41]
	v_lshl_or_b32 v8, v27, 8, v26
	v_lshlrev_b32_e32 v9, 16, v30
	v_lshlrev_b32_e32 v10, 24, v34
	v_lshl_or_b32 v4, v6, 8, v4
	v_lshlrev_b32_e32 v6, 16, v7
	v_lshlrev_b32_e32 v7, 24, v21
	v_or3_b32 v9, v8, v9, v10
	v_or3_b32 v8, v4, v6, v7
	v_lshl_or_b32 v4, v16, 8, v52
	v_lshlrev_b32_e32 v6, 16, v48
	v_lshlrev_b32_e32 v7, 24, v59
	v_or3_b32 v10, v4, v6, v7
	v_lshlrev_b32_e32 v2, 24, v2
	v_lshlrev_b32_e32 v4, 16, v12
	v_lshl_or_b32 v6, v25, 8, v24
	v_or3_b32 v11, v6, v4, v2
	s_mov_b64 s[38:39], 0
	s_mov_b64 s[36:37], -1
.LBB2_2186:                             ;   Parent Loop BB2_47 Depth=1
                                        ;     Parent Loop BB2_1679 Depth=2
                                        ;       Parent Loop BB2_1757 Depth=3
                                        ; =>      This Inner Loop Header: Depth=4
	s_cmp_eq_u32 s38, 1
	s_cselect_b64 s[40:41], -1, 0
	v_cndmask_b32_e64 v6, v40, v61, s[40:41]
	v_cndmask_b32_e64 v7, v41, v37, s[40:41]
	v_add_co_u32_e32 v2, vcc, 0x400, v6
	s_cmp_eq_u32 s38, 0
	v_addc_co_u32_e32 v4, vcc, 0, v7, vcc
	s_cselect_b64 vcc, -1, 0
	s_and_b64 s[42:43], exec, s[36:37]
	s_mov_b64 s[38:39], 1
	v_cndmask_b32_e64 v61, v61, v2, s[40:41]
	s_mov_b64 s[36:37], 0
	v_cndmask_b32_e64 v37, v37, v4, s[40:41]
	v_cndmask_b32_e32 v41, v41, v4, vcc
	v_cndmask_b32_e32 v40, v40, v2, vcc
	s_mov_b64 vcc, s[42:43]
	global_store_dwordx4 v[6:7], v[8:11], off glc slc
	s_cbranch_vccnz .LBB2_2186
; %bb.2187:                             ;   in Loop: Header=BB2_1757 Depth=3
	buffer_load_dword v2, off, s[0:3], s33 offset:64 ; 4-byte Folded Reload
	buffer_load_dword v4, off, s[0:3], s33 offset:68 ; 4-byte Folded Reload
	v_sub_u32_e32 v31, v31, v38
	v_sub_u32_e32 v53, v53, v17
	s_waitcnt vmcnt(1)
	v_add_co_u32_e32 v46, vcc, v46, v2
	s_waitcnt vmcnt(0)
	v_addc_co_u32_e32 v47, vcc, v47, v4, vcc
	v_add_co_u32_e32 v55, vcc, v55, v2
	v_addc_co_u32_e32 v56, vcc, v56, v4, vcc
	buffer_load_dword v4, off, s[0:3], s33 offset:60 ; 4-byte Folded Reload
	v_add_u32_e32 v2, 0xfffffc00, v38
	v_add_co_u32_e32 v40, vcc, v40, v2
	s_waitcnt vmcnt(0)
	v_addc_co_u32_e32 v41, vcc, v41, v4, vcc
	v_add_co_u32_e32 v61, vcc, v61, v2
	v_addc_co_u32_e32 v37, vcc, v37, v4, vcc
	v_cmp_gt_i32_e32 vcc, 16, v31
	s_or_b64 s[34:35], vcc, s[34:35]
	s_andn2_b64 exec, exec, s[34:35]
	s_cbranch_execnz .LBB2_1757
	s_branch .LBB2_2208
.LBB2_2188:                             ;   in Loop: Header=BB2_1757 Depth=3
	s_or_saveexec_b64 s[42:43], s[42:43]
	v_bfrev_b32_e32 v4, 1
	s_xor_b64 exec, exec, s[42:43]
	s_cbranch_execz .LBB2_1767
.LBB2_2189:                             ;   in Loop: Header=BB2_1757 Depth=3
	v_cmp_ne_u16_sdwa s[44:45], v8, v3 src0_sel:BYTE_0 src1_sel:DWORD
	s_andn2_b64 s[40:41], s[40:41], exec
	s_and_b64 s[44:45], s[44:45], exec
	v_mov_b32_e32 v4, 0
	s_or_b64 s[40:41], s[40:41], s[44:45]
	s_or_b64 exec, exec, s[42:43]
	s_and_saveexec_b64 s[42:43], s[40:41]
	s_cbranch_execnz .LBB2_1768
	s_branch .LBB2_1769
.LBB2_2190:                             ;   in Loop: Header=BB2_1757 Depth=3
	s_or_saveexec_b64 s[42:43], s[42:43]
	v_bfrev_b32_e32 v7, 1
	s_xor_b64 exec, exec, s[42:43]
	s_cbranch_execz .LBB2_1795
.LBB2_2191:                             ;   in Loop: Header=BB2_1757 Depth=3
	v_cmp_ne_u16_e32 vcc, 0, v2
	s_andn2_b64 s[40:41], s[40:41], exec
	s_and_b64 s[44:45], vcc, exec
	v_mov_b32_e32 v7, 0
	s_or_b64 s[40:41], s[40:41], s[44:45]
	s_or_b64 exec, exec, s[42:43]
	s_and_saveexec_b64 s[42:43], s[40:41]
	s_cbranch_execnz .LBB2_1796
	s_branch .LBB2_1797
.LBB2_2192:                             ;   in Loop: Header=BB2_1757 Depth=3
	s_or_saveexec_b64 s[42:43], s[42:43]
	v_bfrev_b32_e32 v16, 1
	s_xor_b64 exec, exec, s[42:43]
	s_cbranch_execz .LBB2_1823
.LBB2_2193:                             ;   in Loop: Header=BB2_1757 Depth=3
	v_cmp_ne_u16_sdwa s[44:45], v2, v3 src0_sel:BYTE_0 src1_sel:DWORD
	s_andn2_b64 s[40:41], s[40:41], exec
	s_and_b64 s[44:45], s[44:45], exec
	v_mov_b32_e32 v16, 0
	s_or_b64 s[40:41], s[40:41], s[44:45]
	s_or_b64 exec, exec, s[42:43]
	s_and_saveexec_b64 s[42:43], s[40:41]
	s_cbranch_execnz .LBB2_1824
	s_branch .LBB2_1825
.LBB2_2194:                             ;   in Loop: Header=BB2_1757 Depth=3
	s_or_saveexec_b64 s[42:43], s[42:43]
	v_bfrev_b32_e32 v24, 1
	s_xor_b64 exec, exec, s[42:43]
	s_cbranch_execz .LBB2_1903
.LBB2_2195:                             ;   in Loop: Header=BB2_1757 Depth=3
	v_cmp_ne_u16_e32 vcc, 0, v2
	s_andn2_b64 s[40:41], s[40:41], exec
	s_and_b64 s[44:45], vcc, exec
	v_mov_b32_e32 v24, 0
	s_or_b64 s[40:41], s[40:41], s[44:45]
	s_or_b64 exec, exec, s[42:43]
	s_and_saveexec_b64 s[42:43], s[40:41]
	s_cbranch_execnz .LBB2_1904
	s_branch .LBB2_1905
.LBB2_2196:                             ;   in Loop: Header=BB2_1757 Depth=3
	s_or_saveexec_b64 s[42:43], s[42:43]
	v_bfrev_b32_e32 v24, 1
	s_xor_b64 exec, exec, s[42:43]
	s_cbranch_execz .LBB2_1931
.LBB2_2197:                             ;   in Loop: Header=BB2_1757 Depth=3
	v_cmp_ne_u16_sdwa s[44:45], v2, v3 src0_sel:BYTE_0 src1_sel:DWORD
	s_andn2_b64 s[40:41], s[40:41], exec
	s_and_b64 s[44:45], s[44:45], exec
	v_mov_b32_e32 v24, 0
	s_or_b64 s[40:41], s[40:41], s[44:45]
	s_or_b64 exec, exec, s[42:43]
	s_and_saveexec_b64 s[42:43], s[40:41]
	s_cbranch_execnz .LBB2_1932
	s_branch .LBB2_1933
.LBB2_2198:                             ;   in Loop: Header=BB2_1757 Depth=3
	s_or_saveexec_b64 s[42:43], s[42:43]
	v_bfrev_b32_e32 v8, 1
	s_xor_b64 exec, exec, s[42:43]
	s_cbranch_execz .LBB2_1981
.LBB2_2199:                             ;   in Loop: Header=BB2_1757 Depth=3
	v_cmp_ne_u16_sdwa s[44:45], v10, v3 src0_sel:BYTE_0 src1_sel:DWORD
	s_andn2_b64 s[40:41], s[40:41], exec
	s_and_b64 s[44:45], s[44:45], exec
	v_mov_b32_e32 v8, 0
	s_or_b64 s[40:41], s[40:41], s[44:45]
	s_or_b64 exec, exec, s[42:43]
	s_and_saveexec_b64 s[42:43], s[40:41]
	s_cbranch_execnz .LBB2_1982
	s_branch .LBB2_1983
.LBB2_2200:                             ;   in Loop: Header=BB2_1757 Depth=3
	s_or_saveexec_b64 s[42:43], s[42:43]
	v_bfrev_b32_e32 v9, 1
	s_xor_b64 exec, exec, s[42:43]
	s_cbranch_execz .LBB2_2009
.LBB2_2201:                             ;   in Loop: Header=BB2_1757 Depth=3
	v_cmp_ne_u16_e32 vcc, 0, v2
	s_andn2_b64 s[40:41], s[40:41], exec
	s_and_b64 s[44:45], vcc, exec
	v_mov_b32_e32 v9, 0
	s_or_b64 s[40:41], s[40:41], s[44:45]
	s_or_b64 exec, exec, s[42:43]
	s_and_saveexec_b64 s[42:43], s[40:41]
	s_cbranch_execnz .LBB2_2010
	s_branch .LBB2_2011
.LBB2_2202:                             ;   in Loop: Header=BB2_1757 Depth=3
	s_or_saveexec_b64 s[42:43], s[42:43]
	v_bfrev_b32_e32 v9, 1
	s_xor_b64 exec, exec, s[42:43]
	s_cbranch_execz .LBB2_2037
.LBB2_2203:                             ;   in Loop: Header=BB2_1757 Depth=3
	v_cmp_ne_u16_sdwa s[44:45], v2, v3 src0_sel:BYTE_0 src1_sel:DWORD
	s_andn2_b64 s[40:41], s[40:41], exec
	s_and_b64 s[44:45], s[44:45], exec
	v_mov_b32_e32 v9, 0
	s_or_b64 s[40:41], s[40:41], s[44:45]
	s_or_b64 exec, exec, s[42:43]
	s_and_saveexec_b64 s[42:43], s[40:41]
	s_cbranch_execnz .LBB2_2038
	s_branch .LBB2_2039
.LBB2_2204:                             ;   in Loop: Header=BB2_1757 Depth=3
	s_or_saveexec_b64 s[42:43], s[42:43]
	v_bfrev_b32_e32 v8, 1
	s_xor_b64 exec, exec, s[42:43]
	s_cbranch_execz .LBB2_2117
.LBB2_2205:                             ;   in Loop: Header=BB2_1757 Depth=3
	v_cmp_ne_u16_e32 vcc, 0, v2
	s_andn2_b64 s[40:41], s[40:41], exec
	s_and_b64 s[44:45], vcc, exec
	v_mov_b32_e32 v8, 0
	s_or_b64 s[40:41], s[40:41], s[44:45]
	s_or_b64 exec, exec, s[42:43]
	s_and_saveexec_b64 s[42:43], s[40:41]
	s_cbranch_execnz .LBB2_2118
	s_branch .LBB2_2119
.LBB2_2206:                             ;   in Loop: Header=BB2_1757 Depth=3
	s_or_saveexec_b64 s[42:43], s[42:43]
	v_bfrev_b32_e32 v9, 1
	s_xor_b64 exec, exec, s[42:43]
	s_cbranch_execz .LBB2_2145
.LBB2_2207:                             ;   in Loop: Header=BB2_1757 Depth=3
	v_cmp_ne_u16_sdwa s[44:45], v2, v3 src0_sel:BYTE_0 src1_sel:DWORD
	s_andn2_b64 s[40:41], s[40:41], exec
	s_and_b64 s[44:45], s[44:45], exec
	v_mov_b32_e32 v9, 0
	s_or_b64 s[40:41], s[40:41], s[44:45]
	s_or_b64 exec, exec, s[42:43]
	s_and_saveexec_b64 s[42:43], s[40:41]
	s_cbranch_execnz .LBB2_2146
	s_branch .LBB2_2147
.LBB2_2208:                             ;   in Loop: Header=BB2_1679 Depth=2
	s_or_b64 exec, exec, s[34:35]
	buffer_load_dword v56, off, s[0:3], s33 offset:148 ; 4-byte Folded Reload
	buffer_load_dword v47, off, s[0:3], s33 offset:144 ; 4-byte Folded Reload
	;; [unrolled: 1-line block ×5, first 2 shown]
.LBB2_2209:                             ;   in Loop: Header=BB2_1679 Depth=2
	s_or_b64 exec, exec, s[30:31]
	s_waitcnt vmcnt(2)
	v_and_b32_e32 v8, 15, v30
	s_waitcnt vmcnt(0)
	v_cndmask_b32_e64 v9, v11, v8, s[28:29]
	v_mov_b32_e32 v4, 0
	v_cmp_ne_u32_e32 vcc, 0, v9
	s_mov_b64 s[40:41], 0
                                        ; implicit-def: $vgpr6
                                        ; implicit-def: $vgpr7
                                        ; implicit-def: $vgpr2
	s_and_saveexec_b64 s[30:31], vcc
	s_cbranch_execz .LBB2_2667
; %bb.2210:                             ;   in Loop: Header=BB2_1679 Depth=2
	buffer_load_dword v4, off, s[0:3], s33 offset:152 ; 4-byte Folded Reload
	v_sub_u32_e32 v2, v11, v8
	v_cndmask_b32_e64 v2, 0, v2, s[28:29]
	v_cmp_lt_i32_e32 vcc, 0, v53
	v_add_u32_e32 v10, v2, v10
	v_cndmask_b32_e32 v2, 0, v17, vcc
	v_sub_u32_e32 v2, v2, v53
	s_waitcnt vmcnt(0)
	v_lshl_add_u32 v2, v2, 6, v4
	v_ashrrev_i32_e32 v4, 31, v2
	v_lshrrev_b32_e32 v4, 26, v4
	v_add_u32_e32 v4, v2, v4
	v_ashrrev_i32_e32 v6, 6, v4
	v_and_b32_e32 v4, 0xffffffc0, v4
	v_sub_u32_e32 v11, v2, v4
	v_ashrrev_i32_e32 v4, 31, v9
	v_lshrrev_b32_e32 v4, 22, v4
	v_add_u32_e32 v4, v9, v4
	v_and_b32_e32 v12, 0xfffffc00, v4
	v_lshlrev_b32_e32 v2, 4, v11
	v_sub_u32_e32 v13, v9, v12
	v_lshl_add_u32 v2, v6, 10, v2
	v_ashrrev_i32_e32 v7, 10, v4
	v_cmp_lt_i32_e64 s[28:29], 15, v13
	v_sub_u32_e32 v37, v9, v2
	v_addc_co_u32_e64 v4, vcc, 0, v7, s[28:29]
	v_sub_u32_e32 v53, v4, v6
	v_cmp_lt_i32_e32 vcc, 15, v37
	s_and_saveexec_b64 s[34:35], vcc
	s_cbranch_execz .LBB2_2664
; %bb.2211:                             ;   in Loop: Header=BB2_1679 Depth=2
	buffer_store_dword v13, off, s[0:3], s33 offset:272 ; 4-byte Folded Spill
	buffer_store_dword v12, off, s[0:3], s33 offset:268 ; 4-byte Folded Spill
	;; [unrolled: 1-line block ×6, first 2 shown]
	buffer_load_dword v6, off, s[0:3], s33 offset:156 ; 4-byte Folded Reload
	buffer_load_dword v7, off, s[0:3], s33 offset:160 ; 4-byte Folded Reload
	v_add_u32_e32 v2, v2, v10
	v_ashrrev_i32_e32 v4, 31, v2
	s_mov_b64 s[36:37], 0
	s_waitcnt vmcnt(1)
	v_add_co_u32_e32 v40, vcc, v2, v6
	s_waitcnt vmcnt(0)
	v_addc_co_u32_e32 v41, vcc, v4, v7, vcc
	buffer_load_dword v6, off, s[0:3], s33 offset:196 ; 4-byte Folded Reload
	buffer_load_dword v7, off, s[0:3], s33 offset:200 ; 4-byte Folded Reload
	s_trap 2
	s_waitcnt vmcnt(1)
	v_add_co_u32_e32 v61, vcc, v2, v6
	s_waitcnt vmcnt(0)
	v_addc_co_u32_e32 v31, vcc, v4, v7, vcc
	ds_read_b64 v[6:7], v0
	v_add_co_u32_e32 v46, vcc, v2, v42
	v_addc_co_u32_e32 v47, vcc, v4, v43, vcc
	s_waitcnt lgkmcnt(0)
	v_add_co_u32_e32 v55, vcc, v6, v2
	v_addc_co_u32_e32 v56, vcc, v7, v4, vcc
.LBB2_2212:                             ;   Parent Loop BB2_47 Depth=1
                                        ;     Parent Loop BB2_1679 Depth=2
                                        ; =>    This Loop Header: Depth=3
                                        ;         Child Loop BB2_2641 Depth 4
	global_load_dwordx4 v[12:15], v[46:47], off glc slc
	global_load_dwordx4 v[8:11], v[55:56], off glc slc
	v_mov_b32_e32 v2, 0
	s_waitcnt vmcnt(1)
	v_cmp_ne_u16_sdwa s[42:43], v12, v3 src0_sel:BYTE_0 src1_sel:DWORD
	s_and_saveexec_b64 s[40:41], s[42:43]
	s_cbranch_execz .LBB2_2218
; %bb.2213:                             ;   in Loop: Header=BB2_2212 Depth=3
	v_cmp_ne_u16_sdwa s[44:45], v12, s70 src0_sel:BYTE_0 src1_sel:DWORD
	v_bfrev_b32_e32 v2, 1
	s_and_saveexec_b64 s[42:43], s[44:45]
	s_cbranch_execz .LBB2_2217
; %bb.2214:                             ;   in Loop: Header=BB2_2212 Depth=3
	v_and_b32_e32 v4, 0x7f, v12
	v_cmp_ne_u32_e32 vcc, s71, v4
	v_mov_b32_e32 v2, 0x7f800001
	s_and_saveexec_b64 s[38:39], vcc
	s_cbranch_execz .LBB2_2216
; %bb.2215:                             ;   in Loop: Header=BB2_2212 Depth=3
	v_and_b32_e32 v2, 7, v12
	v_ffbh_u32_e32 v2, v2
	v_min_u32_e32 v2, 32, v2
	v_lshrrev_b32_e32 v6, 3, v4
	v_cmp_gt_u32_e32 vcc, 8, v4
	v_subrev_u32_e32 v4, 28, v2
	v_sub_u32_e32 v2, 29, v2
	v_cndmask_b32_e32 v4, 0, v4, vcc
	v_cndmask_b32_e32 v2, v6, v2, vcc
	v_lshlrev_b64 v[6:7], v4, v[12:13]
	v_lshl_add_u32 v2, v2, 23, v49
	v_lshlrev_b32_e32 v4, 20, v6
	v_lshlrev_b32_e32 v6, 24, v12
	v_and_b32_e32 v4, 0x700000, v4
	v_and_b32_e32 v6, 0x80000000, v6
	v_or3_b32 v2, v6, v2, v4
.LBB2_2216:                             ;   in Loop: Header=BB2_2212 Depth=3
	s_or_b64 exec, exec, s[38:39]
.LBB2_2217:                             ;   in Loop: Header=BB2_2212 Depth=3
	s_or_b64 exec, exec, s[42:43]
.LBB2_2218:                             ;   in Loop: Header=BB2_2212 Depth=3
	s_or_b64 exec, exec, s[40:41]
	s_waitcnt vmcnt(0)
	v_cmp_gt_i16_sdwa s[42:43], v8, s71 src0_sel:BYTE_0 src1_sel:DWORD
	s_mov_b64 s[40:41], 0
	s_and_saveexec_b64 s[44:45], s[42:43]
	s_xor_b64 s[42:43], exec, s[44:45]
	s_cbranch_execz .LBB2_2643
; %bb.2219:                             ;   in Loop: Header=BB2_2212 Depth=3
	v_cmp_eq_u16_sdwa s[44:45], v8, s70 src0_sel:BYTE_0 src1_sel:DWORD
	s_mov_b64 s[40:41], -1
	s_and_saveexec_b64 vcc, s[44:45]
; %bb.2220:                             ;   in Loop: Header=BB2_2212 Depth=3
	s_xor_b64 s[40:41], exec, -1
; %bb.2221:                             ;   in Loop: Header=BB2_2212 Depth=3
	s_or_b64 exec, exec, vcc
	s_and_b64 s[40:41], s[40:41], exec
	s_or_saveexec_b64 s[42:43], s[42:43]
	v_bfrev_b32_e32 v4, 1
	s_xor_b64 exec, exec, s[42:43]
	s_cbranch_execnz .LBB2_2644
.LBB2_2222:                             ;   in Loop: Header=BB2_2212 Depth=3
	s_or_b64 exec, exec, s[42:43]
	s_and_saveexec_b64 s[42:43], s[40:41]
	s_cbranch_execz .LBB2_2224
.LBB2_2223:                             ;   in Loop: Header=BB2_2212 Depth=3
	v_and_b32_e32 v4, 7, v8
	v_ffbh_u32_e32 v4, v4
	v_and_b32_e32 v16, 0x7f, v8
	v_min_u32_e32 v4, 32, v4
	v_bfe_u32 v6, v8, 3, 4
	v_subrev_u32_e32 v7, 28, v4
	v_sub_u32_e32 v4, 29, v4
	v_cmp_gt_u32_e32 vcc, 8, v16
	v_cndmask_b32_e32 v4, v6, v4, vcc
	v_cndmask_b32_e32 v6, 0, v7, vcc
	v_lshlrev_b64 v[6:7], v6, v[8:9]
	v_lshlrev_b32_e32 v7, 24, v8
	v_lshlrev_b32_e32 v6, 20, v6
	v_and_b32_e32 v6, 0x700000, v6
	v_and_b32_e32 v7, 0x80000000, v7
	v_lshl_add_u32 v4, v4, 23, v49
	v_or3_b32 v4, v7, v4, v6
	v_cmp_ne_u32_e32 vcc, s71, v16
	v_cndmask_b32_e32 v4, v5, v4, vcc
.LBB2_2224:                             ;   in Loop: Header=BB2_2212 Depth=3
	s_or_b64 exec, exec, s[42:43]
	v_mul_f32_e32 v7, v2, v4
	v_and_b32_e32 v2, 0x7f800000, v7
	v_cmp_ne_u64_e32 vcc, s[62:63], v[2:3]
                                        ; implicit-def: $vgpr4
	s_and_saveexec_b64 s[40:41], vcc
	s_xor_b64 s[42:43], exec, s[40:41]
	s_cbranch_execz .LBB2_2238
; %bb.2225:                             ;   in Loop: Header=BB2_2212 Depth=3
	v_and_b32_e32 v2, 0x7fffffff, v7
	v_cmp_gt_u64_e32 vcc, s[72:73], v[2:3]
	v_and_b32_sdwa v6, v7, s70 dst_sel:DWORD dst_unused:UNUSED_PAD src0_sel:BYTE_3 src1_sel:DWORD
                                        ; implicit-def: $vgpr4
	s_and_saveexec_b64 s[40:41], vcc
	s_xor_b64 s[38:39], exec, s[40:41]
	s_cbranch_execz .LBB2_2235
; %bb.2226:                             ;   in Loop: Header=BB2_2212 Depth=3
	v_mov_b32_e32 v4, 0
	v_cmp_ne_u32_e32 vcc, 0, v7
	s_and_saveexec_b64 s[48:49], vcc
	s_cbranch_execz .LBB2_2234
; %bb.2227:                             ;   in Loop: Header=BB2_2212 Depth=3
	v_bfe_u32 v4, v7, 23, 8
	v_and_b32_e32 v2, 0x7fffff, v7
	v_cmp_gt_u32_e64 s[40:41], s80, v4
	v_sub_u32_e32 v7, 0x79, v4
	v_cmp_eq_u32_e32 vcc, 0, v4
	v_cndmask_b32_e64 v7, 0, v7, s[40:41]
	v_or_b32_e32 v16, 0x800000, v2
	v_cndmask_b32_e32 v7, v7, v1, vcc
	v_cndmask_b32_e32 v2, v16, v2, vcc
	v_add_u32_e32 v16, 20, v7
	v_lshlrev_b64 v[24:25], v16, -1
	v_add_u32_e32 v16, 19, v7
	v_lshlrev_b64 v[26:27], v16, 1
	v_lshrrev_b64 v[57:58], v7, v[2:3]
	v_bfi_b32 v25, v25, 0, 0
	v_bfi_b32 v24, v24, 0, v2
	v_cmp_eq_u64_e64 s[40:41], v[24:25], v[26:27]
	v_mov_b32_e32 v59, v58
	v_mov_b32_e32 v58, v57
	s_and_saveexec_b64 s[50:51], s[40:41]
; %bb.2228:                             ;   in Loop: Header=BB2_2212 Depth=3
	v_bfe_u32 v2, v57, 20, 1
	v_add_co_u32_e64 v2, s[40:41], v57, v2
	v_add_co_u32_e64 v58, s[40:41], -1, v2
; %bb.2229:                             ;   in Loop: Header=BB2_2212 Depth=3
	s_or_b64 exec, exec, s[50:51]
	v_add_u32_e32 v2, 0xffffff81, v4
	v_cndmask_b32_e32 v2, v2, v0, vcc
	v_lshrrev_b32_e32 v4, 23, v57
	v_add3_u32 v16, v7, v2, v4
	v_add_u32_e32 v7, 6, v16
	v_and_b32_e32 v2, 0xfffff, v58
	v_add_u32_e32 v2, v2, v57
	v_cmp_ne_u32_e32 vcc, 0, v7
                                        ; implicit-def: $vgpr57_vgpr58
                                        ; implicit-def: $vgpr4
	s_and_saveexec_b64 s[40:41], vcc
	s_xor_b64 s[40:41], exec, s[40:41]
; %bb.2230:                             ;   in Loop: Header=BB2_2212 Depth=3
	v_cmp_lt_u64_e32 vcc, s[88:89], v[2:3]
	v_add_u32_e32 v4, 7, v16
	v_cndmask_b32_e32 v4, v7, v4, vcc
	v_cndmask_b32_e64 v7, 0, 1, vcc
	v_lshrrev_b64 v[57:58], v7, v[2:3]
; %bb.2231:                             ;   in Loop: Header=BB2_2212 Depth=3
	s_andn2_saveexec_b64 s[40:41], s[40:41]
; %bb.2232:                             ;   in Loop: Header=BB2_2212 Depth=3
	v_mov_b32_e32 v58, v3
	v_bfe_u32 v4, v2, 23, 1
	v_mov_b32_e32 v57, v2
; %bb.2233:                             ;   in Loop: Header=BB2_2212 Depth=3
	s_or_b64 exec, exec, s[40:41]
	v_lshrrev_b64 v[24:25], 20, v[57:58]
	v_cmp_gt_i32_e32 vcc, 16, v4
	v_cndmask_b32_e32 v25, 0, v25, vcc
	v_cndmask_b32_e32 v24, 7, v24, vcc
	v_min_i32_e32 v2, 15, v4
	v_cmp_eq_u64_e64 s[40:41], 0, v[24:25]
	v_lshlrev_b32_e32 v2, 3, v2
	v_cmp_eq_u32_e32 vcc, 0, v4
	v_and_b32_e32 v2, 0xf8, v2
	v_and_or_b32 v2, v24, 7, v2
	s_and_b64 s[40:41], vcc, s[40:41]
	v_cndmask_b32_e64 v2, v2, 0, s[40:41]
	v_or_b32_e32 v4, v2, v6
.LBB2_2234:                             ;   in Loop: Header=BB2_2212 Depth=3
	s_or_b64 exec, exec, s[48:49]
                                        ; implicit-def: $vgpr6
.LBB2_2235:                             ;   in Loop: Header=BB2_2212 Depth=3
	s_andn2_saveexec_b64 s[40:41], s[38:39]
; %bb.2236:                             ;   in Loop: Header=BB2_2212 Depth=3
	v_or_b32_e32 v4, 0x7e, v6
; %bb.2237:                             ;   in Loop: Header=BB2_2212 Depth=3
	s_or_b64 exec, exec, s[40:41]
                                        ; implicit-def: $vgpr7
.LBB2_2238:                             ;   in Loop: Header=BB2_2212 Depth=3
	s_andn2_saveexec_b64 s[40:41], s[42:43]
; %bb.2239:                             ;   in Loop: Header=BB2_2212 Depth=3
	v_or_b32_sdwa v4, v7, s71 dst_sel:DWORD dst_unused:UNUSED_PAD src0_sel:BYTE_3 src1_sel:DWORD
; %bb.2240:                             ;   in Loop: Header=BB2_2212 Depth=3
	s_or_b64 exec, exec, s[40:41]
	v_lshrrev_b16_e32 v2, 8, v12
	v_cmp_ne_u16_e32 vcc, 0, v2
	v_mov_b32_e32 v6, 0
	s_and_saveexec_b64 s[40:41], vcc
	s_cbranch_execz .LBB2_2246
; %bb.2241:                             ;   in Loop: Header=BB2_2212 Depth=3
	v_cmp_ne_u16_e32 vcc, s70, v2
	v_bfrev_b32_e32 v6, 1
	s_and_saveexec_b64 s[42:43], vcc
	s_cbranch_execz .LBB2_2245
; %bb.2242:                             ;   in Loop: Header=BB2_2212 Depth=3
	v_and_b32_e32 v7, 0x7f, v2
	v_cmp_ne_u32_e32 vcc, s71, v7
	v_mov_b32_e32 v6, 0x7f800001
	s_and_saveexec_b64 s[38:39], vcc
	s_cbranch_execz .LBB2_2244
; %bb.2243:                             ;   in Loop: Header=BB2_2212 Depth=3
	v_and_b32_e32 v16, 7, v2
	v_ffbh_u32_e32 v6, v16
	v_min_u32_e32 v24, 32, v6
	v_subrev_u32_e32 v6, 28, v24
	v_lshrrev_b32_e32 v21, 3, v7
	v_cmp_gt_u32_e32 vcc, 8, v7
	v_lshlrev_b64 v[6:7], v6, v[2:3]
	v_sub_u32_e32 v2, 29, v24
	v_and_b32_e32 v6, 7, v6
	v_cndmask_b32_e32 v2, v21, v2, vcc
	v_cndmask_b32_e32 v6, v16, v6, vcc
	v_lshlrev_b32_e32 v7, 16, v12
	v_lshlrev_b32_e32 v6, 20, v6
	v_and_b32_e32 v7, 0x80000000, v7
	v_lshl_add_u32 v2, v2, 23, v49
	v_or3_b32 v6, v7, v2, v6
.LBB2_2244:                             ;   in Loop: Header=BB2_2212 Depth=3
	s_or_b64 exec, exec, s[38:39]
.LBB2_2245:                             ;   in Loop: Header=BB2_2212 Depth=3
	s_or_b64 exec, exec, s[42:43]
.LBB2_2246:                             ;   in Loop: Header=BB2_2212 Depth=3
	s_or_b64 exec, exec, s[40:41]
	v_lshrrev_b16_e32 v2, 8, v8
	v_cmp_lt_i16_e32 vcc, s71, v2
	s_mov_b64 s[40:41], 0
	s_and_saveexec_b64 s[42:43], vcc
	s_xor_b64 s[42:43], exec, s[42:43]
	s_cbranch_execz .LBB2_2645
; %bb.2247:                             ;   in Loop: Header=BB2_2212 Depth=3
	v_cmp_eq_u16_e32 vcc, s70, v2
	s_mov_b64 s[40:41], -1
	s_and_saveexec_b64 s[38:39], vcc
; %bb.2248:                             ;   in Loop: Header=BB2_2212 Depth=3
	s_xor_b64 s[40:41], exec, -1
; %bb.2249:                             ;   in Loop: Header=BB2_2212 Depth=3
	s_or_b64 exec, exec, s[38:39]
	s_and_b64 s[40:41], s[40:41], exec
	s_or_saveexec_b64 s[42:43], s[42:43]
	v_bfrev_b32_e32 v7, 1
	s_xor_b64 exec, exec, s[42:43]
	s_cbranch_execnz .LBB2_2646
.LBB2_2250:                             ;   in Loop: Header=BB2_2212 Depth=3
	s_or_b64 exec, exec, s[42:43]
	s_and_saveexec_b64 s[42:43], s[40:41]
	s_cbranch_execz .LBB2_2252
.LBB2_2251:                             ;   in Loop: Header=BB2_2212 Depth=3
	v_and_b32_e32 v7, 7, v2
	v_ffbh_u32_e32 v24, v7
	v_min_u32_e32 v26, 32, v24
	v_subrev_u32_e32 v24, 28, v26
	v_lshlrev_b64 v[24:25], v24, v[2:3]
	v_and_b32_e32 v16, 0x7f, v2
	v_bfe_u32 v21, v2, 3, 4
	v_sub_u32_e32 v25, 29, v26
	v_and_b32_e32 v24, 7, v24
	v_cmp_gt_u32_e32 vcc, 8, v16
	v_cndmask_b32_e32 v21, v21, v25, vcc
	v_cndmask_b32_e32 v7, v7, v24, vcc
	v_lshlrev_b32_e32 v2, 24, v2
	v_lshlrev_b32_e32 v7, 20, v7
	v_and_b32_e32 v2, 0x80000000, v2
	v_lshl_add_u32 v21, v21, 23, v49
	v_or3_b32 v2, v2, v21, v7
	v_cmp_ne_u32_e32 vcc, s71, v16
	v_cndmask_b32_e32 v7, v5, v2, vcc
.LBB2_2252:                             ;   in Loop: Header=BB2_2212 Depth=3
	s_or_b64 exec, exec, s[42:43]
	v_mul_f32_e32 v16, v6, v7
	v_and_b32_e32 v2, 0x7f800000, v16
	v_cmp_ne_u64_e32 vcc, s[62:63], v[2:3]
                                        ; implicit-def: $vgpr6
	s_and_saveexec_b64 s[40:41], vcc
	s_xor_b64 s[42:43], exec, s[40:41]
	s_cbranch_execz .LBB2_2266
; %bb.2253:                             ;   in Loop: Header=BB2_2212 Depth=3
	v_and_b32_e32 v2, 0x7fffffff, v16
	v_cmp_gt_u64_e32 vcc, s[72:73], v[2:3]
	v_and_b32_sdwa v7, v16, s70 dst_sel:DWORD dst_unused:UNUSED_PAD src0_sel:BYTE_3 src1_sel:DWORD
                                        ; implicit-def: $vgpr6
	s_and_saveexec_b64 s[40:41], vcc
	s_xor_b64 s[38:39], exec, s[40:41]
	s_cbranch_execz .LBB2_2263
; %bb.2254:                             ;   in Loop: Header=BB2_2212 Depth=3
	v_mov_b32_e32 v6, 0
	v_cmp_ne_u32_e32 vcc, 0, v16
	s_and_saveexec_b64 s[48:49], vcc
	s_cbranch_execz .LBB2_2262
; %bb.2255:                             ;   in Loop: Header=BB2_2212 Depth=3
	v_bfe_u32 v6, v16, 23, 8
	v_and_b32_e32 v2, 0x7fffff, v16
	v_cmp_gt_u32_e64 s[40:41], s80, v6
	v_sub_u32_e32 v16, 0x79, v6
	v_cmp_eq_u32_e32 vcc, 0, v6
	v_cndmask_b32_e64 v16, 0, v16, s[40:41]
	v_or_b32_e32 v21, 0x800000, v2
	v_cndmask_b32_e32 v16, v16, v1, vcc
	v_cndmask_b32_e32 v2, v21, v2, vcc
	v_add_u32_e32 v21, 20, v16
	v_lshlrev_b64 v[24:25], v21, -1
	v_add_u32_e32 v21, 19, v16
	v_lshlrev_b64 v[26:27], v21, 1
	v_lshrrev_b64 v[57:58], v16, v[2:3]
	v_bfi_b32 v25, v25, 0, 0
	v_bfi_b32 v24, v24, 0, v2
	v_cmp_eq_u64_e64 s[40:41], v[24:25], v[26:27]
	v_mov_b32_e32 v59, v58
	v_mov_b32_e32 v58, v57
	s_and_saveexec_b64 s[50:51], s[40:41]
; %bb.2256:                             ;   in Loop: Header=BB2_2212 Depth=3
	v_bfe_u32 v2, v57, 20, 1
	v_add_co_u32_e64 v2, s[40:41], v57, v2
	v_add_co_u32_e64 v58, s[40:41], -1, v2
; %bb.2257:                             ;   in Loop: Header=BB2_2212 Depth=3
	s_or_b64 exec, exec, s[50:51]
	v_add_u32_e32 v2, 0xffffff81, v6
	v_cndmask_b32_e32 v2, v2, v0, vcc
	v_lshrrev_b32_e32 v6, 23, v57
	v_add3_u32 v21, v16, v2, v6
	v_add_u32_e32 v16, 6, v21
	v_and_b32_e32 v2, 0xfffff, v58
	v_add_u32_e32 v2, v2, v57
	v_cmp_ne_u32_e32 vcc, 0, v16
                                        ; implicit-def: $vgpr57_vgpr58
                                        ; implicit-def: $vgpr6
	s_and_saveexec_b64 s[40:41], vcc
	s_xor_b64 s[40:41], exec, s[40:41]
; %bb.2258:                             ;   in Loop: Header=BB2_2212 Depth=3
	v_cmp_lt_u64_e32 vcc, s[88:89], v[2:3]
	v_add_u32_e32 v6, 7, v21
	v_cndmask_b32_e32 v6, v16, v6, vcc
	v_cndmask_b32_e64 v16, 0, 1, vcc
	v_lshrrev_b64 v[57:58], v16, v[2:3]
; %bb.2259:                             ;   in Loop: Header=BB2_2212 Depth=3
	s_andn2_saveexec_b64 s[40:41], s[40:41]
; %bb.2260:                             ;   in Loop: Header=BB2_2212 Depth=3
	v_mov_b32_e32 v58, v3
	v_bfe_u32 v6, v2, 23, 1
	v_mov_b32_e32 v57, v2
; %bb.2261:                             ;   in Loop: Header=BB2_2212 Depth=3
	s_or_b64 exec, exec, s[40:41]
	v_lshrrev_b64 v[24:25], 20, v[57:58]
	v_cmp_gt_i32_e32 vcc, 16, v6
	v_cndmask_b32_e32 v25, 0, v25, vcc
	v_cndmask_b32_e32 v24, 7, v24, vcc
	v_min_i32_e32 v2, 15, v6
	v_cmp_eq_u64_e64 s[40:41], 0, v[24:25]
	v_lshlrev_b32_e32 v2, 3, v2
	v_cmp_eq_u32_e32 vcc, 0, v6
	v_and_b32_e32 v2, 0xf8, v2
	v_and_or_b32 v2, v24, 7, v2
	s_and_b64 s[40:41], vcc, s[40:41]
	v_cndmask_b32_e64 v2, v2, 0, s[40:41]
	v_or_b32_e32 v6, v2, v7
.LBB2_2262:                             ;   in Loop: Header=BB2_2212 Depth=3
	s_or_b64 exec, exec, s[48:49]
                                        ; implicit-def: $vgpr7
.LBB2_2263:                             ;   in Loop: Header=BB2_2212 Depth=3
	s_andn2_saveexec_b64 s[40:41], s[38:39]
; %bb.2264:                             ;   in Loop: Header=BB2_2212 Depth=3
	v_or_b32_e32 v6, 0x7e, v7
; %bb.2265:                             ;   in Loop: Header=BB2_2212 Depth=3
	s_or_b64 exec, exec, s[40:41]
                                        ; implicit-def: $vgpr16
.LBB2_2266:                             ;   in Loop: Header=BB2_2212 Depth=3
	s_andn2_saveexec_b64 s[40:41], s[42:43]
; %bb.2267:                             ;   in Loop: Header=BB2_2212 Depth=3
	v_or_b32_sdwa v6, v16, s71 dst_sel:DWORD dst_unused:UNUSED_PAD src0_sel:BYTE_3 src1_sel:DWORD
; %bb.2268:                             ;   in Loop: Header=BB2_2212 Depth=3
	s_or_b64 exec, exec, s[40:41]
	v_lshrrev_b32_e32 v2, 16, v12
	v_cmp_ne_u16_sdwa s[42:43], v2, v3 src0_sel:BYTE_0 src1_sel:DWORD
	v_mov_b32_e32 v7, 0
	s_and_saveexec_b64 s[40:41], s[42:43]
	s_cbranch_execz .LBB2_2274
; %bb.2269:                             ;   in Loop: Header=BB2_2212 Depth=3
	v_cmp_ne_u16_sdwa s[44:45], v2, s70 src0_sel:BYTE_0 src1_sel:DWORD
	v_bfrev_b32_e32 v7, 1
	s_and_saveexec_b64 s[42:43], s[44:45]
	s_cbranch_execz .LBB2_2273
; %bb.2270:                             ;   in Loop: Header=BB2_2212 Depth=3
	v_bfe_u32 v16, v12, 16, 7
	v_cmp_ne_u32_e32 vcc, s71, v16
	v_mov_b32_e32 v7, 0x7f800001
	s_and_saveexec_b64 s[38:39], vcc
	s_cbranch_execz .LBB2_2272
; %bb.2271:                             ;   in Loop: Header=BB2_2212 Depth=3
	v_and_b32_e32 v7, 7, v2
	v_lshrrev_b32_e32 v21, 3, v16
	v_cmp_gt_u32_e32 vcc, 8, v16
	v_ffbh_u32_e32 v16, v7
	v_min_u32_e32 v16, 32, v16
	v_subrev_u32_e32 v24, 28, v16
	v_lshlrev_b64 v[24:25], v24, v[2:3]
	v_sub_u32_e32 v16, 29, v16
	v_and_b32_e32 v24, 7, v24
	v_cndmask_b32_e32 v16, v21, v16, vcc
	v_cndmask_b32_e32 v7, v7, v24, vcc
	v_lshlrev_b32_e32 v2, 24, v2
	v_lshlrev_b32_e32 v7, 20, v7
	v_and_b32_e32 v2, 0x80000000, v2
	v_lshl_add_u32 v16, v16, 23, v49
	v_or3_b32 v7, v2, v16, v7
.LBB2_2272:                             ;   in Loop: Header=BB2_2212 Depth=3
	s_or_b64 exec, exec, s[38:39]
.LBB2_2273:                             ;   in Loop: Header=BB2_2212 Depth=3
	s_or_b64 exec, exec, s[42:43]
.LBB2_2274:                             ;   in Loop: Header=BB2_2212 Depth=3
	s_or_b64 exec, exec, s[40:41]
	v_lshrrev_b32_e32 v2, 16, v8
	v_cmp_gt_i16_sdwa s[42:43], v2, s71 src0_sel:BYTE_0 src1_sel:DWORD
	s_mov_b64 s[40:41], 0
	s_and_saveexec_b64 s[44:45], s[42:43]
	s_xor_b64 s[42:43], exec, s[44:45]
	s_cbranch_execz .LBB2_2647
; %bb.2275:                             ;   in Loop: Header=BB2_2212 Depth=3
	v_cmp_eq_u16_sdwa s[44:45], v2, s70 src0_sel:BYTE_0 src1_sel:DWORD
	s_mov_b64 s[40:41], -1
	s_and_saveexec_b64 vcc, s[44:45]
; %bb.2276:                             ;   in Loop: Header=BB2_2212 Depth=3
	s_xor_b64 s[40:41], exec, -1
; %bb.2277:                             ;   in Loop: Header=BB2_2212 Depth=3
	s_or_b64 exec, exec, vcc
	s_and_b64 s[40:41], s[40:41], exec
	s_or_saveexec_b64 s[42:43], s[42:43]
	v_bfrev_b32_e32 v16, 1
	s_xor_b64 exec, exec, s[42:43]
	s_cbranch_execnz .LBB2_2648
.LBB2_2278:                             ;   in Loop: Header=BB2_2212 Depth=3
	s_or_b64 exec, exec, s[42:43]
	s_and_saveexec_b64 s[42:43], s[40:41]
	s_cbranch_execz .LBB2_2280
.LBB2_2279:                             ;   in Loop: Header=BB2_2212 Depth=3
	v_and_b32_e32 v16, 7, v2
	v_ffbh_u32_e32 v24, v16
	v_min_u32_e32 v27, 32, v24
	v_subrev_u32_e32 v24, 28, v27
	v_lshlrev_b64 v[24:25], v24, v[2:3]
	v_and_b32_e32 v21, 0x7f, v2
	v_bfe_u32 v26, v2, 3, 4
	v_sub_u32_e32 v25, 29, v27
	v_and_b32_e32 v24, 7, v24
	v_cmp_gt_u32_e32 vcc, 8, v21
	v_cndmask_b32_e32 v25, v26, v25, vcc
	v_cndmask_b32_e32 v16, v16, v24, vcc
	v_lshlrev_b32_e32 v2, 24, v2
	v_lshlrev_b32_e32 v16, 20, v16
	v_and_b32_e32 v2, 0x80000000, v2
	v_lshl_add_u32 v24, v25, 23, v49
	v_or3_b32 v2, v2, v24, v16
	v_cmp_ne_u32_e32 vcc, s71, v21
	v_cndmask_b32_e32 v16, v5, v2, vcc
.LBB2_2280:                             ;   in Loop: Header=BB2_2212 Depth=3
	s_or_b64 exec, exec, s[42:43]
	v_mul_f32_e32 v21, v7, v16
	v_and_b32_e32 v2, 0x7f800000, v21
	v_cmp_ne_u64_e32 vcc, s[62:63], v[2:3]
                                        ; implicit-def: $vgpr7
	s_and_saveexec_b64 s[40:41], vcc
	s_xor_b64 s[42:43], exec, s[40:41]
	s_cbranch_execz .LBB2_2294
; %bb.2281:                             ;   in Loop: Header=BB2_2212 Depth=3
	v_and_b32_e32 v2, 0x7fffffff, v21
	v_cmp_gt_u64_e32 vcc, s[72:73], v[2:3]
	v_and_b32_sdwa v16, v21, s70 dst_sel:DWORD dst_unused:UNUSED_PAD src0_sel:BYTE_3 src1_sel:DWORD
                                        ; implicit-def: $vgpr7
	s_and_saveexec_b64 s[40:41], vcc
	s_xor_b64 s[38:39], exec, s[40:41]
	s_cbranch_execz .LBB2_2291
; %bb.2282:                             ;   in Loop: Header=BB2_2212 Depth=3
	v_mov_b32_e32 v7, 0
	v_cmp_ne_u32_e32 vcc, 0, v21
	s_and_saveexec_b64 s[48:49], vcc
	s_cbranch_execz .LBB2_2290
; %bb.2283:                             ;   in Loop: Header=BB2_2212 Depth=3
	v_bfe_u32 v7, v21, 23, 8
	v_and_b32_e32 v2, 0x7fffff, v21
	v_cmp_gt_u32_e64 s[40:41], s80, v7
	v_sub_u32_e32 v21, 0x79, v7
	v_cmp_eq_u32_e32 vcc, 0, v7
	v_cndmask_b32_e64 v21, 0, v21, s[40:41]
	v_or_b32_e32 v24, 0x800000, v2
	v_cndmask_b32_e32 v21, v21, v1, vcc
	v_cndmask_b32_e32 v2, v24, v2, vcc
	v_add_u32_e32 v24, 20, v21
	v_lshlrev_b64 v[24:25], v24, -1
	v_add_u32_e32 v26, 19, v21
	v_lshlrev_b64 v[26:27], v26, 1
	v_lshrrev_b64 v[57:58], v21, v[2:3]
	v_bfi_b32 v25, v25, 0, 0
	v_bfi_b32 v24, v24, 0, v2
	v_cmp_eq_u64_e64 s[40:41], v[24:25], v[26:27]
	v_mov_b32_e32 v59, v58
	v_mov_b32_e32 v58, v57
	s_and_saveexec_b64 s[50:51], s[40:41]
; %bb.2284:                             ;   in Loop: Header=BB2_2212 Depth=3
	v_bfe_u32 v2, v57, 20, 1
	v_add_co_u32_e64 v2, s[40:41], v57, v2
	v_add_co_u32_e64 v58, s[40:41], -1, v2
; %bb.2285:                             ;   in Loop: Header=BB2_2212 Depth=3
	s_or_b64 exec, exec, s[50:51]
	v_add_u32_e32 v2, 0xffffff81, v7
	v_cndmask_b32_e32 v2, v2, v0, vcc
	v_lshrrev_b32_e32 v7, 23, v57
	v_add3_u32 v24, v21, v2, v7
	v_add_u32_e32 v21, 6, v24
	v_and_b32_e32 v2, 0xfffff, v58
	v_add_u32_e32 v2, v2, v57
	v_cmp_ne_u32_e32 vcc, 0, v21
                                        ; implicit-def: $vgpr57_vgpr58
                                        ; implicit-def: $vgpr7
	s_and_saveexec_b64 s[40:41], vcc
	s_xor_b64 s[40:41], exec, s[40:41]
; %bb.2286:                             ;   in Loop: Header=BB2_2212 Depth=3
	v_cmp_lt_u64_e32 vcc, s[88:89], v[2:3]
	v_add_u32_e32 v7, 7, v24
	v_cndmask_b32_e32 v7, v21, v7, vcc
	v_cndmask_b32_e64 v21, 0, 1, vcc
	v_lshrrev_b64 v[57:58], v21, v[2:3]
; %bb.2287:                             ;   in Loop: Header=BB2_2212 Depth=3
	s_andn2_saveexec_b64 s[40:41], s[40:41]
; %bb.2288:                             ;   in Loop: Header=BB2_2212 Depth=3
	v_mov_b32_e32 v58, v3
	v_bfe_u32 v7, v2, 23, 1
	v_mov_b32_e32 v57, v2
; %bb.2289:                             ;   in Loop: Header=BB2_2212 Depth=3
	s_or_b64 exec, exec, s[40:41]
	v_lshrrev_b64 v[24:25], 20, v[57:58]
	v_cmp_gt_i32_e32 vcc, 16, v7
	v_cndmask_b32_e32 v25, 0, v25, vcc
	v_cndmask_b32_e32 v24, 7, v24, vcc
	v_min_i32_e32 v2, 15, v7
	v_cmp_eq_u64_e64 s[40:41], 0, v[24:25]
	v_lshlrev_b32_e32 v2, 3, v2
	v_cmp_eq_u32_e32 vcc, 0, v7
	v_and_b32_e32 v2, 0xf8, v2
	v_and_or_b32 v2, v24, 7, v2
	s_and_b64 s[40:41], vcc, s[40:41]
	v_cndmask_b32_e64 v2, v2, 0, s[40:41]
	v_or_b32_e32 v7, v2, v16
.LBB2_2290:                             ;   in Loop: Header=BB2_2212 Depth=3
	s_or_b64 exec, exec, s[48:49]
                                        ; implicit-def: $vgpr16
.LBB2_2291:                             ;   in Loop: Header=BB2_2212 Depth=3
	s_andn2_saveexec_b64 s[40:41], s[38:39]
; %bb.2292:                             ;   in Loop: Header=BB2_2212 Depth=3
	v_or_b32_e32 v7, 0x7e, v16
; %bb.2293:                             ;   in Loop: Header=BB2_2212 Depth=3
	s_or_b64 exec, exec, s[40:41]
                                        ; implicit-def: $vgpr21
.LBB2_2294:                             ;   in Loop: Header=BB2_2212 Depth=3
	s_andn2_saveexec_b64 s[40:41], s[42:43]
; %bb.2295:                             ;   in Loop: Header=BB2_2212 Depth=3
	v_or_b32_sdwa v7, v21, s71 dst_sel:DWORD dst_unused:UNUSED_PAD src0_sel:BYTE_3 src1_sel:DWORD
; %bb.2296:                             ;   in Loop: Header=BB2_2212 Depth=3
	s_or_b64 exec, exec, s[40:41]
	v_cmp_lt_u32_e32 vcc, s57, v12
	v_mov_b32_e32 v16, 0
	s_and_saveexec_b64 s[40:41], vcc
	s_cbranch_execz .LBB2_2302
; %bb.2297:                             ;   in Loop: Header=BB2_2212 Depth=3
	v_lshrrev_b32_e32 v2, 24, v12
	v_cmp_ne_u32_e32 vcc, s70, v2
	v_bfrev_b32_e32 v16, 1
	s_and_saveexec_b64 s[42:43], vcc
	s_cbranch_execz .LBB2_2301
; %bb.2298:                             ;   in Loop: Header=BB2_2212 Depth=3
	v_bfe_u32 v21, v12, 24, 7
	v_cmp_ne_u32_e32 vcc, s71, v21
	v_mov_b32_e32 v16, 0x7f800001
	s_and_saveexec_b64 s[38:39], vcc
	s_cbranch_execz .LBB2_2300
; %bb.2299:                             ;   in Loop: Header=BB2_2212 Depth=3
	v_and_b32_e32 v16, 7, v2
	v_lshrrev_b32_e32 v26, 3, v21
	v_cmp_gt_u32_e32 vcc, 8, v21
	v_ffbh_u32_e32 v21, v16
	v_min_u32_e32 v21, 32, v21
	v_subrev_u32_e32 v24, 28, v21
	v_lshlrev_b64 v[24:25], v24, v[2:3]
	v_sub_u32_e32 v21, 29, v21
	v_and_b32_e32 v24, 7, v24
	v_cndmask_b32_e32 v21, v26, v21, vcc
	v_cndmask_b32_e32 v16, v16, v24, vcc
	v_lshlrev_b32_e32 v2, 24, v2
	v_lshlrev_b32_e32 v16, 20, v16
	v_and_b32_e32 v2, 0x80000000, v2
	v_lshl_add_u32 v21, v21, 23, v49
	v_or3_b32 v16, v2, v21, v16
.LBB2_2300:                             ;   in Loop: Header=BB2_2212 Depth=3
	s_or_b64 exec, exec, s[38:39]
.LBB2_2301:                             ;   in Loop: Header=BB2_2212 Depth=3
	s_or_b64 exec, exec, s[42:43]
.LBB2_2302:                             ;   in Loop: Header=BB2_2212 Depth=3
	s_or_b64 exec, exec, s[40:41]
	v_bfe_u32 v21, v8, 24, 3
	v_ffbh_u32_e32 v24, v21
	v_min_u32_e32 v30, 32, v24
	v_lshrrev_b32_e32 v2, 24, v8
	v_subrev_u32_e32 v24, 28, v30
	v_lshlrev_b64 v[24:25], v24, v[2:3]
	v_bfe_u32 v26, v8, 24, 7
	v_bfe_u32 v27, v2, 3, 4
	v_sub_u32_e32 v25, 29, v30
	v_and_b32_e32 v24, 7, v24
	v_cmp_gt_u32_e32 vcc, 8, v26
	v_cndmask_b32_e32 v25, v27, v25, vcc
	v_cndmask_b32_e32 v21, v21, v24, vcc
	v_lshlrev_b32_e32 v21, 20, v21
	v_and_b32_e32 v24, 0x80000000, v8
	v_lshl_add_u32 v25, v25, 23, v49
	v_or3_b32 v21, v24, v25, v21
	v_cmp_ne_u32_e32 vcc, s71, v26
	v_cndmask_b32_e32 v21, v5, v21, vcc
	v_cmp_ne_u32_e32 vcc, s70, v2
	v_cndmask_b32_e32 v2, v35, v21, vcc
	v_cmp_lt_u32_e32 vcc, s57, v8
	v_cndmask_b32_e32 v2, 0, v2, vcc
	v_mul_f32_e32 v24, v2, v16
	v_and_b32_e32 v2, 0x7f800000, v24
	v_cmp_ne_u64_e32 vcc, s[62:63], v[2:3]
                                        ; implicit-def: $vgpr21
	s_and_saveexec_b64 s[40:41], vcc
	s_xor_b64 s[42:43], exec, s[40:41]
	s_cbranch_execz .LBB2_2316
; %bb.2303:                             ;   in Loop: Header=BB2_2212 Depth=3
	v_and_b32_e32 v2, 0x7fffffff, v24
	v_cmp_gt_u64_e32 vcc, s[72:73], v[2:3]
	v_and_b32_sdwa v16, v24, s70 dst_sel:DWORD dst_unused:UNUSED_PAD src0_sel:BYTE_3 src1_sel:DWORD
                                        ; implicit-def: $vgpr21
	s_and_saveexec_b64 s[40:41], vcc
	s_xor_b64 s[38:39], exec, s[40:41]
	s_cbranch_execz .LBB2_2313
; %bb.2304:                             ;   in Loop: Header=BB2_2212 Depth=3
	v_mov_b32_e32 v21, 0
	v_cmp_ne_u32_e32 vcc, 0, v24
	s_and_saveexec_b64 s[48:49], vcc
	s_cbranch_execz .LBB2_2312
; %bb.2305:                             ;   in Loop: Header=BB2_2212 Depth=3
	v_bfe_u32 v21, v24, 23, 8
	v_and_b32_e32 v2, 0x7fffff, v24
	v_cmp_gt_u32_e64 s[40:41], s80, v21
	v_sub_u32_e32 v24, 0x79, v21
	v_cmp_eq_u32_e32 vcc, 0, v21
	v_cndmask_b32_e64 v24, 0, v24, s[40:41]
	v_or_b32_e32 v25, 0x800000, v2
	v_cndmask_b32_e32 v24, v24, v1, vcc
	v_cndmask_b32_e32 v2, v25, v2, vcc
	v_add_u32_e32 v25, 20, v24
	v_lshlrev_b64 v[25:26], v25, -1
	v_add_u32_e32 v27, 19, v24
	v_lshlrev_b64 v[44:45], v27, 1
	v_lshrrev_b64 v[57:58], v24, v[2:3]
	v_bfi_b32 v26, v26, 0, 0
	v_bfi_b32 v25, v25, 0, v2
	v_cmp_eq_u64_e64 s[40:41], v[25:26], v[44:45]
	v_mov_b32_e32 v59, v58
	v_mov_b32_e32 v58, v57
	s_and_saveexec_b64 s[50:51], s[40:41]
; %bb.2306:                             ;   in Loop: Header=BB2_2212 Depth=3
	v_bfe_u32 v2, v57, 20, 1
	v_add_co_u32_e64 v2, s[40:41], v57, v2
	v_add_co_u32_e64 v58, s[40:41], -1, v2
; %bb.2307:                             ;   in Loop: Header=BB2_2212 Depth=3
	s_or_b64 exec, exec, s[50:51]
	v_add_u32_e32 v2, 0xffffff81, v21
	v_cndmask_b32_e32 v2, v2, v0, vcc
	v_lshrrev_b32_e32 v21, 23, v57
	v_add3_u32 v25, v24, v2, v21
	v_add_u32_e32 v24, 6, v25
	v_and_b32_e32 v2, 0xfffff, v58
	v_add_u32_e32 v2, v2, v57
	v_cmp_ne_u32_e32 vcc, 0, v24
                                        ; implicit-def: $vgpr57_vgpr58
                                        ; implicit-def: $vgpr21
	s_and_saveexec_b64 s[40:41], vcc
	s_xor_b64 s[40:41], exec, s[40:41]
; %bb.2308:                             ;   in Loop: Header=BB2_2212 Depth=3
	v_cmp_lt_u64_e32 vcc, s[88:89], v[2:3]
	v_add_u32_e32 v21, 7, v25
	v_cndmask_b32_e32 v21, v24, v21, vcc
	v_cndmask_b32_e64 v24, 0, 1, vcc
	v_lshrrev_b64 v[57:58], v24, v[2:3]
; %bb.2309:                             ;   in Loop: Header=BB2_2212 Depth=3
	s_andn2_saveexec_b64 s[40:41], s[40:41]
; %bb.2310:                             ;   in Loop: Header=BB2_2212 Depth=3
	v_mov_b32_e32 v58, v3
	v_bfe_u32 v21, v2, 23, 1
	v_mov_b32_e32 v57, v2
; %bb.2311:                             ;   in Loop: Header=BB2_2212 Depth=3
	s_or_b64 exec, exec, s[40:41]
	v_lshrrev_b64 v[24:25], 20, v[57:58]
	v_cmp_gt_i32_e32 vcc, 16, v21
	v_cndmask_b32_e32 v25, 0, v25, vcc
	v_cndmask_b32_e32 v24, 7, v24, vcc
	v_min_i32_e32 v2, 15, v21
	v_cmp_eq_u64_e64 s[40:41], 0, v[24:25]
	v_lshlrev_b32_e32 v2, 3, v2
	v_cmp_eq_u32_e32 vcc, 0, v21
	v_and_b32_e32 v2, 0xf8, v2
	v_and_or_b32 v2, v24, 7, v2
	s_and_b64 s[40:41], vcc, s[40:41]
	v_cndmask_b32_e64 v2, v2, 0, s[40:41]
	v_or_b32_e32 v21, v2, v16
.LBB2_2312:                             ;   in Loop: Header=BB2_2212 Depth=3
	s_or_b64 exec, exec, s[48:49]
                                        ; implicit-def: $vgpr16
.LBB2_2313:                             ;   in Loop: Header=BB2_2212 Depth=3
	s_andn2_saveexec_b64 s[40:41], s[38:39]
; %bb.2314:                             ;   in Loop: Header=BB2_2212 Depth=3
	v_or_b32_e32 v21, 0x7e, v16
; %bb.2315:                             ;   in Loop: Header=BB2_2212 Depth=3
	s_or_b64 exec, exec, s[40:41]
                                        ; implicit-def: $vgpr24
.LBB2_2316:                             ;   in Loop: Header=BB2_2212 Depth=3
	s_andn2_saveexec_b64 s[40:41], s[42:43]
; %bb.2317:                             ;   in Loop: Header=BB2_2212 Depth=3
	v_or_b32_sdwa v21, v24, s71 dst_sel:DWORD dst_unused:UNUSED_PAD src0_sel:BYTE_3 src1_sel:DWORD
; %bb.2318:                             ;   in Loop: Header=BB2_2212 Depth=3
	s_or_b64 exec, exec, s[40:41]
	v_mov_b32_e32 v2, v13
	v_cmp_ne_u16_sdwa s[42:43], v13, v3 src0_sel:BYTE_0 src1_sel:DWORD
	v_mov_b32_e32 v16, 0
	s_and_saveexec_b64 s[40:41], s[42:43]
	s_cbranch_execz .LBB2_2324
; %bb.2319:                             ;   in Loop: Header=BB2_2212 Depth=3
	v_cmp_ne_u16_sdwa s[44:45], v13, s70 src0_sel:BYTE_0 src1_sel:DWORD
	v_bfrev_b32_e32 v16, 1
	s_and_saveexec_b64 s[42:43], s[44:45]
	s_cbranch_execz .LBB2_2323
; %bb.2320:                             ;   in Loop: Header=BB2_2212 Depth=3
	v_and_b32_e32 v24, 0x7f, v13
	v_cmp_ne_u32_e32 vcc, s71, v24
	v_mov_b32_e32 v16, 0x7f800001
	s_and_saveexec_b64 s[38:39], vcc
	s_cbranch_execz .LBB2_2322
; %bb.2321:                             ;   in Loop: Header=BB2_2212 Depth=3
	v_and_b32_e32 v16, 7, v13
	v_ffbh_u32_e32 v16, v16
	v_min_u32_e32 v16, 32, v16
	v_lshrrev_b32_e32 v25, 3, v24
	v_cmp_gt_u32_e32 vcc, 8, v24
	v_subrev_u32_e32 v24, 28, v16
	v_sub_u32_e32 v16, 29, v16
	v_cndmask_b32_e32 v24, 0, v24, vcc
	v_cndmask_b32_e32 v16, v25, v16, vcc
	v_lshlrev_b64 v[24:25], v24, v[2:3]
	v_lshlrev_b32_e32 v25, 24, v2
	v_lshlrev_b32_e32 v24, 20, v24
	v_and_b32_e32 v24, 0x700000, v24
	v_and_b32_e32 v25, 0x80000000, v25
	v_lshl_add_u32 v16, v16, 23, v49
	v_or3_b32 v16, v25, v16, v24
.LBB2_2322:                             ;   in Loop: Header=BB2_2212 Depth=3
	s_or_b64 exec, exec, s[38:39]
.LBB2_2323:                             ;   in Loop: Header=BB2_2212 Depth=3
	s_or_b64 exec, exec, s[42:43]
.LBB2_2324:                             ;   in Loop: Header=BB2_2212 Depth=3
	s_or_b64 exec, exec, s[40:41]
	v_cmp_gt_i16_sdwa s[42:43], v9, s71 src0_sel:BYTE_0 src1_sel:DWORD
	s_mov_b64 s[40:41], 0
	s_and_saveexec_b64 s[44:45], s[42:43]
	s_xor_b64 s[42:43], exec, s[44:45]
	s_cbranch_execz .LBB2_2328
; %bb.2325:                             ;   in Loop: Header=BB2_2212 Depth=3
	v_cmp_eq_u16_sdwa s[44:45], v9, s70 src0_sel:BYTE_0 src1_sel:DWORD
	s_mov_b64 s[40:41], -1
	s_and_saveexec_b64 vcc, s[44:45]
; %bb.2326:                             ;   in Loop: Header=BB2_2212 Depth=3
	s_xor_b64 s[40:41], exec, -1
; %bb.2327:                             ;   in Loop: Header=BB2_2212 Depth=3
	s_or_b64 exec, exec, vcc
	s_and_b64 s[40:41], s[40:41], exec
.LBB2_2328:                             ;   in Loop: Header=BB2_2212 Depth=3
	s_or_saveexec_b64 s[42:43], s[42:43]
	v_bfrev_b32_e32 v24, 1
	s_xor_b64 exec, exec, s[42:43]
; %bb.2329:                             ;   in Loop: Header=BB2_2212 Depth=3
	v_cmp_ne_u16_sdwa s[44:45], v9, v3 src0_sel:BYTE_0 src1_sel:DWORD
	s_andn2_b64 s[40:41], s[40:41], exec
	s_and_b64 s[44:45], s[44:45], exec
	v_mov_b32_e32 v24, 0
	s_or_b64 s[40:41], s[40:41], s[44:45]
; %bb.2330:                             ;   in Loop: Header=BB2_2212 Depth=3
	s_or_b64 exec, exec, s[42:43]
	v_mov_b32_e32 v57, v9
	v_mov_b32_e32 v58, v3
	s_and_saveexec_b64 s[42:43], s[40:41]
	s_cbranch_execz .LBB2_2332
; %bb.2331:                             ;   in Loop: Header=BB2_2212 Depth=3
	v_and_b32_e32 v24, 7, v9
	v_ffbh_u32_e32 v24, v24
	v_and_b32_e32 v26, 0x7f, v9
	v_min_u32_e32 v24, 32, v24
	v_bfe_u32 v25, v9, 3, 4
	v_subrev_u32_e32 v27, 28, v24
	v_sub_u32_e32 v24, 29, v24
	v_cmp_gt_u32_e32 vcc, 8, v26
	v_cndmask_b32_e32 v30, v25, v24, vcc
	v_cndmask_b32_e32 v24, 0, v27, vcc
	v_lshlrev_b64 v[24:25], v24, v[57:58]
	v_lshlrev_b32_e32 v25, 24, v57
	v_lshlrev_b32_e32 v24, 20, v24
	v_and_b32_e32 v24, 0x700000, v24
	v_and_b32_e32 v25, 0x80000000, v25
	v_lshl_add_u32 v27, v30, 23, v49
	v_or3_b32 v24, v25, v27, v24
	v_cmp_ne_u32_e32 vcc, s71, v26
	v_cndmask_b32_e32 v24, v5, v24, vcc
.LBB2_2332:                             ;   in Loop: Header=BB2_2212 Depth=3
	s_or_b64 exec, exec, s[42:43]
	v_mul_f32_e32 v24, v16, v24
	v_and_b32_e32 v25, 0x7f800000, v24
	v_mov_b32_e32 v26, v3
	v_cmp_ne_u64_e32 vcc, s[62:63], v[25:26]
                                        ; implicit-def: $vgpr26
	s_and_saveexec_b64 s[40:41], vcc
	s_xor_b64 s[42:43], exec, s[40:41]
	s_cbranch_execz .LBB2_2346
; %bb.2333:                             ;   in Loop: Header=BB2_2212 Depth=3
	v_and_b32_e32 v25, 0x7fffffff, v24
	v_mov_b32_e32 v26, v3
	v_cmp_gt_u64_e32 vcc, s[72:73], v[25:26]
	v_and_b32_sdwa v16, v24, s70 dst_sel:DWORD dst_unused:UNUSED_PAD src0_sel:BYTE_3 src1_sel:DWORD
                                        ; implicit-def: $vgpr26
	s_and_saveexec_b64 s[40:41], vcc
	s_xor_b64 s[38:39], exec, s[40:41]
	s_cbranch_execz .LBB2_2343
; %bb.2334:                             ;   in Loop: Header=BB2_2212 Depth=3
	v_mov_b32_e32 v26, 0
	v_cmp_ne_u32_e32 vcc, 0, v24
	s_and_saveexec_b64 s[48:49], vcc
	s_cbranch_execz .LBB2_2342
; %bb.2335:                             ;   in Loop: Header=BB2_2212 Depth=3
	v_and_b32_e32 v26, 0x7fffff, v24
	v_bfe_u32 v24, v24, 23, 8
	v_cmp_gt_u32_e64 s[40:41], s80, v24
	v_sub_u32_e32 v25, 0x79, v24
	v_cmp_eq_u32_e32 vcc, 0, v24
	v_cndmask_b32_e64 v25, 0, v25, s[40:41]
	v_cndmask_b32_e32 v25, v25, v1, vcc
	v_add_u32_e32 v30, 20, v25
	v_or_b32_e32 v27, 0x800000, v26
	v_lshlrev_b64 v[44:45], v30, -1
	v_add_u32_e32 v30, 19, v25
	v_cndmask_b32_e32 v26, v27, v26, vcc
	v_lshlrev_b64 v[58:59], v30, 1
	v_mov_b32_e32 v27, v3
	v_bfi_b32 v45, v45, 0, 0
	v_bfi_b32 v44, v44, 0, v26
	v_cmp_eq_u64_e64 s[40:41], v[44:45], v[58:59]
	v_lshrrev_b64 v[58:59], v25, v[26:27]
	v_mov_b32_e32 v60, v59
	v_mov_b32_e32 v59, v58
	s_and_saveexec_b64 s[50:51], s[40:41]
; %bb.2336:                             ;   in Loop: Header=BB2_2212 Depth=3
	v_bfe_u32 v26, v58, 20, 1
	v_add_co_u32_e64 v26, s[40:41], v58, v26
	v_add_co_u32_e64 v59, s[40:41], -1, v26
; %bb.2337:                             ;   in Loop: Header=BB2_2212 Depth=3
	s_or_b64 exec, exec, s[50:51]
	v_add_u32_e32 v24, 0xffffff81, v24
	v_cndmask_b32_e32 v24, v24, v0, vcc
	v_lshrrev_b32_e32 v26, 23, v58
	v_add3_u32 v26, v25, v24, v26
	v_add_u32_e32 v25, 6, v26
	v_and_b32_e32 v24, 0xfffff, v59
	v_add_u32_e32 v58, v24, v58
	v_mov_b32_e32 v59, v3
	v_cmp_ne_u32_e32 vcc, 0, v25
                                        ; implicit-def: $vgpr24
	s_and_saveexec_b64 s[40:41], vcc
	s_xor_b64 s[40:41], exec, s[40:41]
; %bb.2338:                             ;   in Loop: Header=BB2_2212 Depth=3
	v_cmp_lt_u64_e32 vcc, s[88:89], v[58:59]
	v_add_u32_e32 v24, 7, v26
	v_cndmask_b32_e32 v24, v25, v24, vcc
	v_cndmask_b32_e64 v25, 0, 1, vcc
	v_lshrrev_b64 v[58:59], v25, v[58:59]
; %bb.2339:                             ;   in Loop: Header=BB2_2212 Depth=3
	s_andn2_saveexec_b64 s[40:41], s[40:41]
; %bb.2340:                             ;   in Loop: Header=BB2_2212 Depth=3
	v_bfe_u32 v24, v58, 23, 1
; %bb.2341:                             ;   in Loop: Header=BB2_2212 Depth=3
	s_or_b64 exec, exec, s[40:41]
	v_lshrrev_b64 v[25:26], 20, v[58:59]
	v_cmp_gt_i32_e32 vcc, 16, v24
	v_cndmask_b32_e32 v26, 0, v26, vcc
	v_cndmask_b32_e32 v25, 7, v25, vcc
	v_cmp_eq_u32_e32 vcc, 0, v24
	v_min_i32_e32 v24, 15, v24
	v_cmp_eq_u64_e64 s[40:41], 0, v[25:26]
	v_lshlrev_b32_e32 v24, 3, v24
	v_and_b32_e32 v24, 0xf8, v24
	v_and_or_b32 v24, v25, 7, v24
	s_and_b64 s[40:41], vcc, s[40:41]
	v_cndmask_b32_e64 v24, v24, 0, s[40:41]
	v_or_b32_e32 v26, v24, v16
.LBB2_2342:                             ;   in Loop: Header=BB2_2212 Depth=3
	s_or_b64 exec, exec, s[48:49]
                                        ; implicit-def: $vgpr16
.LBB2_2343:                             ;   in Loop: Header=BB2_2212 Depth=3
	s_andn2_saveexec_b64 s[40:41], s[38:39]
; %bb.2344:                             ;   in Loop: Header=BB2_2212 Depth=3
	v_or_b32_e32 v26, 0x7e, v16
; %bb.2345:                             ;   in Loop: Header=BB2_2212 Depth=3
	s_or_b64 exec, exec, s[40:41]
                                        ; implicit-def: $vgpr24
.LBB2_2346:                             ;   in Loop: Header=BB2_2212 Depth=3
	s_andn2_saveexec_b64 s[40:41], s[42:43]
; %bb.2347:                             ;   in Loop: Header=BB2_2212 Depth=3
	v_or_b32_sdwa v26, v24, s71 dst_sel:DWORD dst_unused:UNUSED_PAD src0_sel:BYTE_3 src1_sel:DWORD
; %bb.2348:                             ;   in Loop: Header=BB2_2212 Depth=3
	s_or_b64 exec, exec, s[40:41]
	v_lshrrev_b16_e32 v30, 8, v2
	v_cmp_ne_u16_e32 vcc, 0, v30
	v_mov_b32_e32 v16, 0
	s_and_saveexec_b64 s[40:41], vcc
	s_cbranch_execz .LBB2_2354
; %bb.2349:                             ;   in Loop: Header=BB2_2212 Depth=3
	v_cmp_ne_u16_e32 vcc, s70, v30
	v_bfrev_b32_e32 v16, 1
	s_and_saveexec_b64 s[42:43], vcc
	s_cbranch_execz .LBB2_2353
; %bb.2350:                             ;   in Loop: Header=BB2_2212 Depth=3
	v_and_b32_e32 v24, 0x7f, v30
	v_cmp_ne_u32_e32 vcc, s71, v24
	v_mov_b32_e32 v16, 0x7f800001
	s_and_saveexec_b64 s[38:39], vcc
	s_cbranch_execz .LBB2_2352
; %bb.2351:                             ;   in Loop: Header=BB2_2212 Depth=3
	v_and_b32_e32 v16, 7, v30
	v_lshrrev_b32_e32 v27, 3, v24
	v_cmp_gt_u32_e32 vcc, 8, v24
	v_ffbh_u32_e32 v24, v16
	v_min_u32_e32 v34, 32, v24
	v_subrev_u32_e32 v24, 28, v34
	v_lshlrev_b64 v[24:25], v24, v[30:31]
	v_sub_u32_e32 v25, 29, v34
	v_and_b32_e32 v24, 7, v24
	v_cndmask_b32_e32 v25, v27, v25, vcc
	v_cndmask_b32_e32 v16, v16, v24, vcc
	v_lshlrev_b32_e32 v2, 16, v2
	v_lshlrev_b32_e32 v16, 20, v16
	v_and_b32_e32 v2, 0x80000000, v2
	v_lshl_add_u32 v24, v25, 23, v49
	v_or3_b32 v16, v2, v24, v16
.LBB2_2352:                             ;   in Loop: Header=BB2_2212 Depth=3
	s_or_b64 exec, exec, s[38:39]
.LBB2_2353:                             ;   in Loop: Header=BB2_2212 Depth=3
	s_or_b64 exec, exec, s[42:43]
.LBB2_2354:                             ;   in Loop: Header=BB2_2212 Depth=3
	s_or_b64 exec, exec, s[40:41]
	v_lshrrev_b16_e32 v2, 8, v57
	v_cmp_lt_i16_e32 vcc, s71, v2
	s_mov_b64 s[40:41], 0
	s_and_saveexec_b64 s[42:43], vcc
	s_xor_b64 s[42:43], exec, s[42:43]
	s_cbranch_execz .LBB2_2649
; %bb.2355:                             ;   in Loop: Header=BB2_2212 Depth=3
	v_cmp_eq_u16_e32 vcc, s70, v2
	s_mov_b64 s[40:41], -1
	s_and_saveexec_b64 s[38:39], vcc
; %bb.2356:                             ;   in Loop: Header=BB2_2212 Depth=3
	s_xor_b64 s[40:41], exec, -1
; %bb.2357:                             ;   in Loop: Header=BB2_2212 Depth=3
	s_or_b64 exec, exec, s[38:39]
	s_and_b64 s[40:41], s[40:41], exec
	s_or_saveexec_b64 s[42:43], s[42:43]
	v_bfrev_b32_e32 v24, 1
	s_xor_b64 exec, exec, s[42:43]
	s_cbranch_execnz .LBB2_2650
.LBB2_2358:                             ;   in Loop: Header=BB2_2212 Depth=3
	s_or_b64 exec, exec, s[42:43]
	s_and_saveexec_b64 s[42:43], s[40:41]
	s_cbranch_execz .LBB2_2360
.LBB2_2359:                             ;   in Loop: Header=BB2_2212 Depth=3
	v_and_b32_e32 v27, 7, v2
	v_ffbh_u32_e32 v24, v27
	v_min_u32_e32 v36, 32, v24
	v_subrev_u32_e32 v24, 28, v36
	v_lshlrev_b64 v[24:25], v24, v[2:3]
	v_and_b32_e32 v30, 0x7f, v2
	v_bfe_u32 v34, v2, 3, 4
	v_sub_u32_e32 v25, 29, v36
	v_and_b32_e32 v24, 7, v24
	v_cmp_gt_u32_e32 vcc, 8, v30
	v_cndmask_b32_e32 v25, v34, v25, vcc
	v_cndmask_b32_e32 v24, v27, v24, vcc
	v_lshlrev_b32_e32 v2, 24, v2
	v_lshlrev_b32_e32 v24, 20, v24
	v_and_b32_e32 v2, 0x80000000, v2
	v_lshl_add_u32 v25, v25, 23, v49
	v_or3_b32 v2, v2, v25, v24
	v_cmp_ne_u32_e32 vcc, s71, v30
	v_cndmask_b32_e32 v24, v5, v2, vcc
.LBB2_2360:                             ;   in Loop: Header=BB2_2212 Depth=3
	s_or_b64 exec, exec, s[42:43]
	v_mul_f32_e32 v24, v16, v24
	v_and_b32_e32 v2, 0x7f800000, v24
	v_cmp_ne_u64_e32 vcc, s[62:63], v[2:3]
                                        ; implicit-def: $vgpr27
	s_and_saveexec_b64 s[40:41], vcc
	s_xor_b64 s[42:43], exec, s[40:41]
	s_cbranch_execz .LBB2_2374
; %bb.2361:                             ;   in Loop: Header=BB2_2212 Depth=3
	v_and_b32_e32 v2, 0x7fffffff, v24
	v_cmp_gt_u64_e32 vcc, s[72:73], v[2:3]
	v_and_b32_sdwa v16, v24, s70 dst_sel:DWORD dst_unused:UNUSED_PAD src0_sel:BYTE_3 src1_sel:DWORD
                                        ; implicit-def: $vgpr27
	s_and_saveexec_b64 s[40:41], vcc
	s_xor_b64 s[38:39], exec, s[40:41]
	s_cbranch_execz .LBB2_2371
; %bb.2362:                             ;   in Loop: Header=BB2_2212 Depth=3
	v_mov_b32_e32 v27, 0
	v_cmp_ne_u32_e32 vcc, 0, v24
	s_and_saveexec_b64 s[48:49], vcc
	s_cbranch_execz .LBB2_2370
; %bb.2363:                             ;   in Loop: Header=BB2_2212 Depth=3
	v_and_b32_e32 v2, 0x7fffff, v24
	v_bfe_u32 v24, v24, 23, 8
	v_cmp_gt_u32_e64 s[40:41], s80, v24
	v_sub_u32_e32 v25, 0x79, v24
	v_cmp_eq_u32_e32 vcc, 0, v24
	v_cndmask_b32_e64 v25, 0, v25, s[40:41]
	v_or_b32_e32 v27, 0x800000, v2
	v_cndmask_b32_e32 v25, v25, v1, vcc
	v_cndmask_b32_e32 v2, v27, v2, vcc
	v_add_u32_e32 v27, 20, v25
	v_lshlrev_b64 v[44:45], v27, -1
	v_add_u32_e32 v27, 19, v25
	v_lshlrev_b64 v[57:58], v27, 1
	v_bfi_b32 v45, v45, 0, 0
	v_bfi_b32 v44, v44, 0, v2
	v_cmp_eq_u64_e64 s[40:41], v[44:45], v[57:58]
	v_lshrrev_b64 v[57:58], v25, v[2:3]
	v_mov_b32_e32 v59, v58
	v_mov_b32_e32 v58, v57
	s_and_saveexec_b64 s[50:51], s[40:41]
; %bb.2364:                             ;   in Loop: Header=BB2_2212 Depth=3
	v_bfe_u32 v2, v57, 20, 1
	v_add_co_u32_e64 v2, s[40:41], v57, v2
	v_add_co_u32_e64 v58, s[40:41], -1, v2
; %bb.2365:                             ;   in Loop: Header=BB2_2212 Depth=3
	s_or_b64 exec, exec, s[50:51]
	v_add_u32_e32 v2, 0xffffff81, v24
	v_cndmask_b32_e32 v2, v2, v0, vcc
	v_lshrrev_b32_e32 v24, 23, v57
	v_add3_u32 v27, v25, v2, v24
	v_add_u32_e32 v25, 6, v27
	v_and_b32_e32 v2, 0xfffff, v58
	v_add_u32_e32 v2, v2, v57
	v_cmp_ne_u32_e32 vcc, 0, v25
                                        ; implicit-def: $vgpr57_vgpr58
                                        ; implicit-def: $vgpr24
	s_and_saveexec_b64 s[40:41], vcc
	s_xor_b64 s[40:41], exec, s[40:41]
; %bb.2366:                             ;   in Loop: Header=BB2_2212 Depth=3
	v_cmp_lt_u64_e32 vcc, s[88:89], v[2:3]
	v_add_u32_e32 v24, 7, v27
	v_cndmask_b32_e32 v24, v25, v24, vcc
	v_cndmask_b32_e64 v25, 0, 1, vcc
	v_lshrrev_b64 v[57:58], v25, v[2:3]
; %bb.2367:                             ;   in Loop: Header=BB2_2212 Depth=3
	s_andn2_saveexec_b64 s[40:41], s[40:41]
; %bb.2368:                             ;   in Loop: Header=BB2_2212 Depth=3
	v_mov_b32_e32 v58, v3
	v_bfe_u32 v24, v2, 23, 1
	v_mov_b32_e32 v57, v2
; %bb.2369:                             ;   in Loop: Header=BB2_2212 Depth=3
	s_or_b64 exec, exec, s[40:41]
	v_lshrrev_b64 v[44:45], 20, v[57:58]
	v_cmp_gt_i32_e32 vcc, 16, v24
	v_cndmask_b32_e32 v45, 0, v45, vcc
	v_cndmask_b32_e32 v44, 7, v44, vcc
	v_min_i32_e32 v2, 15, v24
	v_cmp_eq_u64_e64 s[40:41], 0, v[44:45]
	v_lshlrev_b32_e32 v2, 3, v2
	v_cmp_eq_u32_e32 vcc, 0, v24
	v_and_b32_e32 v2, 0xf8, v2
	v_and_or_b32 v2, v44, 7, v2
	s_and_b64 s[40:41], vcc, s[40:41]
	v_cndmask_b32_e64 v2, v2, 0, s[40:41]
	v_or_b32_e32 v27, v2, v16
.LBB2_2370:                             ;   in Loop: Header=BB2_2212 Depth=3
	s_or_b64 exec, exec, s[48:49]
                                        ; implicit-def: $vgpr16
.LBB2_2371:                             ;   in Loop: Header=BB2_2212 Depth=3
	s_andn2_saveexec_b64 s[40:41], s[38:39]
; %bb.2372:                             ;   in Loop: Header=BB2_2212 Depth=3
	v_or_b32_e32 v27, 0x7e, v16
; %bb.2373:                             ;   in Loop: Header=BB2_2212 Depth=3
	s_or_b64 exec, exec, s[40:41]
                                        ; implicit-def: $vgpr24
.LBB2_2374:                             ;   in Loop: Header=BB2_2212 Depth=3
	s_andn2_saveexec_b64 s[40:41], s[42:43]
; %bb.2375:                             ;   in Loop: Header=BB2_2212 Depth=3
	v_or_b32_sdwa v27, v24, s71 dst_sel:DWORD dst_unused:UNUSED_PAD src0_sel:BYTE_3 src1_sel:DWORD
; %bb.2376:                             ;   in Loop: Header=BB2_2212 Depth=3
	s_or_b64 exec, exec, s[40:41]
	v_lshrrev_b32_e32 v2, 16, v13
	v_cmp_ne_u16_sdwa s[42:43], v2, v3 src0_sel:BYTE_0 src1_sel:DWORD
	v_mov_b32_e32 v16, 0
	s_and_saveexec_b64 s[40:41], s[42:43]
	s_cbranch_execz .LBB2_2382
; %bb.2377:                             ;   in Loop: Header=BB2_2212 Depth=3
	v_cmp_ne_u16_sdwa s[44:45], v2, s70 src0_sel:BYTE_0 src1_sel:DWORD
	v_bfrev_b32_e32 v16, 1
	s_and_saveexec_b64 s[42:43], s[44:45]
	s_cbranch_execz .LBB2_2381
; %bb.2378:                             ;   in Loop: Header=BB2_2212 Depth=3
	v_bfe_u32 v24, v13, 16, 7
	v_cmp_ne_u32_e32 vcc, s71, v24
	v_mov_b32_e32 v16, 0x7f800001
	s_and_saveexec_b64 s[38:39], vcc
	s_cbranch_execz .LBB2_2380
; %bb.2379:                             ;   in Loop: Header=BB2_2212 Depth=3
	v_and_b32_e32 v16, 7, v2
	v_lshrrev_b32_e32 v30, 3, v24
	v_cmp_gt_u32_e32 vcc, 8, v24
	v_ffbh_u32_e32 v24, v16
	v_min_u32_e32 v34, 32, v24
	v_subrev_u32_e32 v24, 28, v34
	v_lshlrev_b64 v[24:25], v24, v[2:3]
	v_sub_u32_e32 v25, 29, v34
	v_and_b32_e32 v24, 7, v24
	v_cndmask_b32_e32 v25, v30, v25, vcc
	v_cndmask_b32_e32 v16, v16, v24, vcc
	v_lshlrev_b32_e32 v2, 24, v2
	v_lshlrev_b32_e32 v16, 20, v16
	v_and_b32_e32 v2, 0x80000000, v2
	v_lshl_add_u32 v24, v25, 23, v49
	v_or3_b32 v16, v2, v24, v16
.LBB2_2380:                             ;   in Loop: Header=BB2_2212 Depth=3
	s_or_b64 exec, exec, s[38:39]
.LBB2_2381:                             ;   in Loop: Header=BB2_2212 Depth=3
	s_or_b64 exec, exec, s[42:43]
.LBB2_2382:                             ;   in Loop: Header=BB2_2212 Depth=3
	s_or_b64 exec, exec, s[40:41]
	v_lshrrev_b32_e32 v2, 16, v9
	v_cmp_gt_i16_sdwa s[42:43], v2, s71 src0_sel:BYTE_0 src1_sel:DWORD
	s_mov_b64 s[40:41], 0
	s_and_saveexec_b64 s[44:45], s[42:43]
	s_xor_b64 s[42:43], exec, s[44:45]
	s_cbranch_execz .LBB2_2651
; %bb.2383:                             ;   in Loop: Header=BB2_2212 Depth=3
	v_cmp_eq_u16_sdwa s[44:45], v2, s70 src0_sel:BYTE_0 src1_sel:DWORD
	s_mov_b64 s[40:41], -1
	s_and_saveexec_b64 vcc, s[44:45]
; %bb.2384:                             ;   in Loop: Header=BB2_2212 Depth=3
	s_xor_b64 s[40:41], exec, -1
; %bb.2385:                             ;   in Loop: Header=BB2_2212 Depth=3
	s_or_b64 exec, exec, vcc
	s_and_b64 s[40:41], s[40:41], exec
	s_or_saveexec_b64 s[42:43], s[42:43]
	v_bfrev_b32_e32 v24, 1
	s_xor_b64 exec, exec, s[42:43]
	s_cbranch_execnz .LBB2_2652
.LBB2_2386:                             ;   in Loop: Header=BB2_2212 Depth=3
	s_or_b64 exec, exec, s[42:43]
	s_and_saveexec_b64 s[42:43], s[40:41]
	s_cbranch_execz .LBB2_2388
.LBB2_2387:                             ;   in Loop: Header=BB2_2212 Depth=3
	v_and_b32_e32 v30, 7, v2
	v_ffbh_u32_e32 v24, v30
	v_min_u32_e32 v48, 32, v24
	v_subrev_u32_e32 v24, 28, v48
	v_lshlrev_b64 v[24:25], v24, v[2:3]
	v_and_b32_e32 v34, 0x7f, v2
	v_bfe_u32 v36, v2, 3, 4
	v_sub_u32_e32 v25, 29, v48
	v_and_b32_e32 v24, 7, v24
	v_cmp_gt_u32_e32 vcc, 8, v34
	v_cndmask_b32_e32 v25, v36, v25, vcc
	v_cndmask_b32_e32 v24, v30, v24, vcc
	v_lshlrev_b32_e32 v2, 24, v2
	v_lshlrev_b32_e32 v24, 20, v24
	v_and_b32_e32 v2, 0x80000000, v2
	v_lshl_add_u32 v25, v25, 23, v49
	v_or3_b32 v2, v2, v25, v24
	v_cmp_ne_u32_e32 vcc, s71, v34
	v_cndmask_b32_e32 v24, v5, v2, vcc
.LBB2_2388:                             ;   in Loop: Header=BB2_2212 Depth=3
	s_or_b64 exec, exec, s[42:43]
	v_mul_f32_e32 v24, v16, v24
	v_and_b32_e32 v2, 0x7f800000, v24
	v_cmp_ne_u64_e32 vcc, s[62:63], v[2:3]
                                        ; implicit-def: $vgpr30
	s_and_saveexec_b64 s[40:41], vcc
	s_xor_b64 s[42:43], exec, s[40:41]
	s_cbranch_execz .LBB2_2402
; %bb.2389:                             ;   in Loop: Header=BB2_2212 Depth=3
	v_and_b32_e32 v2, 0x7fffffff, v24
	v_cmp_gt_u64_e32 vcc, s[72:73], v[2:3]
	v_and_b32_sdwa v16, v24, s70 dst_sel:DWORD dst_unused:UNUSED_PAD src0_sel:BYTE_3 src1_sel:DWORD
                                        ; implicit-def: $vgpr30
	s_and_saveexec_b64 s[40:41], vcc
	s_xor_b64 s[38:39], exec, s[40:41]
	s_cbranch_execz .LBB2_2399
; %bb.2390:                             ;   in Loop: Header=BB2_2212 Depth=3
	v_mov_b32_e32 v30, 0
	v_cmp_ne_u32_e32 vcc, 0, v24
	s_and_saveexec_b64 s[48:49], vcc
	s_cbranch_execz .LBB2_2398
; %bb.2391:                             ;   in Loop: Header=BB2_2212 Depth=3
	v_and_b32_e32 v2, 0x7fffff, v24
	v_bfe_u32 v24, v24, 23, 8
	v_cmp_gt_u32_e64 s[40:41], s80, v24
	v_sub_u32_e32 v25, 0x79, v24
	v_cmp_eq_u32_e32 vcc, 0, v24
	v_cndmask_b32_e64 v25, 0, v25, s[40:41]
	v_or_b32_e32 v30, 0x800000, v2
	v_cndmask_b32_e32 v25, v25, v1, vcc
	v_cndmask_b32_e32 v2, v30, v2, vcc
	v_add_u32_e32 v30, 20, v25
	v_lshlrev_b64 v[44:45], v30, -1
	v_add_u32_e32 v30, 19, v25
	v_lshlrev_b64 v[57:58], v30, 1
	v_bfi_b32 v45, v45, 0, 0
	v_bfi_b32 v44, v44, 0, v2
	v_cmp_eq_u64_e64 s[40:41], v[44:45], v[57:58]
	v_lshrrev_b64 v[57:58], v25, v[2:3]
	v_mov_b32_e32 v59, v58
	v_mov_b32_e32 v58, v57
	s_and_saveexec_b64 s[50:51], s[40:41]
; %bb.2392:                             ;   in Loop: Header=BB2_2212 Depth=3
	v_bfe_u32 v2, v57, 20, 1
	v_add_co_u32_e64 v2, s[40:41], v57, v2
	v_add_co_u32_e64 v58, s[40:41], -1, v2
; %bb.2393:                             ;   in Loop: Header=BB2_2212 Depth=3
	s_or_b64 exec, exec, s[50:51]
	v_add_u32_e32 v2, 0xffffff81, v24
	v_cndmask_b32_e32 v2, v2, v0, vcc
	v_lshrrev_b32_e32 v24, 23, v57
	v_add3_u32 v30, v25, v2, v24
	v_add_u32_e32 v25, 6, v30
	v_and_b32_e32 v2, 0xfffff, v58
	v_add_u32_e32 v2, v2, v57
	v_cmp_ne_u32_e32 vcc, 0, v25
                                        ; implicit-def: $vgpr57_vgpr58
                                        ; implicit-def: $vgpr24
	s_and_saveexec_b64 s[40:41], vcc
	s_xor_b64 s[40:41], exec, s[40:41]
; %bb.2394:                             ;   in Loop: Header=BB2_2212 Depth=3
	v_cmp_lt_u64_e32 vcc, s[88:89], v[2:3]
	v_add_u32_e32 v24, 7, v30
	v_cndmask_b32_e32 v24, v25, v24, vcc
	v_cndmask_b32_e64 v25, 0, 1, vcc
	v_lshrrev_b64 v[57:58], v25, v[2:3]
; %bb.2395:                             ;   in Loop: Header=BB2_2212 Depth=3
	s_andn2_saveexec_b64 s[40:41], s[40:41]
; %bb.2396:                             ;   in Loop: Header=BB2_2212 Depth=3
	v_mov_b32_e32 v58, v3
	v_bfe_u32 v24, v2, 23, 1
	v_mov_b32_e32 v57, v2
; %bb.2397:                             ;   in Loop: Header=BB2_2212 Depth=3
	s_or_b64 exec, exec, s[40:41]
	v_lshrrev_b64 v[44:45], 20, v[57:58]
	v_cmp_gt_i32_e32 vcc, 16, v24
	v_cndmask_b32_e32 v45, 0, v45, vcc
	v_cndmask_b32_e32 v44, 7, v44, vcc
	v_min_i32_e32 v2, 15, v24
	v_cmp_eq_u64_e64 s[40:41], 0, v[44:45]
	v_lshlrev_b32_e32 v2, 3, v2
	v_cmp_eq_u32_e32 vcc, 0, v24
	v_and_b32_e32 v2, 0xf8, v2
	v_and_or_b32 v2, v44, 7, v2
	s_and_b64 s[40:41], vcc, s[40:41]
	v_cndmask_b32_e64 v2, v2, 0, s[40:41]
	v_or_b32_e32 v30, v2, v16
.LBB2_2398:                             ;   in Loop: Header=BB2_2212 Depth=3
	s_or_b64 exec, exec, s[48:49]
                                        ; implicit-def: $vgpr16
.LBB2_2399:                             ;   in Loop: Header=BB2_2212 Depth=3
	s_andn2_saveexec_b64 s[40:41], s[38:39]
; %bb.2400:                             ;   in Loop: Header=BB2_2212 Depth=3
	v_or_b32_e32 v30, 0x7e, v16
; %bb.2401:                             ;   in Loop: Header=BB2_2212 Depth=3
	s_or_b64 exec, exec, s[40:41]
                                        ; implicit-def: $vgpr24
.LBB2_2402:                             ;   in Loop: Header=BB2_2212 Depth=3
	s_andn2_saveexec_b64 s[40:41], s[42:43]
; %bb.2403:                             ;   in Loop: Header=BB2_2212 Depth=3
	v_or_b32_sdwa v30, v24, s71 dst_sel:DWORD dst_unused:UNUSED_PAD src0_sel:BYTE_3 src1_sel:DWORD
; %bb.2404:                             ;   in Loop: Header=BB2_2212 Depth=3
	s_or_b64 exec, exec, s[40:41]
	v_cmp_lt_u64_e32 vcc, s[56:57], v[12:13]
	v_mov_b32_e32 v12, 0
	s_and_saveexec_b64 s[40:41], vcc
	s_cbranch_execz .LBB2_2410
; %bb.2405:                             ;   in Loop: Header=BB2_2212 Depth=3
	v_lshrrev_b32_e32 v2, 24, v13
	v_cmp_ne_u32_e32 vcc, s70, v2
	v_bfrev_b32_e32 v12, 1
	s_and_saveexec_b64 s[42:43], vcc
	s_cbranch_execz .LBB2_2409
; %bb.2406:                             ;   in Loop: Header=BB2_2212 Depth=3
	v_bfe_u32 v13, v13, 24, 7
	v_cmp_ne_u32_e32 vcc, s71, v13
	v_mov_b32_e32 v12, 0x7f800001
	s_and_saveexec_b64 s[38:39], vcc
	s_cbranch_execz .LBB2_2408
; %bb.2407:                             ;   in Loop: Header=BB2_2212 Depth=3
	v_and_b32_e32 v16, 7, v2
	v_ffbh_u32_e32 v12, v16
	v_min_u32_e32 v25, 32, v12
	v_subrev_u32_e32 v12, 28, v25
	v_lshrrev_b32_e32 v24, 3, v13
	v_cmp_gt_u32_e32 vcc, 8, v13
	v_lshlrev_b64 v[12:13], v12, v[2:3]
	v_sub_u32_e32 v13, 29, v25
	v_and_b32_e32 v12, 7, v12
	v_cndmask_b32_e32 v13, v24, v13, vcc
	v_cndmask_b32_e32 v12, v16, v12, vcc
	v_lshlrev_b32_e32 v2, 24, v2
	v_lshlrev_b32_e32 v12, 20, v12
	v_and_b32_e32 v2, 0x80000000, v2
	v_lshl_add_u32 v13, v13, 23, v49
	v_or3_b32 v12, v2, v13, v12
.LBB2_2408:                             ;   in Loop: Header=BB2_2212 Depth=3
	s_or_b64 exec, exec, s[38:39]
.LBB2_2409:                             ;   in Loop: Header=BB2_2212 Depth=3
	s_or_b64 exec, exec, s[42:43]
.LBB2_2410:                             ;   in Loop: Header=BB2_2212 Depth=3
	s_or_b64 exec, exec, s[40:41]
	v_bfe_u32 v13, v9, 24, 3
	v_ffbh_u32_e32 v24, v13
	v_min_u32_e32 v36, 32, v24
	v_lshrrev_b32_e32 v2, 24, v9
	v_subrev_u32_e32 v24, 28, v36
	v_lshlrev_b64 v[24:25], v24, v[2:3]
	v_bfe_u32 v16, v9, 24, 7
	v_bfe_u32 v34, v2, 3, 4
	v_sub_u32_e32 v25, 29, v36
	v_and_b32_e32 v24, 7, v24
	v_cmp_gt_u32_e32 vcc, 8, v16
	v_cndmask_b32_e32 v25, v34, v25, vcc
	v_cndmask_b32_e32 v13, v13, v24, vcc
	v_lshlrev_b32_e32 v13, 20, v13
	v_and_b32_e32 v24, 0x80000000, v9
	v_lshl_add_u32 v25, v25, 23, v49
	v_or3_b32 v13, v24, v25, v13
	v_cmp_ne_u32_e32 vcc, s71, v16
	v_cndmask_b32_e32 v13, v5, v13, vcc
	v_cmp_ne_u32_e32 vcc, s70, v2
	v_cndmask_b32_e32 v2, v35, v13, vcc
	v_cmp_lt_u64_e32 vcc, s[56:57], v[8:9]
                                        ; implicit-def: $vgpr34
	v_cndmask_b32_e32 v2, 0, v2, vcc
	v_mul_f32_e32 v8, v2, v12
	v_and_b32_e32 v2, 0x7f800000, v8
	v_cmp_ne_u64_e32 vcc, s[62:63], v[2:3]
	s_and_saveexec_b64 s[40:41], vcc
	s_xor_b64 s[42:43], exec, s[40:41]
	s_cbranch_execz .LBB2_2424
; %bb.2411:                             ;   in Loop: Header=BB2_2212 Depth=3
	v_and_b32_e32 v2, 0x7fffffff, v8
	v_cmp_gt_u64_e32 vcc, s[72:73], v[2:3]
	v_and_b32_sdwa v16, v8, s70 dst_sel:DWORD dst_unused:UNUSED_PAD src0_sel:BYTE_3 src1_sel:DWORD
                                        ; implicit-def: $vgpr34
	s_and_saveexec_b64 s[40:41], vcc
	s_xor_b64 s[38:39], exec, s[40:41]
	s_cbranch_execz .LBB2_2421
; %bb.2412:                             ;   in Loop: Header=BB2_2212 Depth=3
	v_mov_b32_e32 v34, 0
	v_cmp_ne_u32_e32 vcc, 0, v8
	s_and_saveexec_b64 s[48:49], vcc
	s_cbranch_execz .LBB2_2420
; %bb.2413:                             ;   in Loop: Header=BB2_2212 Depth=3
	v_bfe_u32 v24, v8, 23, 8
	v_and_b32_e32 v2, 0x7fffff, v8
	v_cmp_gt_u32_e64 s[40:41], s80, v24
	v_sub_u32_e32 v8, 0x79, v24
	v_cmp_eq_u32_e32 vcc, 0, v24
	v_cndmask_b32_e64 v8, 0, v8, s[40:41]
	v_cndmask_b32_e32 v25, v8, v1, vcc
	v_or_b32_e32 v9, 0x800000, v2
	v_add_u32_e32 v8, 20, v25
	v_cndmask_b32_e32 v2, v9, v2, vcc
	v_lshlrev_b64 v[8:9], v8, -1
	v_add_u32_e32 v12, 19, v25
	v_lshlrev_b64 v[12:13], v12, 1
	v_bfi_b32 v9, v9, 0, 0
	v_bfi_b32 v8, v8, 0, v2
	v_cmp_eq_u64_e64 s[40:41], v[8:9], v[12:13]
	v_lshrrev_b64 v[8:9], v25, v[2:3]
	v_mov_b32_e32 v13, v9
	v_mov_b32_e32 v12, v8
	s_and_saveexec_b64 s[50:51], s[40:41]
; %bb.2414:                             ;   in Loop: Header=BB2_2212 Depth=3
	v_bfe_u32 v2, v8, 20, 1
	v_add_co_u32_e64 v2, s[40:41], v8, v2
	v_add_co_u32_e64 v12, s[40:41], -1, v2
; %bb.2415:                             ;   in Loop: Header=BB2_2212 Depth=3
	s_or_b64 exec, exec, s[50:51]
	v_add_u32_e32 v2, 0xffffff81, v24
	v_cndmask_b32_e32 v2, v2, v0, vcc
	v_lshrrev_b32_e32 v9, 23, v8
	v_add3_u32 v24, v25, v2, v9
	v_add_u32_e32 v13, 6, v24
	v_and_b32_e32 v2, 0xfffff, v12
	v_add_u32_e32 v2, v2, v8
	v_cmp_ne_u32_e32 vcc, 0, v13
                                        ; implicit-def: $vgpr8_vgpr9
                                        ; implicit-def: $vgpr12
	s_and_saveexec_b64 s[40:41], vcc
	s_xor_b64 s[40:41], exec, s[40:41]
; %bb.2416:                             ;   in Loop: Header=BB2_2212 Depth=3
	v_cmp_lt_u64_e32 vcc, s[88:89], v[2:3]
	v_add_u32_e32 v8, 7, v24
	v_cndmask_b32_e32 v12, v13, v8, vcc
	v_cndmask_b32_e64 v8, 0, 1, vcc
	v_lshrrev_b64 v[8:9], v8, v[2:3]
; %bb.2417:                             ;   in Loop: Header=BB2_2212 Depth=3
	s_andn2_saveexec_b64 s[40:41], s[40:41]
; %bb.2418:                             ;   in Loop: Header=BB2_2212 Depth=3
	v_mov_b32_e32 v9, v3
	v_bfe_u32 v12, v2, 23, 1
	v_mov_b32_e32 v8, v2
; %bb.2419:                             ;   in Loop: Header=BB2_2212 Depth=3
	s_or_b64 exec, exec, s[40:41]
	v_lshrrev_b64 v[8:9], 20, v[8:9]
	v_cmp_gt_i32_e32 vcc, 16, v12
	v_cndmask_b32_e32 v9, 0, v9, vcc
	v_cndmask_b32_e32 v8, 7, v8, vcc
	v_min_i32_e32 v2, 15, v12
	v_cmp_eq_u64_e64 s[40:41], 0, v[8:9]
	v_lshlrev_b32_e32 v2, 3, v2
	v_cmp_eq_u32_e32 vcc, 0, v12
	v_and_b32_e32 v2, 0xf8, v2
	v_and_or_b32 v2, v8, 7, v2
	s_and_b64 s[40:41], vcc, s[40:41]
	v_cndmask_b32_e64 v2, v2, 0, s[40:41]
	v_or_b32_e32 v34, v2, v16
.LBB2_2420:                             ;   in Loop: Header=BB2_2212 Depth=3
	s_or_b64 exec, exec, s[48:49]
                                        ; implicit-def: $vgpr16
.LBB2_2421:                             ;   in Loop: Header=BB2_2212 Depth=3
	s_andn2_saveexec_b64 s[40:41], s[38:39]
; %bb.2422:                             ;   in Loop: Header=BB2_2212 Depth=3
	v_or_b32_e32 v34, 0x7e, v16
; %bb.2423:                             ;   in Loop: Header=BB2_2212 Depth=3
	s_or_b64 exec, exec, s[40:41]
                                        ; implicit-def: $vgpr8
.LBB2_2424:                             ;   in Loop: Header=BB2_2212 Depth=3
	s_andn2_saveexec_b64 s[40:41], s[42:43]
; %bb.2425:                             ;   in Loop: Header=BB2_2212 Depth=3
	v_or_b32_sdwa v34, v8, s71 dst_sel:DWORD dst_unused:UNUSED_PAD src0_sel:BYTE_3 src1_sel:DWORD
; %bb.2426:                             ;   in Loop: Header=BB2_2212 Depth=3
	s_or_b64 exec, exec, s[40:41]
	v_cmp_ne_u16_sdwa s[42:43], v14, v3 src0_sel:BYTE_0 src1_sel:DWORD
	v_mov_b32_e32 v2, 0
	s_and_saveexec_b64 s[40:41], s[42:43]
	s_cbranch_execz .LBB2_2432
; %bb.2427:                             ;   in Loop: Header=BB2_2212 Depth=3
	v_cmp_ne_u16_sdwa s[44:45], v14, s70 src0_sel:BYTE_0 src1_sel:DWORD
	v_bfrev_b32_e32 v2, 1
	s_and_saveexec_b64 s[42:43], s[44:45]
	s_cbranch_execz .LBB2_2431
; %bb.2428:                             ;   in Loop: Header=BB2_2212 Depth=3
	v_and_b32_e32 v8, 0x7f, v14
	v_cmp_ne_u32_e32 vcc, s71, v8
	v_mov_b32_e32 v2, 0x7f800001
	s_and_saveexec_b64 s[38:39], vcc
	s_cbranch_execz .LBB2_2430
; %bb.2429:                             ;   in Loop: Header=BB2_2212 Depth=3
	v_and_b32_e32 v2, 7, v14
	v_ffbh_u32_e32 v2, v2
	v_min_u32_e32 v2, 32, v2
	v_lshrrev_b32_e32 v9, 3, v8
	v_cmp_gt_u32_e32 vcc, 8, v8
	v_subrev_u32_e32 v8, 28, v2
	v_sub_u32_e32 v2, 29, v2
	v_cndmask_b32_e32 v8, 0, v8, vcc
	v_cndmask_b32_e32 v2, v9, v2, vcc
	v_lshlrev_b64 v[8:9], v8, v[14:15]
	v_lshlrev_b32_e32 v9, 24, v14
	v_lshlrev_b32_e32 v8, 20, v8
	v_and_b32_e32 v8, 0x700000, v8
	v_and_b32_e32 v9, 0x80000000, v9
	v_lshl_add_u32 v2, v2, 23, v49
	v_or3_b32 v2, v9, v2, v8
.LBB2_2430:                             ;   in Loop: Header=BB2_2212 Depth=3
	s_or_b64 exec, exec, s[38:39]
.LBB2_2431:                             ;   in Loop: Header=BB2_2212 Depth=3
	s_or_b64 exec, exec, s[42:43]
.LBB2_2432:                             ;   in Loop: Header=BB2_2212 Depth=3
	s_or_b64 exec, exec, s[40:41]
	v_cmp_gt_i16_sdwa s[42:43], v10, s71 src0_sel:BYTE_0 src1_sel:DWORD
	s_mov_b64 s[40:41], 0
	s_and_saveexec_b64 s[44:45], s[42:43]
	s_xor_b64 s[42:43], exec, s[44:45]
	s_cbranch_execz .LBB2_2653
; %bb.2433:                             ;   in Loop: Header=BB2_2212 Depth=3
	v_cmp_eq_u16_sdwa s[44:45], v10, s70 src0_sel:BYTE_0 src1_sel:DWORD
	s_mov_b64 s[40:41], -1
	s_and_saveexec_b64 vcc, s[44:45]
; %bb.2434:                             ;   in Loop: Header=BB2_2212 Depth=3
	s_xor_b64 s[40:41], exec, -1
; %bb.2435:                             ;   in Loop: Header=BB2_2212 Depth=3
	s_or_b64 exec, exec, vcc
	s_and_b64 s[40:41], s[40:41], exec
	s_or_saveexec_b64 s[42:43], s[42:43]
	v_bfrev_b32_e32 v8, 1
	s_xor_b64 exec, exec, s[42:43]
	s_cbranch_execnz .LBB2_2654
.LBB2_2436:                             ;   in Loop: Header=BB2_2212 Depth=3
	s_or_b64 exec, exec, s[42:43]
	s_and_saveexec_b64 s[42:43], s[40:41]
	s_cbranch_execz .LBB2_2438
.LBB2_2437:                             ;   in Loop: Header=BB2_2212 Depth=3
	v_and_b32_e32 v8, 7, v10
	v_ffbh_u32_e32 v8, v8
	v_and_b32_e32 v12, 0x7f, v10
	v_min_u32_e32 v8, 32, v8
	v_bfe_u32 v9, v10, 3, 4
	v_subrev_u32_e32 v13, 28, v8
	v_sub_u32_e32 v8, 29, v8
	v_cmp_gt_u32_e32 vcc, 8, v12
	v_cndmask_b32_e32 v16, v9, v8, vcc
	v_cndmask_b32_e32 v8, 0, v13, vcc
	v_lshlrev_b64 v[8:9], v8, v[10:11]
	v_lshlrev_b32_e32 v9, 24, v10
	v_lshlrev_b32_e32 v8, 20, v8
	v_and_b32_e32 v8, 0x700000, v8
	v_and_b32_e32 v9, 0x80000000, v9
	v_lshl_add_u32 v13, v16, 23, v49
	v_or3_b32 v8, v9, v13, v8
	v_cmp_ne_u32_e32 vcc, s71, v12
	v_cndmask_b32_e32 v8, v5, v8, vcc
.LBB2_2438:                             ;   in Loop: Header=BB2_2212 Depth=3
	s_or_b64 exec, exec, s[42:43]
	v_mul_f32_e32 v8, v2, v8
	v_and_b32_e32 v2, 0x7f800000, v8
	v_cmp_ne_u64_e32 vcc, s[62:63], v[2:3]
                                        ; implicit-def: $vgpr52
	s_and_saveexec_b64 s[40:41], vcc
	s_xor_b64 s[42:43], exec, s[40:41]
	s_cbranch_execz .LBB2_2452
; %bb.2439:                             ;   in Loop: Header=BB2_2212 Depth=3
	v_and_b32_e32 v2, 0x7fffffff, v8
	v_cmp_gt_u64_e32 vcc, s[72:73], v[2:3]
	v_and_b32_sdwa v16, v8, s70 dst_sel:DWORD dst_unused:UNUSED_PAD src0_sel:BYTE_3 src1_sel:DWORD
                                        ; implicit-def: $vgpr52
	s_and_saveexec_b64 s[40:41], vcc
	s_xor_b64 s[38:39], exec, s[40:41]
	s_cbranch_execz .LBB2_2449
; %bb.2440:                             ;   in Loop: Header=BB2_2212 Depth=3
	v_mov_b32_e32 v52, 0
	v_cmp_ne_u32_e32 vcc, 0, v8
	s_and_saveexec_b64 s[48:49], vcc
	s_cbranch_execz .LBB2_2448
; %bb.2441:                             ;   in Loop: Header=BB2_2212 Depth=3
	v_bfe_u32 v24, v8, 23, 8
	v_and_b32_e32 v2, 0x7fffff, v8
	v_cmp_gt_u32_e64 s[40:41], s80, v24
	v_sub_u32_e32 v8, 0x79, v24
	v_cmp_eq_u32_e32 vcc, 0, v24
	v_cndmask_b32_e64 v8, 0, v8, s[40:41]
	v_cndmask_b32_e32 v25, v8, v1, vcc
	v_or_b32_e32 v9, 0x800000, v2
	v_add_u32_e32 v8, 20, v25
	v_cndmask_b32_e32 v2, v9, v2, vcc
	v_lshlrev_b64 v[8:9], v8, -1
	v_add_u32_e32 v12, 19, v25
	v_lshlrev_b64 v[12:13], v12, 1
	v_bfi_b32 v9, v9, 0, 0
	v_bfi_b32 v8, v8, 0, v2
	v_cmp_eq_u64_e64 s[40:41], v[8:9], v[12:13]
	v_lshrrev_b64 v[8:9], v25, v[2:3]
	v_mov_b32_e32 v13, v9
	v_mov_b32_e32 v12, v8
	s_and_saveexec_b64 s[50:51], s[40:41]
; %bb.2442:                             ;   in Loop: Header=BB2_2212 Depth=3
	v_bfe_u32 v2, v8, 20, 1
	v_add_co_u32_e64 v2, s[40:41], v8, v2
	v_add_co_u32_e64 v12, s[40:41], -1, v2
; %bb.2443:                             ;   in Loop: Header=BB2_2212 Depth=3
	s_or_b64 exec, exec, s[50:51]
	v_add_u32_e32 v2, 0xffffff81, v24
	v_cndmask_b32_e32 v2, v2, v0, vcc
	v_lshrrev_b32_e32 v9, 23, v8
	v_add3_u32 v24, v25, v2, v9
	v_add_u32_e32 v13, 6, v24
	v_and_b32_e32 v2, 0xfffff, v12
	v_add_u32_e32 v2, v2, v8
	v_cmp_ne_u32_e32 vcc, 0, v13
                                        ; implicit-def: $vgpr8_vgpr9
                                        ; implicit-def: $vgpr12
	s_and_saveexec_b64 s[40:41], vcc
	s_xor_b64 s[40:41], exec, s[40:41]
; %bb.2444:                             ;   in Loop: Header=BB2_2212 Depth=3
	v_cmp_lt_u64_e32 vcc, s[88:89], v[2:3]
	v_add_u32_e32 v8, 7, v24
	v_cndmask_b32_e32 v12, v13, v8, vcc
	v_cndmask_b32_e64 v8, 0, 1, vcc
	v_lshrrev_b64 v[8:9], v8, v[2:3]
; %bb.2445:                             ;   in Loop: Header=BB2_2212 Depth=3
	s_andn2_saveexec_b64 s[40:41], s[40:41]
; %bb.2446:                             ;   in Loop: Header=BB2_2212 Depth=3
	v_mov_b32_e32 v9, v3
	v_bfe_u32 v12, v2, 23, 1
	v_mov_b32_e32 v8, v2
; %bb.2447:                             ;   in Loop: Header=BB2_2212 Depth=3
	s_or_b64 exec, exec, s[40:41]
	v_lshrrev_b64 v[8:9], 20, v[8:9]
	v_cmp_gt_i32_e32 vcc, 16, v12
	v_cndmask_b32_e32 v9, 0, v9, vcc
	v_cndmask_b32_e32 v8, 7, v8, vcc
	v_min_i32_e32 v2, 15, v12
	v_cmp_eq_u64_e64 s[40:41], 0, v[8:9]
	v_lshlrev_b32_e32 v2, 3, v2
	v_cmp_eq_u32_e32 vcc, 0, v12
	v_and_b32_e32 v2, 0xf8, v2
	v_and_or_b32 v2, v8, 7, v2
	s_and_b64 s[40:41], vcc, s[40:41]
	v_cndmask_b32_e64 v2, v2, 0, s[40:41]
	v_or_b32_e32 v52, v2, v16
.LBB2_2448:                             ;   in Loop: Header=BB2_2212 Depth=3
	s_or_b64 exec, exec, s[48:49]
                                        ; implicit-def: $vgpr16
.LBB2_2449:                             ;   in Loop: Header=BB2_2212 Depth=3
	s_andn2_saveexec_b64 s[40:41], s[38:39]
; %bb.2450:                             ;   in Loop: Header=BB2_2212 Depth=3
	v_or_b32_e32 v52, 0x7e, v16
; %bb.2451:                             ;   in Loop: Header=BB2_2212 Depth=3
	s_or_b64 exec, exec, s[40:41]
                                        ; implicit-def: $vgpr8
.LBB2_2452:                             ;   in Loop: Header=BB2_2212 Depth=3
	s_andn2_saveexec_b64 s[40:41], s[42:43]
; %bb.2453:                             ;   in Loop: Header=BB2_2212 Depth=3
	v_or_b32_sdwa v52, v8, s71 dst_sel:DWORD dst_unused:UNUSED_PAD src0_sel:BYTE_3 src1_sel:DWORD
; %bb.2454:                             ;   in Loop: Header=BB2_2212 Depth=3
	s_or_b64 exec, exec, s[40:41]
	v_lshrrev_b16_e32 v2, 8, v14
	v_cmp_ne_u16_e32 vcc, 0, v2
	v_mov_b32_e32 v8, 0
	s_and_saveexec_b64 s[40:41], vcc
	s_cbranch_execz .LBB2_2460
; %bb.2455:                             ;   in Loop: Header=BB2_2212 Depth=3
	v_cmp_ne_u16_e32 vcc, s70, v2
	v_bfrev_b32_e32 v8, 1
	s_and_saveexec_b64 s[42:43], vcc
	s_cbranch_execz .LBB2_2459
; %bb.2456:                             ;   in Loop: Header=BB2_2212 Depth=3
	v_and_b32_e32 v9, 0x7f, v2
	v_cmp_ne_u32_e32 vcc, s71, v9
	v_mov_b32_e32 v8, 0x7f800001
	s_and_saveexec_b64 s[38:39], vcc
	s_cbranch_execz .LBB2_2458
; %bb.2457:                             ;   in Loop: Header=BB2_2212 Depth=3
	v_and_b32_e32 v12, 7, v2
	v_ffbh_u32_e32 v8, v12
	v_min_u32_e32 v16, 32, v8
	v_subrev_u32_e32 v8, 28, v16
	v_lshrrev_b32_e32 v13, 3, v9
	v_cmp_gt_u32_e32 vcc, 8, v9
	v_lshlrev_b64 v[8:9], v8, v[2:3]
	v_sub_u32_e32 v2, 29, v16
	v_and_b32_e32 v8, 7, v8
	v_cndmask_b32_e32 v2, v13, v2, vcc
	v_cndmask_b32_e32 v8, v12, v8, vcc
	v_lshlrev_b32_e32 v9, 16, v14
	v_lshlrev_b32_e32 v8, 20, v8
	v_and_b32_e32 v9, 0x80000000, v9
	v_lshl_add_u32 v2, v2, 23, v49
	v_or3_b32 v8, v9, v2, v8
.LBB2_2458:                             ;   in Loop: Header=BB2_2212 Depth=3
	s_or_b64 exec, exec, s[38:39]
.LBB2_2459:                             ;   in Loop: Header=BB2_2212 Depth=3
	s_or_b64 exec, exec, s[42:43]
.LBB2_2460:                             ;   in Loop: Header=BB2_2212 Depth=3
	s_or_b64 exec, exec, s[40:41]
	v_lshrrev_b16_e32 v2, 8, v10
	v_cmp_lt_i16_e32 vcc, s71, v2
	s_mov_b64 s[40:41], 0
	s_and_saveexec_b64 s[42:43], vcc
	s_xor_b64 s[42:43], exec, s[42:43]
	s_cbranch_execz .LBB2_2655
; %bb.2461:                             ;   in Loop: Header=BB2_2212 Depth=3
	v_cmp_eq_u16_e32 vcc, s70, v2
	s_mov_b64 s[40:41], -1
	s_and_saveexec_b64 s[38:39], vcc
; %bb.2462:                             ;   in Loop: Header=BB2_2212 Depth=3
	s_xor_b64 s[40:41], exec, -1
; %bb.2463:                             ;   in Loop: Header=BB2_2212 Depth=3
	s_or_b64 exec, exec, s[38:39]
	s_and_b64 s[40:41], s[40:41], exec
	s_or_saveexec_b64 s[42:43], s[42:43]
	v_bfrev_b32_e32 v9, 1
	s_xor_b64 exec, exec, s[42:43]
	s_cbranch_execnz .LBB2_2656
.LBB2_2464:                             ;   in Loop: Header=BB2_2212 Depth=3
	s_or_b64 exec, exec, s[42:43]
	s_and_saveexec_b64 s[42:43], s[40:41]
	s_cbranch_execz .LBB2_2466
.LBB2_2465:                             ;   in Loop: Header=BB2_2212 Depth=3
	v_and_b32_e32 v9, 7, v2
	v_ffbh_u32_e32 v12, v9
	v_min_u32_e32 v25, 32, v12
	v_subrev_u32_e32 v12, 28, v25
	v_lshlrev_b64 v[12:13], v12, v[2:3]
	v_and_b32_e32 v16, 0x7f, v2
	v_bfe_u32 v24, v2, 3, 4
	v_sub_u32_e32 v13, 29, v25
	v_and_b32_e32 v12, 7, v12
	v_cmp_gt_u32_e32 vcc, 8, v16
	v_cndmask_b32_e32 v13, v24, v13, vcc
	v_cndmask_b32_e32 v9, v9, v12, vcc
	v_lshlrev_b32_e32 v2, 24, v2
	v_lshlrev_b32_e32 v9, 20, v9
	v_and_b32_e32 v2, 0x80000000, v2
	v_lshl_add_u32 v12, v13, 23, v49
	v_or3_b32 v2, v2, v12, v9
	v_cmp_ne_u32_e32 vcc, s71, v16
	v_cndmask_b32_e32 v9, v5, v2, vcc
.LBB2_2466:                             ;   in Loop: Header=BB2_2212 Depth=3
	s_or_b64 exec, exec, s[42:43]
	v_mul_f32_e32 v8, v8, v9
	v_and_b32_e32 v2, 0x7f800000, v8
	v_cmp_ne_u64_e32 vcc, s[62:63], v[2:3]
                                        ; implicit-def: $vgpr16
	s_and_saveexec_b64 s[40:41], vcc
	s_xor_b64 s[42:43], exec, s[40:41]
	s_cbranch_execz .LBB2_2480
; %bb.2467:                             ;   in Loop: Header=BB2_2212 Depth=3
	v_and_b32_e32 v2, 0x7fffffff, v8
	v_cmp_gt_u64_e32 vcc, s[72:73], v[2:3]
	v_and_b32_sdwa v24, v8, s70 dst_sel:DWORD dst_unused:UNUSED_PAD src0_sel:BYTE_3 src1_sel:DWORD
                                        ; implicit-def: $vgpr16
	s_and_saveexec_b64 s[40:41], vcc
	s_xor_b64 s[38:39], exec, s[40:41]
	s_cbranch_execz .LBB2_2477
; %bb.2468:                             ;   in Loop: Header=BB2_2212 Depth=3
	v_mov_b32_e32 v16, 0
	v_cmp_ne_u32_e32 vcc, 0, v8
	s_and_saveexec_b64 s[48:49], vcc
	s_cbranch_execz .LBB2_2476
; %bb.2469:                             ;   in Loop: Header=BB2_2212 Depth=3
	v_bfe_u32 v16, v8, 23, 8
	v_and_b32_e32 v2, 0x7fffff, v8
	v_cmp_gt_u32_e64 s[40:41], s80, v16
	v_sub_u32_e32 v8, 0x79, v16
	v_cmp_eq_u32_e32 vcc, 0, v16
	v_cndmask_b32_e64 v8, 0, v8, s[40:41]
	v_cndmask_b32_e32 v25, v8, v1, vcc
	v_or_b32_e32 v9, 0x800000, v2
	v_add_u32_e32 v8, 20, v25
	v_cndmask_b32_e32 v2, v9, v2, vcc
	v_lshlrev_b64 v[8:9], v8, -1
	v_add_u32_e32 v12, 19, v25
	v_lshlrev_b64 v[12:13], v12, 1
	v_bfi_b32 v9, v9, 0, 0
	v_bfi_b32 v8, v8, 0, v2
	v_cmp_eq_u64_e64 s[40:41], v[8:9], v[12:13]
	v_lshrrev_b64 v[8:9], v25, v[2:3]
	v_mov_b32_e32 v13, v9
	v_mov_b32_e32 v12, v8
	s_and_saveexec_b64 s[50:51], s[40:41]
; %bb.2470:                             ;   in Loop: Header=BB2_2212 Depth=3
	v_bfe_u32 v2, v8, 20, 1
	v_add_co_u32_e64 v2, s[40:41], v8, v2
	v_add_co_u32_e64 v12, s[40:41], -1, v2
; %bb.2471:                             ;   in Loop: Header=BB2_2212 Depth=3
	s_or_b64 exec, exec, s[50:51]
	v_add_u32_e32 v2, 0xffffff81, v16
	v_cndmask_b32_e32 v2, v2, v0, vcc
	v_lshrrev_b32_e32 v9, 23, v8
	v_add3_u32 v16, v25, v2, v9
	v_add_u32_e32 v13, 6, v16
	v_and_b32_e32 v2, 0xfffff, v12
	v_add_u32_e32 v2, v2, v8
	v_cmp_ne_u32_e32 vcc, 0, v13
                                        ; implicit-def: $vgpr8_vgpr9
                                        ; implicit-def: $vgpr12
	s_and_saveexec_b64 s[40:41], vcc
	s_xor_b64 s[40:41], exec, s[40:41]
; %bb.2472:                             ;   in Loop: Header=BB2_2212 Depth=3
	v_cmp_lt_u64_e32 vcc, s[88:89], v[2:3]
	v_add_u32_e32 v8, 7, v16
	v_cndmask_b32_e32 v12, v13, v8, vcc
	v_cndmask_b32_e64 v8, 0, 1, vcc
	v_lshrrev_b64 v[8:9], v8, v[2:3]
; %bb.2473:                             ;   in Loop: Header=BB2_2212 Depth=3
	s_andn2_saveexec_b64 s[40:41], s[40:41]
; %bb.2474:                             ;   in Loop: Header=BB2_2212 Depth=3
	v_mov_b32_e32 v9, v3
	v_bfe_u32 v12, v2, 23, 1
	v_mov_b32_e32 v8, v2
; %bb.2475:                             ;   in Loop: Header=BB2_2212 Depth=3
	s_or_b64 exec, exec, s[40:41]
	v_lshrrev_b64 v[8:9], 20, v[8:9]
	v_cmp_gt_i32_e32 vcc, 16, v12
	v_cndmask_b32_e32 v9, 0, v9, vcc
	v_cndmask_b32_e32 v8, 7, v8, vcc
	v_min_i32_e32 v2, 15, v12
	v_cmp_eq_u64_e64 s[40:41], 0, v[8:9]
	v_lshlrev_b32_e32 v2, 3, v2
	v_cmp_eq_u32_e32 vcc, 0, v12
	v_and_b32_e32 v2, 0xf8, v2
	v_and_or_b32 v2, v8, 7, v2
	s_and_b64 s[40:41], vcc, s[40:41]
	v_cndmask_b32_e64 v2, v2, 0, s[40:41]
	v_or_b32_e32 v16, v2, v24
.LBB2_2476:                             ;   in Loop: Header=BB2_2212 Depth=3
	s_or_b64 exec, exec, s[48:49]
                                        ; implicit-def: $vgpr24
.LBB2_2477:                             ;   in Loop: Header=BB2_2212 Depth=3
	s_andn2_saveexec_b64 s[40:41], s[38:39]
; %bb.2478:                             ;   in Loop: Header=BB2_2212 Depth=3
	v_or_b32_e32 v16, 0x7e, v24
; %bb.2479:                             ;   in Loop: Header=BB2_2212 Depth=3
	s_or_b64 exec, exec, s[40:41]
                                        ; implicit-def: $vgpr8
.LBB2_2480:                             ;   in Loop: Header=BB2_2212 Depth=3
	s_andn2_saveexec_b64 s[40:41], s[42:43]
; %bb.2481:                             ;   in Loop: Header=BB2_2212 Depth=3
	v_or_b32_sdwa v16, v8, s71 dst_sel:DWORD dst_unused:UNUSED_PAD src0_sel:BYTE_3 src1_sel:DWORD
; %bb.2482:                             ;   in Loop: Header=BB2_2212 Depth=3
	s_or_b64 exec, exec, s[40:41]
	v_lshrrev_b32_e32 v2, 16, v14
	v_cmp_ne_u16_sdwa s[42:43], v2, v3 src0_sel:BYTE_0 src1_sel:DWORD
	v_mov_b32_e32 v8, 0
	s_and_saveexec_b64 s[40:41], s[42:43]
	s_cbranch_execz .LBB2_2488
; %bb.2483:                             ;   in Loop: Header=BB2_2212 Depth=3
	v_cmp_ne_u16_sdwa s[44:45], v2, s70 src0_sel:BYTE_0 src1_sel:DWORD
	v_bfrev_b32_e32 v8, 1
	s_and_saveexec_b64 s[42:43], s[44:45]
	s_cbranch_execz .LBB2_2487
; %bb.2484:                             ;   in Loop: Header=BB2_2212 Depth=3
	v_bfe_u32 v9, v14, 16, 7
	v_cmp_ne_u32_e32 vcc, s71, v9
	v_mov_b32_e32 v8, 0x7f800001
	s_and_saveexec_b64 s[38:39], vcc
	s_cbranch_execz .LBB2_2486
; %bb.2485:                             ;   in Loop: Header=BB2_2212 Depth=3
	v_and_b32_e32 v12, 7, v2
	v_ffbh_u32_e32 v8, v12
	v_min_u32_e32 v24, 32, v8
	v_subrev_u32_e32 v8, 28, v24
	v_lshrrev_b32_e32 v13, 3, v9
	v_cmp_gt_u32_e32 vcc, 8, v9
	v_lshlrev_b64 v[8:9], v8, v[2:3]
	v_sub_u32_e32 v9, 29, v24
	v_and_b32_e32 v8, 7, v8
	v_cndmask_b32_e32 v9, v13, v9, vcc
	v_cndmask_b32_e32 v8, v12, v8, vcc
	v_lshlrev_b32_e32 v2, 24, v2
	v_lshlrev_b32_e32 v8, 20, v8
	v_and_b32_e32 v2, 0x80000000, v2
	v_lshl_add_u32 v9, v9, 23, v49
	v_or3_b32 v8, v2, v9, v8
.LBB2_2486:                             ;   in Loop: Header=BB2_2212 Depth=3
	s_or_b64 exec, exec, s[38:39]
.LBB2_2487:                             ;   in Loop: Header=BB2_2212 Depth=3
	s_or_b64 exec, exec, s[42:43]
.LBB2_2488:                             ;   in Loop: Header=BB2_2212 Depth=3
	s_or_b64 exec, exec, s[40:41]
	v_lshrrev_b32_e32 v2, 16, v10
	v_cmp_gt_i16_sdwa s[42:43], v2, s71 src0_sel:BYTE_0 src1_sel:DWORD
	s_mov_b64 s[40:41], 0
	s_and_saveexec_b64 s[44:45], s[42:43]
	s_xor_b64 s[42:43], exec, s[44:45]
	s_cbranch_execz .LBB2_2657
; %bb.2489:                             ;   in Loop: Header=BB2_2212 Depth=3
	v_cmp_eq_u16_sdwa s[44:45], v2, s70 src0_sel:BYTE_0 src1_sel:DWORD
	s_mov_b64 s[40:41], -1
	s_and_saveexec_b64 vcc, s[44:45]
; %bb.2490:                             ;   in Loop: Header=BB2_2212 Depth=3
	s_xor_b64 s[40:41], exec, -1
; %bb.2491:                             ;   in Loop: Header=BB2_2212 Depth=3
	s_or_b64 exec, exec, vcc
	s_and_b64 s[40:41], s[40:41], exec
	s_or_saveexec_b64 s[42:43], s[42:43]
	v_bfrev_b32_e32 v9, 1
	s_xor_b64 exec, exec, s[42:43]
	s_cbranch_execnz .LBB2_2658
.LBB2_2492:                             ;   in Loop: Header=BB2_2212 Depth=3
	s_or_b64 exec, exec, s[42:43]
	s_and_saveexec_b64 s[42:43], s[40:41]
	s_cbranch_execz .LBB2_2494
.LBB2_2493:                             ;   in Loop: Header=BB2_2212 Depth=3
	v_and_b32_e32 v9, 7, v2
	v_ffbh_u32_e32 v12, v9
	v_min_u32_e32 v36, 32, v12
	v_subrev_u32_e32 v12, 28, v36
	v_lshlrev_b64 v[12:13], v12, v[2:3]
	v_and_b32_e32 v24, 0x7f, v2
	v_bfe_u32 v25, v2, 3, 4
	v_sub_u32_e32 v13, 29, v36
	v_and_b32_e32 v12, 7, v12
	v_cmp_gt_u32_e32 vcc, 8, v24
	v_cndmask_b32_e32 v13, v25, v13, vcc
	v_cndmask_b32_e32 v9, v9, v12, vcc
	v_lshlrev_b32_e32 v2, 24, v2
	v_lshlrev_b32_e32 v9, 20, v9
	v_and_b32_e32 v2, 0x80000000, v2
	v_lshl_add_u32 v12, v13, 23, v49
	v_or3_b32 v2, v2, v12, v9
	v_cmp_ne_u32_e32 vcc, s71, v24
	v_cndmask_b32_e32 v9, v5, v2, vcc
.LBB2_2494:                             ;   in Loop: Header=BB2_2212 Depth=3
	s_or_b64 exec, exec, s[42:43]
	v_mul_f32_e32 v8, v8, v9
	v_and_b32_e32 v2, 0x7f800000, v8
	v_cmp_ne_u64_e32 vcc, s[62:63], v[2:3]
                                        ; implicit-def: $vgpr48
	s_and_saveexec_b64 s[40:41], vcc
	s_xor_b64 s[42:43], exec, s[40:41]
	s_cbranch_execz .LBB2_2508
; %bb.2495:                             ;   in Loop: Header=BB2_2212 Depth=3
	v_and_b32_e32 v2, 0x7fffffff, v8
	v_cmp_gt_u64_e32 vcc, s[72:73], v[2:3]
	v_and_b32_sdwa v24, v8, s70 dst_sel:DWORD dst_unused:UNUSED_PAD src0_sel:BYTE_3 src1_sel:DWORD
                                        ; implicit-def: $vgpr48
	s_and_saveexec_b64 s[40:41], vcc
	s_xor_b64 s[38:39], exec, s[40:41]
	s_cbranch_execz .LBB2_2505
; %bb.2496:                             ;   in Loop: Header=BB2_2212 Depth=3
	v_mov_b32_e32 v48, 0
	v_cmp_ne_u32_e32 vcc, 0, v8
	s_and_saveexec_b64 s[48:49], vcc
	s_cbranch_execz .LBB2_2504
; %bb.2497:                             ;   in Loop: Header=BB2_2212 Depth=3
	v_bfe_u32 v25, v8, 23, 8
	v_and_b32_e32 v2, 0x7fffff, v8
	v_cmp_gt_u32_e64 s[40:41], s80, v25
	v_sub_u32_e32 v8, 0x79, v25
	v_cmp_eq_u32_e32 vcc, 0, v25
	v_cndmask_b32_e64 v8, 0, v8, s[40:41]
	v_cndmask_b32_e32 v36, v8, v1, vcc
	v_or_b32_e32 v9, 0x800000, v2
	v_add_u32_e32 v8, 20, v36
	v_cndmask_b32_e32 v2, v9, v2, vcc
	v_lshlrev_b64 v[8:9], v8, -1
	v_add_u32_e32 v12, 19, v36
	v_lshlrev_b64 v[12:13], v12, 1
	v_bfi_b32 v9, v9, 0, 0
	v_bfi_b32 v8, v8, 0, v2
	v_cmp_eq_u64_e64 s[40:41], v[8:9], v[12:13]
	v_lshrrev_b64 v[8:9], v36, v[2:3]
	v_mov_b32_e32 v13, v9
	v_mov_b32_e32 v12, v8
	s_and_saveexec_b64 s[50:51], s[40:41]
; %bb.2498:                             ;   in Loop: Header=BB2_2212 Depth=3
	v_bfe_u32 v2, v8, 20, 1
	v_add_co_u32_e64 v2, s[40:41], v8, v2
	v_add_co_u32_e64 v12, s[40:41], -1, v2
; %bb.2499:                             ;   in Loop: Header=BB2_2212 Depth=3
	s_or_b64 exec, exec, s[50:51]
	v_add_u32_e32 v2, 0xffffff81, v25
	v_cndmask_b32_e32 v2, v2, v0, vcc
	v_lshrrev_b32_e32 v9, 23, v8
	v_add3_u32 v25, v36, v2, v9
	v_add_u32_e32 v13, 6, v25
	v_and_b32_e32 v2, 0xfffff, v12
	v_add_u32_e32 v2, v2, v8
	v_cmp_ne_u32_e32 vcc, 0, v13
                                        ; implicit-def: $vgpr8_vgpr9
                                        ; implicit-def: $vgpr12
	s_and_saveexec_b64 s[40:41], vcc
	s_xor_b64 s[40:41], exec, s[40:41]
; %bb.2500:                             ;   in Loop: Header=BB2_2212 Depth=3
	v_cmp_lt_u64_e32 vcc, s[88:89], v[2:3]
	v_add_u32_e32 v8, 7, v25
	v_cndmask_b32_e32 v12, v13, v8, vcc
	v_cndmask_b32_e64 v8, 0, 1, vcc
	v_lshrrev_b64 v[8:9], v8, v[2:3]
; %bb.2501:                             ;   in Loop: Header=BB2_2212 Depth=3
	s_andn2_saveexec_b64 s[40:41], s[40:41]
; %bb.2502:                             ;   in Loop: Header=BB2_2212 Depth=3
	v_mov_b32_e32 v9, v3
	v_bfe_u32 v12, v2, 23, 1
	v_mov_b32_e32 v8, v2
; %bb.2503:                             ;   in Loop: Header=BB2_2212 Depth=3
	s_or_b64 exec, exec, s[40:41]
	v_lshrrev_b64 v[8:9], 20, v[8:9]
	v_cmp_gt_i32_e32 vcc, 16, v12
	v_cndmask_b32_e32 v9, 0, v9, vcc
	v_cndmask_b32_e32 v8, 7, v8, vcc
	v_min_i32_e32 v2, 15, v12
	v_cmp_eq_u64_e64 s[40:41], 0, v[8:9]
	v_lshlrev_b32_e32 v2, 3, v2
	v_cmp_eq_u32_e32 vcc, 0, v12
	v_and_b32_e32 v2, 0xf8, v2
	v_and_or_b32 v2, v8, 7, v2
	s_and_b64 s[40:41], vcc, s[40:41]
	v_cndmask_b32_e64 v2, v2, 0, s[40:41]
	v_or_b32_e32 v48, v2, v24
.LBB2_2504:                             ;   in Loop: Header=BB2_2212 Depth=3
	s_or_b64 exec, exec, s[48:49]
                                        ; implicit-def: $vgpr24
.LBB2_2505:                             ;   in Loop: Header=BB2_2212 Depth=3
	s_andn2_saveexec_b64 s[40:41], s[38:39]
; %bb.2506:                             ;   in Loop: Header=BB2_2212 Depth=3
	v_or_b32_e32 v48, 0x7e, v24
; %bb.2507:                             ;   in Loop: Header=BB2_2212 Depth=3
	s_or_b64 exec, exec, s[40:41]
                                        ; implicit-def: $vgpr8
.LBB2_2508:                             ;   in Loop: Header=BB2_2212 Depth=3
	s_andn2_saveexec_b64 s[40:41], s[42:43]
; %bb.2509:                             ;   in Loop: Header=BB2_2212 Depth=3
	v_or_b32_sdwa v48, v8, s71 dst_sel:DWORD dst_unused:UNUSED_PAD src0_sel:BYTE_3 src1_sel:DWORD
; %bb.2510:                             ;   in Loop: Header=BB2_2212 Depth=3
	s_or_b64 exec, exec, s[40:41]
	v_cmp_lt_u32_e32 vcc, s57, v14
	v_mov_b32_e32 v8, 0
	s_and_saveexec_b64 s[40:41], vcc
	s_cbranch_execz .LBB2_2516
; %bb.2511:                             ;   in Loop: Header=BB2_2212 Depth=3
	v_lshrrev_b32_e32 v2, 24, v14
	v_cmp_ne_u32_e32 vcc, s70, v2
	v_bfrev_b32_e32 v8, 1
	s_and_saveexec_b64 s[42:43], vcc
	s_cbranch_execz .LBB2_2515
; %bb.2512:                             ;   in Loop: Header=BB2_2212 Depth=3
	v_bfe_u32 v9, v14, 24, 7
	v_cmp_ne_u32_e32 vcc, s71, v9
	v_mov_b32_e32 v8, 0x7f800001
	s_and_saveexec_b64 s[38:39], vcc
	s_cbranch_execz .LBB2_2514
; %bb.2513:                             ;   in Loop: Header=BB2_2212 Depth=3
	v_and_b32_e32 v12, 7, v2
	v_ffbh_u32_e32 v8, v12
	v_min_u32_e32 v24, 32, v8
	v_subrev_u32_e32 v8, 28, v24
	v_lshrrev_b32_e32 v13, 3, v9
	v_cmp_gt_u32_e32 vcc, 8, v9
	v_lshlrev_b64 v[8:9], v8, v[2:3]
	v_sub_u32_e32 v9, 29, v24
	v_and_b32_e32 v8, 7, v8
	v_cndmask_b32_e32 v9, v13, v9, vcc
	v_cndmask_b32_e32 v8, v12, v8, vcc
	v_lshlrev_b32_e32 v2, 24, v2
	v_lshlrev_b32_e32 v8, 20, v8
	v_and_b32_e32 v2, 0x80000000, v2
	v_lshl_add_u32 v9, v9, 23, v49
	v_or3_b32 v8, v2, v9, v8
.LBB2_2514:                             ;   in Loop: Header=BB2_2212 Depth=3
	s_or_b64 exec, exec, s[38:39]
.LBB2_2515:                             ;   in Loop: Header=BB2_2212 Depth=3
	s_or_b64 exec, exec, s[42:43]
.LBB2_2516:                             ;   in Loop: Header=BB2_2212 Depth=3
	s_or_b64 exec, exec, s[40:41]
	v_bfe_u32 v9, v10, 24, 3
	v_ffbh_u32_e32 v12, v9
	v_min_u32_e32 v36, 32, v12
	v_lshrrev_b32_e32 v2, 24, v10
	v_subrev_u32_e32 v12, 28, v36
	v_lshlrev_b64 v[12:13], v12, v[2:3]
	v_bfe_u32 v24, v10, 24, 7
	v_bfe_u32 v25, v2, 3, 4
	v_sub_u32_e32 v13, 29, v36
	v_and_b32_e32 v12, 7, v12
	v_cmp_gt_u32_e32 vcc, 8, v24
	v_cndmask_b32_e32 v13, v25, v13, vcc
	v_cndmask_b32_e32 v9, v9, v12, vcc
	v_lshlrev_b32_e32 v9, 20, v9
	v_and_b32_e32 v12, 0x80000000, v10
	v_lshl_add_u32 v13, v13, 23, v49
	v_or3_b32 v9, v12, v13, v9
	v_cmp_ne_u32_e32 vcc, s71, v24
	v_cndmask_b32_e32 v9, v5, v9, vcc
	v_cmp_ne_u32_e32 vcc, s70, v2
	v_cndmask_b32_e32 v2, v35, v9, vcc
	v_cmp_lt_u32_e32 vcc, s57, v10
	v_cndmask_b32_e32 v2, 0, v2, vcc
	v_mul_f32_e32 v8, v2, v8
	v_and_b32_e32 v2, 0x7f800000, v8
	v_cmp_ne_u64_e32 vcc, s[62:63], v[2:3]
                                        ; implicit-def: $vgpr59
	s_and_saveexec_b64 s[40:41], vcc
	s_xor_b64 s[42:43], exec, s[40:41]
	s_cbranch_execz .LBB2_2530
; %bb.2517:                             ;   in Loop: Header=BB2_2212 Depth=3
	v_and_b32_e32 v2, 0x7fffffff, v8
	v_cmp_gt_u64_e32 vcc, s[72:73], v[2:3]
	v_and_b32_sdwa v24, v8, s70 dst_sel:DWORD dst_unused:UNUSED_PAD src0_sel:BYTE_3 src1_sel:DWORD
                                        ; implicit-def: $vgpr59
	s_and_saveexec_b64 s[40:41], vcc
	s_xor_b64 s[38:39], exec, s[40:41]
	s_cbranch_execz .LBB2_2527
; %bb.2518:                             ;   in Loop: Header=BB2_2212 Depth=3
	v_mov_b32_e32 v59, 0
	v_cmp_ne_u32_e32 vcc, 0, v8
	s_and_saveexec_b64 s[48:49], vcc
	s_cbranch_execz .LBB2_2526
; %bb.2519:                             ;   in Loop: Header=BB2_2212 Depth=3
	v_bfe_u32 v25, v8, 23, 8
	v_and_b32_e32 v2, 0x7fffff, v8
	v_cmp_gt_u32_e64 s[40:41], s80, v25
	v_sub_u32_e32 v8, 0x79, v25
	v_cmp_eq_u32_e32 vcc, 0, v25
	v_cndmask_b32_e64 v8, 0, v8, s[40:41]
	v_cndmask_b32_e32 v36, v8, v1, vcc
	v_or_b32_e32 v9, 0x800000, v2
	v_add_u32_e32 v8, 20, v36
	v_cndmask_b32_e32 v2, v9, v2, vcc
	v_lshlrev_b64 v[8:9], v8, -1
	v_add_u32_e32 v12, 19, v36
	v_lshlrev_b64 v[12:13], v12, 1
	v_bfi_b32 v9, v9, 0, 0
	v_bfi_b32 v8, v8, 0, v2
	v_cmp_eq_u64_e64 s[40:41], v[8:9], v[12:13]
	v_lshrrev_b64 v[8:9], v36, v[2:3]
	v_mov_b32_e32 v13, v9
	v_mov_b32_e32 v12, v8
	s_and_saveexec_b64 s[50:51], s[40:41]
; %bb.2520:                             ;   in Loop: Header=BB2_2212 Depth=3
	v_bfe_u32 v2, v8, 20, 1
	v_add_co_u32_e64 v2, s[40:41], v8, v2
	v_add_co_u32_e64 v12, s[40:41], -1, v2
; %bb.2521:                             ;   in Loop: Header=BB2_2212 Depth=3
	s_or_b64 exec, exec, s[50:51]
	v_add_u32_e32 v2, 0xffffff81, v25
	v_cndmask_b32_e32 v2, v2, v0, vcc
	v_lshrrev_b32_e32 v9, 23, v8
	v_add3_u32 v25, v36, v2, v9
	v_add_u32_e32 v13, 6, v25
	v_and_b32_e32 v2, 0xfffff, v12
	v_add_u32_e32 v2, v2, v8
	v_cmp_ne_u32_e32 vcc, 0, v13
                                        ; implicit-def: $vgpr8_vgpr9
                                        ; implicit-def: $vgpr12
	s_and_saveexec_b64 s[40:41], vcc
	s_xor_b64 s[40:41], exec, s[40:41]
; %bb.2522:                             ;   in Loop: Header=BB2_2212 Depth=3
	v_cmp_lt_u64_e32 vcc, s[88:89], v[2:3]
	v_add_u32_e32 v8, 7, v25
	v_cndmask_b32_e32 v12, v13, v8, vcc
	v_cndmask_b32_e64 v8, 0, 1, vcc
	v_lshrrev_b64 v[8:9], v8, v[2:3]
; %bb.2523:                             ;   in Loop: Header=BB2_2212 Depth=3
	s_andn2_saveexec_b64 s[40:41], s[40:41]
; %bb.2524:                             ;   in Loop: Header=BB2_2212 Depth=3
	v_mov_b32_e32 v9, v3
	v_bfe_u32 v12, v2, 23, 1
	v_mov_b32_e32 v8, v2
; %bb.2525:                             ;   in Loop: Header=BB2_2212 Depth=3
	s_or_b64 exec, exec, s[40:41]
	v_lshrrev_b64 v[8:9], 20, v[8:9]
	v_cmp_gt_i32_e32 vcc, 16, v12
	v_cndmask_b32_e32 v9, 0, v9, vcc
	v_cndmask_b32_e32 v8, 7, v8, vcc
	v_min_i32_e32 v2, 15, v12
	v_cmp_eq_u64_e64 s[40:41], 0, v[8:9]
	v_lshlrev_b32_e32 v2, 3, v2
	v_cmp_eq_u32_e32 vcc, 0, v12
	v_and_b32_e32 v2, 0xf8, v2
	v_and_or_b32 v2, v8, 7, v2
	s_and_b64 s[40:41], vcc, s[40:41]
	v_cndmask_b32_e64 v2, v2, 0, s[40:41]
	v_or_b32_e32 v59, v2, v24
.LBB2_2526:                             ;   in Loop: Header=BB2_2212 Depth=3
	s_or_b64 exec, exec, s[48:49]
                                        ; implicit-def: $vgpr24
.LBB2_2527:                             ;   in Loop: Header=BB2_2212 Depth=3
	s_andn2_saveexec_b64 s[40:41], s[38:39]
; %bb.2528:                             ;   in Loop: Header=BB2_2212 Depth=3
	v_or_b32_e32 v59, 0x7e, v24
; %bb.2529:                             ;   in Loop: Header=BB2_2212 Depth=3
	s_or_b64 exec, exec, s[40:41]
                                        ; implicit-def: $vgpr8
.LBB2_2530:                             ;   in Loop: Header=BB2_2212 Depth=3
	s_andn2_saveexec_b64 s[40:41], s[42:43]
; %bb.2531:                             ;   in Loop: Header=BB2_2212 Depth=3
	v_or_b32_sdwa v59, v8, s71 dst_sel:DWORD dst_unused:UNUSED_PAD src0_sel:BYTE_3 src1_sel:DWORD
; %bb.2532:                             ;   in Loop: Header=BB2_2212 Depth=3
	s_or_b64 exec, exec, s[40:41]
	v_mov_b32_e32 v2, v15
	v_cmp_ne_u16_sdwa s[42:43], v15, v3 src0_sel:BYTE_0 src1_sel:DWORD
	v_mov_b32_e32 v12, 0
	s_and_saveexec_b64 s[40:41], s[42:43]
	s_cbranch_execz .LBB2_2538
; %bb.2533:                             ;   in Loop: Header=BB2_2212 Depth=3
	v_cmp_ne_u16_sdwa s[44:45], v15, s70 src0_sel:BYTE_0 src1_sel:DWORD
	v_bfrev_b32_e32 v12, 1
	s_and_saveexec_b64 s[42:43], s[44:45]
	s_cbranch_execz .LBB2_2537
; %bb.2534:                             ;   in Loop: Header=BB2_2212 Depth=3
	v_and_b32_e32 v8, 0x7f, v15
	v_cmp_ne_u32_e32 vcc, s71, v8
	v_mov_b32_e32 v12, 0x7f800001
	s_and_saveexec_b64 s[38:39], vcc
	s_cbranch_execz .LBB2_2536
; %bb.2535:                             ;   in Loop: Header=BB2_2212 Depth=3
	v_and_b32_e32 v9, 7, v15
	v_lshrrev_b32_e32 v12, 3, v8
	v_cmp_gt_u32_e32 vcc, 8, v8
	v_ffbh_u32_e32 v8, v9
	v_min_u32_e32 v8, 32, v8
	v_subrev_u32_e32 v9, 28, v8
	v_sub_u32_e32 v8, 29, v8
	v_cndmask_b32_e32 v12, v12, v8, vcc
	v_cndmask_b32_e32 v8, 0, v9, vcc
	v_lshlrev_b64 v[8:9], v8, v[2:3]
	v_lshlrev_b32_e32 v9, 24, v2
	v_lshlrev_b32_e32 v8, 20, v8
	v_and_b32_e32 v8, 0x700000, v8
	v_and_b32_e32 v9, 0x80000000, v9
	v_lshl_add_u32 v12, v12, 23, v49
	v_or3_b32 v12, v9, v12, v8
.LBB2_2536:                             ;   in Loop: Header=BB2_2212 Depth=3
	s_or_b64 exec, exec, s[38:39]
.LBB2_2537:                             ;   in Loop: Header=BB2_2212 Depth=3
	s_or_b64 exec, exec, s[42:43]
.LBB2_2538:                             ;   in Loop: Header=BB2_2212 Depth=3
	s_or_b64 exec, exec, s[40:41]
	v_cmp_gt_i16_sdwa s[42:43], v11, s71 src0_sel:BYTE_0 src1_sel:DWORD
	s_mov_b64 s[40:41], 0
	s_and_saveexec_b64 s[44:45], s[42:43]
	s_xor_b64 s[42:43], exec, s[44:45]
	s_cbranch_execz .LBB2_2542
; %bb.2539:                             ;   in Loop: Header=BB2_2212 Depth=3
	v_cmp_eq_u16_sdwa s[44:45], v11, s70 src0_sel:BYTE_0 src1_sel:DWORD
	s_mov_b64 s[40:41], -1
	s_and_saveexec_b64 vcc, s[44:45]
; %bb.2540:                             ;   in Loop: Header=BB2_2212 Depth=3
	s_xor_b64 s[40:41], exec, -1
; %bb.2541:                             ;   in Loop: Header=BB2_2212 Depth=3
	s_or_b64 exec, exec, vcc
	s_and_b64 s[40:41], s[40:41], exec
.LBB2_2542:                             ;   in Loop: Header=BB2_2212 Depth=3
	s_or_saveexec_b64 s[42:43], s[42:43]
	v_bfrev_b32_e32 v13, 1
	s_xor_b64 exec, exec, s[42:43]
; %bb.2543:                             ;   in Loop: Header=BB2_2212 Depth=3
	v_cmp_ne_u16_sdwa s[44:45], v11, v3 src0_sel:BYTE_0 src1_sel:DWORD
	s_andn2_b64 s[40:41], s[40:41], exec
	s_and_b64 s[44:45], s[44:45], exec
	v_mov_b32_e32 v13, 0
	s_or_b64 s[40:41], s[40:41], s[44:45]
; %bb.2544:                             ;   in Loop: Header=BB2_2212 Depth=3
	s_or_b64 exec, exec, s[42:43]
	v_mov_b32_e32 v8, v11
	v_mov_b32_e32 v9, v3
	s_and_saveexec_b64 s[42:43], s[40:41]
	s_cbranch_execz .LBB2_2546
; %bb.2545:                             ;   in Loop: Header=BB2_2212 Depth=3
	v_and_b32_e32 v13, 7, v11
	v_ffbh_u32_e32 v13, v13
	v_and_b32_e32 v36, 0x7f, v11
	v_min_u32_e32 v13, 32, v13
	v_bfe_u32 v24, v11, 3, 4
	v_subrev_u32_e32 v25, 28, v13
	v_sub_u32_e32 v13, 29, v13
	v_cmp_gt_u32_e32 vcc, 8, v36
	v_cndmask_b32_e32 v13, v24, v13, vcc
	v_cndmask_b32_e32 v24, 0, v25, vcc
	v_lshlrev_b64 v[24:25], v24, v[8:9]
	v_lshl_add_u32 v13, v13, 23, v49
	v_lshlrev_b32_e32 v9, 20, v24
	v_lshlrev_b32_e32 v24, 24, v8
	v_and_b32_e32 v9, 0x700000, v9
	v_and_b32_e32 v24, 0x80000000, v24
	v_or3_b32 v9, v24, v13, v9
	v_cmp_ne_u32_e32 vcc, s71, v36
	v_cndmask_b32_e32 v13, v5, v9, vcc
.LBB2_2546:                             ;   in Loop: Header=BB2_2212 Depth=3
	s_or_b64 exec, exec, s[42:43]
	v_mul_f32_e32 v12, v12, v13
	v_and_b32_e32 v24, 0x7f800000, v12
	v_mov_b32_e32 v25, v3
	v_cmp_ne_u64_e32 vcc, s[62:63], v[24:25]
                                        ; implicit-def: $vgpr24
	s_and_saveexec_b64 s[40:41], vcc
	s_xor_b64 s[42:43], exec, s[40:41]
	s_cbranch_execz .LBB2_2560
; %bb.2547:                             ;   in Loop: Header=BB2_2212 Depth=3
	v_and_b32_e32 v24, 0x7fffffff, v12
	v_mov_b32_e32 v25, v3
	v_cmp_gt_u64_e32 vcc, s[72:73], v[24:25]
	v_and_b32_sdwa v9, v12, s70 dst_sel:DWORD dst_unused:UNUSED_PAD src0_sel:BYTE_3 src1_sel:DWORD
                                        ; implicit-def: $vgpr24
	s_and_saveexec_b64 s[40:41], vcc
	s_xor_b64 s[38:39], exec, s[40:41]
	s_cbranch_execz .LBB2_2557
; %bb.2548:                             ;   in Loop: Header=BB2_2212 Depth=3
	v_mov_b32_e32 v24, 0
	v_cmp_ne_u32_e32 vcc, 0, v12
	s_and_saveexec_b64 s[48:49], vcc
	s_cbranch_execz .LBB2_2556
; %bb.2549:                             ;   in Loop: Header=BB2_2212 Depth=3
	v_bfe_u32 v24, v12, 23, 8
	v_and_b32_e32 v13, 0x7fffff, v12
	v_cmp_gt_u32_e64 s[40:41], s80, v24
	v_sub_u32_e32 v12, 0x79, v24
	v_cmp_eq_u32_e32 vcc, 0, v24
	v_cndmask_b32_e64 v12, 0, v12, s[40:41]
	v_or_b32_e32 v36, 0x800000, v13
	v_cndmask_b32_e32 v25, v12, v1, vcc
	v_cndmask_b32_e32 v12, v36, v13, vcc
	v_add_u32_e32 v36, 20, v25
	v_lshlrev_b64 v[44:45], v36, -1
	v_mov_b32_e32 v13, v3
	v_add_u32_e32 v36, 19, v25
	v_bfi_b32 v44, v44, 0, v12
	v_lshlrev_b64 v[57:58], v36, 1
	v_lshrrev_b64 v[12:13], v25, v[12:13]
	v_bfi_b32 v45, v45, 0, 0
	v_cmp_eq_u64_e64 s[40:41], v[44:45], v[57:58]
	v_mov_b32_e32 v58, v13
	v_mov_b32_e32 v57, v12
	s_and_saveexec_b64 s[50:51], s[40:41]
; %bb.2550:                             ;   in Loop: Header=BB2_2212 Depth=3
	v_bfe_u32 v13, v12, 20, 1
	v_add_co_u32_e64 v13, s[40:41], v12, v13
	v_add_co_u32_e64 v57, s[40:41], -1, v13
; %bb.2551:                             ;   in Loop: Header=BB2_2212 Depth=3
	s_or_b64 exec, exec, s[50:51]
	v_add_u32_e32 v13, 0xffffff81, v24
	v_cndmask_b32_e32 v13, v13, v0, vcc
	v_lshrrev_b32_e32 v24, 23, v12
	v_add3_u32 v36, v25, v13, v24
	v_add_u32_e32 v25, 6, v36
	v_and_b32_e32 v13, 0xfffff, v57
	v_add_u32_e32 v12, v13, v12
	v_mov_b32_e32 v13, v3
	v_cmp_ne_u32_e32 vcc, 0, v25
                                        ; implicit-def: $vgpr24
	s_and_saveexec_b64 s[40:41], vcc
	s_xor_b64 s[40:41], exec, s[40:41]
; %bb.2552:                             ;   in Loop: Header=BB2_2212 Depth=3
	v_cmp_lt_u64_e32 vcc, s[88:89], v[12:13]
	v_add_u32_e32 v24, 7, v36
	v_cndmask_b32_e32 v24, v25, v24, vcc
	v_cndmask_b32_e64 v25, 0, 1, vcc
	v_lshrrev_b64 v[12:13], v25, v[12:13]
; %bb.2553:                             ;   in Loop: Header=BB2_2212 Depth=3
	s_andn2_saveexec_b64 s[40:41], s[40:41]
; %bb.2554:                             ;   in Loop: Header=BB2_2212 Depth=3
	v_bfe_u32 v24, v12, 23, 1
; %bb.2555:                             ;   in Loop: Header=BB2_2212 Depth=3
	s_or_b64 exec, exec, s[40:41]
	v_lshrrev_b64 v[12:13], 20, v[12:13]
	v_cmp_gt_i32_e32 vcc, 16, v24
	v_cndmask_b32_e32 v13, 0, v13, vcc
	v_cndmask_b32_e32 v12, 7, v12, vcc
	v_cmp_eq_u64_e64 s[40:41], 0, v[12:13]
	v_min_i32_e32 v13, 15, v24
	v_lshlrev_b32_e32 v13, 3, v13
	v_cmp_eq_u32_e32 vcc, 0, v24
	v_and_b32_e32 v13, 0xf8, v13
	v_and_or_b32 v12, v12, 7, v13
	s_and_b64 s[40:41], vcc, s[40:41]
	v_cndmask_b32_e64 v12, v12, 0, s[40:41]
	v_or_b32_e32 v24, v12, v9
.LBB2_2556:                             ;   in Loop: Header=BB2_2212 Depth=3
	s_or_b64 exec, exec, s[48:49]
                                        ; implicit-def: $vgpr9
.LBB2_2557:                             ;   in Loop: Header=BB2_2212 Depth=3
	s_andn2_saveexec_b64 s[40:41], s[38:39]
; %bb.2558:                             ;   in Loop: Header=BB2_2212 Depth=3
	v_or_b32_e32 v24, 0x7e, v9
; %bb.2559:                             ;   in Loop: Header=BB2_2212 Depth=3
	s_or_b64 exec, exec, s[40:41]
                                        ; implicit-def: $vgpr12
.LBB2_2560:                             ;   in Loop: Header=BB2_2212 Depth=3
	s_andn2_saveexec_b64 s[40:41], s[42:43]
; %bb.2561:                             ;   in Loop: Header=BB2_2212 Depth=3
	v_or_b32_sdwa v24, v12, s71 dst_sel:DWORD dst_unused:UNUSED_PAD src0_sel:BYTE_3 src1_sel:DWORD
; %bb.2562:                             ;   in Loop: Header=BB2_2212 Depth=3
	s_or_b64 exec, exec, s[40:41]
	v_lshrrev_b16_e32 v9, 8, v2
	v_cmp_ne_u16_e32 vcc, 0, v9
	v_mov_b32_e32 v12, 0
	s_and_saveexec_b64 s[40:41], vcc
	s_cbranch_execz .LBB2_2568
; %bb.2563:                             ;   in Loop: Header=BB2_2212 Depth=3
	v_cmp_ne_u16_e32 vcc, s70, v9
	v_bfrev_b32_e32 v12, 1
	s_and_saveexec_b64 s[42:43], vcc
	s_cbranch_execz .LBB2_2567
; %bb.2564:                             ;   in Loop: Header=BB2_2212 Depth=3
	v_and_b32_e32 v13, 0x7f, v9
	v_cmp_ne_u32_e32 vcc, s71, v13
	v_mov_b32_e32 v12, 0x7f800001
	s_and_saveexec_b64 s[38:39], vcc
	s_cbranch_execz .LBB2_2566
; %bb.2565:                             ;   in Loop: Header=BB2_2212 Depth=3
	v_and_b32_e32 v25, 7, v9
	v_ffbh_u32_e32 v12, v25
	v_min_u32_e32 v44, 32, v12
	v_subrev_u32_e32 v12, 28, v44
	v_lshrrev_b32_e32 v36, 3, v13
	v_cmp_gt_u32_e32 vcc, 8, v13
	v_lshlrev_b64 v[12:13], v12, v[9:10]
	v_sub_u32_e32 v9, 29, v44
	v_and_b32_e32 v12, 7, v12
	v_cndmask_b32_e32 v9, v36, v9, vcc
	v_cndmask_b32_e32 v12, v25, v12, vcc
	v_lshlrev_b32_e32 v2, 16, v2
	v_lshlrev_b32_e32 v12, 20, v12
	v_and_b32_e32 v2, 0x80000000, v2
	v_lshl_add_u32 v9, v9, 23, v49
	v_or3_b32 v12, v2, v9, v12
.LBB2_2566:                             ;   in Loop: Header=BB2_2212 Depth=3
	s_or_b64 exec, exec, s[38:39]
.LBB2_2567:                             ;   in Loop: Header=BB2_2212 Depth=3
	s_or_b64 exec, exec, s[42:43]
.LBB2_2568:                             ;   in Loop: Header=BB2_2212 Depth=3
	s_or_b64 exec, exec, s[40:41]
	v_lshrrev_b16_e32 v2, 8, v8
	v_cmp_lt_i16_e32 vcc, s71, v2
	s_mov_b64 s[40:41], 0
	s_and_saveexec_b64 s[42:43], vcc
	s_xor_b64 s[42:43], exec, s[42:43]
	s_cbranch_execz .LBB2_2659
; %bb.2569:                             ;   in Loop: Header=BB2_2212 Depth=3
	v_cmp_eq_u16_e32 vcc, s70, v2
	s_mov_b64 s[40:41], -1
	s_and_saveexec_b64 s[38:39], vcc
; %bb.2570:                             ;   in Loop: Header=BB2_2212 Depth=3
	s_xor_b64 s[40:41], exec, -1
; %bb.2571:                             ;   in Loop: Header=BB2_2212 Depth=3
	s_or_b64 exec, exec, s[38:39]
	s_and_b64 s[40:41], s[40:41], exec
	s_or_saveexec_b64 s[42:43], s[42:43]
	v_bfrev_b32_e32 v8, 1
	s_xor_b64 exec, exec, s[42:43]
	s_cbranch_execnz .LBB2_2660
.LBB2_2572:                             ;   in Loop: Header=BB2_2212 Depth=3
	s_or_b64 exec, exec, s[42:43]
	s_and_saveexec_b64 s[42:43], s[40:41]
	s_cbranch_execz .LBB2_2574
.LBB2_2573:                             ;   in Loop: Header=BB2_2212 Depth=3
	v_and_b32_e32 v13, 7, v2
	v_ffbh_u32_e32 v8, v13
	v_min_u32_e32 v44, 32, v8
	v_subrev_u32_e32 v8, 28, v44
	v_lshlrev_b64 v[8:9], v8, v[2:3]
	v_and_b32_e32 v25, 0x7f, v2
	v_bfe_u32 v36, v2, 3, 4
	v_sub_u32_e32 v9, 29, v44
	v_and_b32_e32 v8, 7, v8
	v_cmp_gt_u32_e32 vcc, 8, v25
	v_cndmask_b32_e32 v9, v36, v9, vcc
	v_cndmask_b32_e32 v8, v13, v8, vcc
	v_lshlrev_b32_e32 v2, 24, v2
	v_lshlrev_b32_e32 v8, 20, v8
	v_and_b32_e32 v2, 0x80000000, v2
	v_lshl_add_u32 v9, v9, 23, v49
	v_or3_b32 v2, v2, v9, v8
	v_cmp_ne_u32_e32 vcc, s71, v25
	v_cndmask_b32_e32 v8, v5, v2, vcc
.LBB2_2574:                             ;   in Loop: Header=BB2_2212 Depth=3
	s_or_b64 exec, exec, s[42:43]
	v_mul_f32_e32 v8, v12, v8
	v_and_b32_e32 v2, 0x7f800000, v8
	v_cmp_ne_u64_e32 vcc, s[62:63], v[2:3]
                                        ; implicit-def: $vgpr25
	s_and_saveexec_b64 s[40:41], vcc
	s_xor_b64 s[42:43], exec, s[40:41]
	s_cbranch_execz .LBB2_2588
; %bb.2575:                             ;   in Loop: Header=BB2_2212 Depth=3
	v_and_b32_e32 v2, 0x7fffffff, v8
	v_cmp_gt_u64_e32 vcc, s[72:73], v[2:3]
	v_and_b32_sdwa v57, v8, s70 dst_sel:DWORD dst_unused:UNUSED_PAD src0_sel:BYTE_3 src1_sel:DWORD
                                        ; implicit-def: $vgpr25
	s_and_saveexec_b64 s[40:41], vcc
	s_xor_b64 s[38:39], exec, s[40:41]
	s_cbranch_execz .LBB2_2585
; %bb.2576:                             ;   in Loop: Header=BB2_2212 Depth=3
	v_mov_b32_e32 v25, 0
	v_cmp_ne_u32_e32 vcc, 0, v8
	s_and_saveexec_b64 s[48:49], vcc
	s_cbranch_execz .LBB2_2584
; %bb.2577:                             ;   in Loop: Header=BB2_2212 Depth=3
	v_bfe_u32 v25, v8, 23, 8
	v_and_b32_e32 v2, 0x7fffff, v8
	v_cmp_gt_u32_e64 s[40:41], s80, v25
	v_sub_u32_e32 v8, 0x79, v25
	v_cmp_eq_u32_e32 vcc, 0, v25
	v_cndmask_b32_e64 v8, 0, v8, s[40:41]
	v_cndmask_b32_e32 v36, v8, v1, vcc
	v_or_b32_e32 v9, 0x800000, v2
	v_add_u32_e32 v8, 20, v36
	v_cndmask_b32_e32 v2, v9, v2, vcc
	v_lshlrev_b64 v[8:9], v8, -1
	v_add_u32_e32 v12, 19, v36
	v_lshlrev_b64 v[12:13], v12, 1
	v_bfi_b32 v9, v9, 0, 0
	v_bfi_b32 v8, v8, 0, v2
	v_cmp_eq_u64_e64 s[40:41], v[8:9], v[12:13]
	v_lshrrev_b64 v[8:9], v36, v[2:3]
	v_mov_b32_e32 v13, v9
	v_mov_b32_e32 v12, v8
	s_and_saveexec_b64 s[50:51], s[40:41]
; %bb.2578:                             ;   in Loop: Header=BB2_2212 Depth=3
	v_bfe_u32 v2, v8, 20, 1
	v_add_co_u32_e64 v2, s[40:41], v8, v2
	v_add_co_u32_e64 v12, s[40:41], -1, v2
; %bb.2579:                             ;   in Loop: Header=BB2_2212 Depth=3
	s_or_b64 exec, exec, s[50:51]
	v_add_u32_e32 v2, 0xffffff81, v25
	v_cndmask_b32_e32 v2, v2, v0, vcc
	v_lshrrev_b32_e32 v9, 23, v8
	v_add3_u32 v25, v36, v2, v9
	v_add_u32_e32 v13, 6, v25
	v_and_b32_e32 v2, 0xfffff, v12
	v_add_u32_e32 v2, v2, v8
	v_cmp_ne_u32_e32 vcc, 0, v13
                                        ; implicit-def: $vgpr8_vgpr9
                                        ; implicit-def: $vgpr12
	s_and_saveexec_b64 s[40:41], vcc
	s_xor_b64 s[40:41], exec, s[40:41]
; %bb.2580:                             ;   in Loop: Header=BB2_2212 Depth=3
	v_cmp_lt_u64_e32 vcc, s[88:89], v[2:3]
	v_add_u32_e32 v8, 7, v25
	v_cndmask_b32_e32 v12, v13, v8, vcc
	v_cndmask_b32_e64 v8, 0, 1, vcc
	v_lshrrev_b64 v[8:9], v8, v[2:3]
; %bb.2581:                             ;   in Loop: Header=BB2_2212 Depth=3
	s_andn2_saveexec_b64 s[40:41], s[40:41]
; %bb.2582:                             ;   in Loop: Header=BB2_2212 Depth=3
	v_mov_b32_e32 v9, v3
	v_bfe_u32 v12, v2, 23, 1
	v_mov_b32_e32 v8, v2
; %bb.2583:                             ;   in Loop: Header=BB2_2212 Depth=3
	s_or_b64 exec, exec, s[40:41]
	v_lshrrev_b64 v[8:9], 20, v[8:9]
	v_cmp_gt_i32_e32 vcc, 16, v12
	v_cndmask_b32_e32 v9, 0, v9, vcc
	v_cndmask_b32_e32 v8, 7, v8, vcc
	v_min_i32_e32 v2, 15, v12
	v_cmp_eq_u64_e64 s[40:41], 0, v[8:9]
	v_lshlrev_b32_e32 v2, 3, v2
	v_cmp_eq_u32_e32 vcc, 0, v12
	v_and_b32_e32 v2, 0xf8, v2
	v_and_or_b32 v2, v8, 7, v2
	s_and_b64 s[40:41], vcc, s[40:41]
	v_cndmask_b32_e64 v2, v2, 0, s[40:41]
	v_or_b32_e32 v25, v2, v57
.LBB2_2584:                             ;   in Loop: Header=BB2_2212 Depth=3
	s_or_b64 exec, exec, s[48:49]
                                        ; implicit-def: $vgpr57
.LBB2_2585:                             ;   in Loop: Header=BB2_2212 Depth=3
	s_andn2_saveexec_b64 s[40:41], s[38:39]
; %bb.2586:                             ;   in Loop: Header=BB2_2212 Depth=3
	v_or_b32_e32 v25, 0x7e, v57
; %bb.2587:                             ;   in Loop: Header=BB2_2212 Depth=3
	s_or_b64 exec, exec, s[40:41]
                                        ; implicit-def: $vgpr8
.LBB2_2588:                             ;   in Loop: Header=BB2_2212 Depth=3
	s_andn2_saveexec_b64 s[40:41], s[42:43]
; %bb.2589:                             ;   in Loop: Header=BB2_2212 Depth=3
	v_or_b32_sdwa v25, v8, s71 dst_sel:DWORD dst_unused:UNUSED_PAD src0_sel:BYTE_3 src1_sel:DWORD
; %bb.2590:                             ;   in Loop: Header=BB2_2212 Depth=3
	s_or_b64 exec, exec, s[40:41]
	v_lshrrev_b32_e32 v2, 16, v15
	v_cmp_ne_u16_sdwa s[42:43], v2, v3 src0_sel:BYTE_0 src1_sel:DWORD
	v_mov_b32_e32 v8, 0
	s_and_saveexec_b64 s[40:41], s[42:43]
	s_cbranch_execz .LBB2_2596
; %bb.2591:                             ;   in Loop: Header=BB2_2212 Depth=3
	v_cmp_ne_u16_sdwa s[44:45], v2, s70 src0_sel:BYTE_0 src1_sel:DWORD
	v_bfrev_b32_e32 v8, 1
	s_and_saveexec_b64 s[42:43], s[44:45]
	s_cbranch_execz .LBB2_2595
; %bb.2592:                             ;   in Loop: Header=BB2_2212 Depth=3
	v_bfe_u32 v9, v15, 16, 7
	v_cmp_ne_u32_e32 vcc, s71, v9
	v_mov_b32_e32 v8, 0x7f800001
	s_and_saveexec_b64 s[38:39], vcc
	s_cbranch_execz .LBB2_2594
; %bb.2593:                             ;   in Loop: Header=BB2_2212 Depth=3
	v_and_b32_e32 v12, 7, v2
	v_ffbh_u32_e32 v8, v12
	v_min_u32_e32 v36, 32, v8
	v_subrev_u32_e32 v8, 28, v36
	v_lshrrev_b32_e32 v13, 3, v9
	v_cmp_gt_u32_e32 vcc, 8, v9
	v_lshlrev_b64 v[8:9], v8, v[2:3]
	v_sub_u32_e32 v9, 29, v36
	v_and_b32_e32 v8, 7, v8
	v_cndmask_b32_e32 v9, v13, v9, vcc
	v_cndmask_b32_e32 v8, v12, v8, vcc
	v_lshlrev_b32_e32 v2, 24, v2
	v_lshlrev_b32_e32 v8, 20, v8
	v_and_b32_e32 v2, 0x80000000, v2
	v_lshl_add_u32 v9, v9, 23, v49
	v_or3_b32 v8, v2, v9, v8
.LBB2_2594:                             ;   in Loop: Header=BB2_2212 Depth=3
	s_or_b64 exec, exec, s[38:39]
.LBB2_2595:                             ;   in Loop: Header=BB2_2212 Depth=3
	s_or_b64 exec, exec, s[42:43]
.LBB2_2596:                             ;   in Loop: Header=BB2_2212 Depth=3
	s_or_b64 exec, exec, s[40:41]
	v_lshrrev_b32_e32 v2, 16, v11
	v_cmp_gt_i16_sdwa s[42:43], v2, s71 src0_sel:BYTE_0 src1_sel:DWORD
	s_mov_b64 s[40:41], 0
	s_and_saveexec_b64 s[44:45], s[42:43]
	s_xor_b64 s[42:43], exec, s[44:45]
	s_cbranch_execz .LBB2_2661
; %bb.2597:                             ;   in Loop: Header=BB2_2212 Depth=3
	v_cmp_eq_u16_sdwa s[44:45], v2, s70 src0_sel:BYTE_0 src1_sel:DWORD
	s_mov_b64 s[40:41], -1
	s_and_saveexec_b64 vcc, s[44:45]
; %bb.2598:                             ;   in Loop: Header=BB2_2212 Depth=3
	s_xor_b64 s[40:41], exec, -1
; %bb.2599:                             ;   in Loop: Header=BB2_2212 Depth=3
	s_or_b64 exec, exec, vcc
	s_and_b64 s[40:41], s[40:41], exec
	s_or_saveexec_b64 s[42:43], s[42:43]
	v_bfrev_b32_e32 v9, 1
	s_xor_b64 exec, exec, s[42:43]
	s_cbranch_execnz .LBB2_2662
.LBB2_2600:                             ;   in Loop: Header=BB2_2212 Depth=3
	s_or_b64 exec, exec, s[42:43]
	s_and_saveexec_b64 s[42:43], s[40:41]
	s_cbranch_execz .LBB2_2602
.LBB2_2601:                             ;   in Loop: Header=BB2_2212 Depth=3
	v_and_b32_e32 v9, 7, v2
	v_ffbh_u32_e32 v12, v9
	v_min_u32_e32 v45, 32, v12
	v_subrev_u32_e32 v12, 28, v45
	v_lshlrev_b64 v[12:13], v12, v[2:3]
	v_and_b32_e32 v36, 0x7f, v2
	v_bfe_u32 v44, v2, 3, 4
	v_sub_u32_e32 v13, 29, v45
	v_and_b32_e32 v12, 7, v12
	v_cmp_gt_u32_e32 vcc, 8, v36
	v_cndmask_b32_e32 v13, v44, v13, vcc
	v_cndmask_b32_e32 v9, v9, v12, vcc
	v_lshlrev_b32_e32 v2, 24, v2
	v_lshlrev_b32_e32 v9, 20, v9
	v_and_b32_e32 v2, 0x80000000, v2
	v_lshl_add_u32 v12, v13, 23, v49
	v_or3_b32 v2, v2, v12, v9
	v_cmp_ne_u32_e32 vcc, s71, v36
	v_cndmask_b32_e32 v9, v5, v2, vcc
.LBB2_2602:                             ;   in Loop: Header=BB2_2212 Depth=3
	s_or_b64 exec, exec, s[42:43]
	v_mul_f32_e32 v8, v8, v9
	v_and_b32_e32 v2, 0x7f800000, v8
	v_cmp_ne_u64_e32 vcc, s[62:63], v[2:3]
                                        ; implicit-def: $vgpr12
	s_and_saveexec_b64 s[40:41], vcc
	s_xor_b64 s[42:43], exec, s[40:41]
	s_cbranch_execz .LBB2_2616
; %bb.2603:                             ;   in Loop: Header=BB2_2212 Depth=3
	v_and_b32_e32 v2, 0x7fffffff, v8
	v_cmp_gt_u64_e32 vcc, s[72:73], v[2:3]
	v_and_b32_sdwa v57, v8, s70 dst_sel:DWORD dst_unused:UNUSED_PAD src0_sel:BYTE_3 src1_sel:DWORD
                                        ; implicit-def: $vgpr12
	s_and_saveexec_b64 s[40:41], vcc
	s_xor_b64 s[38:39], exec, s[40:41]
	s_cbranch_execz .LBB2_2613
; %bb.2604:                             ;   in Loop: Header=BB2_2212 Depth=3
	v_mov_b32_e32 v12, 0
	v_cmp_ne_u32_e32 vcc, 0, v8
	s_and_saveexec_b64 s[48:49], vcc
	s_cbranch_execz .LBB2_2612
; %bb.2605:                             ;   in Loop: Header=BB2_2212 Depth=3
	v_bfe_u32 v58, v8, 23, 8
	v_and_b32_e32 v2, 0x7fffff, v8
	v_cmp_gt_u32_e64 s[40:41], s80, v58
	v_sub_u32_e32 v8, 0x79, v58
	v_cmp_eq_u32_e32 vcc, 0, v58
	v_cndmask_b32_e64 v8, 0, v8, s[40:41]
	v_cndmask_b32_e32 v36, v8, v1, vcc
	v_or_b32_e32 v9, 0x800000, v2
	v_add_u32_e32 v8, 20, v36
	v_cndmask_b32_e32 v2, v9, v2, vcc
	v_lshlrev_b64 v[8:9], v8, -1
	v_add_u32_e32 v12, 19, v36
	v_lshlrev_b64 v[12:13], v12, 1
	v_bfi_b32 v9, v9, 0, 0
	v_bfi_b32 v8, v8, 0, v2
	v_cmp_eq_u64_e64 s[40:41], v[8:9], v[12:13]
	v_lshrrev_b64 v[8:9], v36, v[2:3]
	v_mov_b32_e32 v13, v9
	v_mov_b32_e32 v12, v8
	s_and_saveexec_b64 s[50:51], s[40:41]
; %bb.2606:                             ;   in Loop: Header=BB2_2212 Depth=3
	v_bfe_u32 v2, v8, 20, 1
	v_add_co_u32_e64 v2, s[40:41], v8, v2
	v_add_co_u32_e64 v12, s[40:41], -1, v2
; %bb.2607:                             ;   in Loop: Header=BB2_2212 Depth=3
	s_or_b64 exec, exec, s[50:51]
	v_add_u32_e32 v2, 0xffffff81, v58
	v_cndmask_b32_e32 v2, v2, v0, vcc
	v_lshrrev_b32_e32 v9, 23, v8
	v_add3_u32 v36, v36, v2, v9
	v_add_u32_e32 v13, 6, v36
	v_and_b32_e32 v2, 0xfffff, v12
	v_add_u32_e32 v2, v2, v8
	v_cmp_ne_u32_e32 vcc, 0, v13
                                        ; implicit-def: $vgpr8_vgpr9
                                        ; implicit-def: $vgpr12
	s_and_saveexec_b64 s[40:41], vcc
	s_xor_b64 s[40:41], exec, s[40:41]
; %bb.2608:                             ;   in Loop: Header=BB2_2212 Depth=3
	v_cmp_lt_u64_e32 vcc, s[88:89], v[2:3]
	v_add_u32_e32 v8, 7, v36
	v_cndmask_b32_e32 v12, v13, v8, vcc
	v_cndmask_b32_e64 v8, 0, 1, vcc
	v_lshrrev_b64 v[8:9], v8, v[2:3]
; %bb.2609:                             ;   in Loop: Header=BB2_2212 Depth=3
	s_andn2_saveexec_b64 s[40:41], s[40:41]
; %bb.2610:                             ;   in Loop: Header=BB2_2212 Depth=3
	v_mov_b32_e32 v9, v3
	v_bfe_u32 v12, v2, 23, 1
	v_mov_b32_e32 v8, v2
; %bb.2611:                             ;   in Loop: Header=BB2_2212 Depth=3
	s_or_b64 exec, exec, s[40:41]
	v_lshrrev_b64 v[8:9], 20, v[8:9]
	v_cmp_gt_i32_e32 vcc, 16, v12
	v_cndmask_b32_e32 v9, 0, v9, vcc
	v_cndmask_b32_e32 v8, 7, v8, vcc
	v_min_i32_e32 v2, 15, v12
	v_cmp_eq_u64_e64 s[40:41], 0, v[8:9]
	v_lshlrev_b32_e32 v2, 3, v2
	v_cmp_eq_u32_e32 vcc, 0, v12
	v_and_b32_e32 v2, 0xf8, v2
	v_and_or_b32 v2, v8, 7, v2
	s_and_b64 s[40:41], vcc, s[40:41]
	v_cndmask_b32_e64 v2, v2, 0, s[40:41]
	v_or_b32_e32 v12, v2, v57
.LBB2_2612:                             ;   in Loop: Header=BB2_2212 Depth=3
	s_or_b64 exec, exec, s[48:49]
                                        ; implicit-def: $vgpr57
.LBB2_2613:                             ;   in Loop: Header=BB2_2212 Depth=3
	s_andn2_saveexec_b64 s[40:41], s[38:39]
; %bb.2614:                             ;   in Loop: Header=BB2_2212 Depth=3
	v_or_b32_e32 v12, 0x7e, v57
; %bb.2615:                             ;   in Loop: Header=BB2_2212 Depth=3
	s_or_b64 exec, exec, s[40:41]
                                        ; implicit-def: $vgpr8
.LBB2_2616:                             ;   in Loop: Header=BB2_2212 Depth=3
	s_andn2_saveexec_b64 s[40:41], s[42:43]
; %bb.2617:                             ;   in Loop: Header=BB2_2212 Depth=3
	v_or_b32_sdwa v12, v8, s71 dst_sel:DWORD dst_unused:UNUSED_PAD src0_sel:BYTE_3 src1_sel:DWORD
; %bb.2618:                             ;   in Loop: Header=BB2_2212 Depth=3
	s_or_b64 exec, exec, s[40:41]
	v_cmp_lt_u64_e32 vcc, s[56:57], v[14:15]
	v_mov_b32_e32 v8, 0
	s_and_saveexec_b64 s[40:41], vcc
	s_cbranch_execz .LBB2_2624
; %bb.2619:                             ;   in Loop: Header=BB2_2212 Depth=3
	v_lshrrev_b32_e32 v2, 24, v15
	v_cmp_ne_u32_e32 vcc, s70, v2
	v_bfrev_b32_e32 v8, 1
	s_and_saveexec_b64 s[42:43], vcc
	s_cbranch_execz .LBB2_2623
; %bb.2620:                             ;   in Loop: Header=BB2_2212 Depth=3
	v_bfe_u32 v9, v15, 24, 7
	v_cmp_ne_u32_e32 vcc, s71, v9
	v_mov_b32_e32 v8, 0x7f800001
	s_and_saveexec_b64 s[38:39], vcc
	s_cbranch_execz .LBB2_2622
; %bb.2621:                             ;   in Loop: Header=BB2_2212 Depth=3
	v_and_b32_e32 v13, 7, v2
	v_ffbh_u32_e32 v8, v13
	v_min_u32_e32 v15, 32, v8
	v_subrev_u32_e32 v8, 28, v15
	v_lshrrev_b32_e32 v14, 3, v9
	v_cmp_gt_u32_e32 vcc, 8, v9
	v_lshlrev_b64 v[8:9], v8, v[2:3]
	v_sub_u32_e32 v9, 29, v15
	v_and_b32_e32 v8, 7, v8
	v_cndmask_b32_e32 v9, v14, v9, vcc
	v_cndmask_b32_e32 v8, v13, v8, vcc
	v_lshlrev_b32_e32 v2, 24, v2
	v_lshlrev_b32_e32 v8, 20, v8
	v_and_b32_e32 v2, 0x80000000, v2
	v_lshl_add_u32 v9, v9, 23, v49
	v_or3_b32 v8, v2, v9, v8
.LBB2_2622:                             ;   in Loop: Header=BB2_2212 Depth=3
	s_or_b64 exec, exec, s[38:39]
.LBB2_2623:                             ;   in Loop: Header=BB2_2212 Depth=3
	s_or_b64 exec, exec, s[42:43]
.LBB2_2624:                             ;   in Loop: Header=BB2_2212 Depth=3
	s_or_b64 exec, exec, s[40:41]
	v_bfe_u32 v9, v11, 24, 3
	v_ffbh_u32_e32 v13, v9
	v_min_u32_e32 v44, 32, v13
	v_lshrrev_b32_e32 v2, 24, v11
	v_subrev_u32_e32 v13, 28, v44
	v_lshlrev_b64 v[13:14], v13, v[2:3]
	v_bfe_u32 v15, v11, 24, 7
	v_bfe_u32 v36, v2, 3, 4
	v_sub_u32_e32 v14, 29, v44
	v_and_b32_e32 v13, 7, v13
	v_cmp_gt_u32_e32 vcc, 8, v15
	v_cndmask_b32_e32 v14, v36, v14, vcc
	v_cndmask_b32_e32 v9, v9, v13, vcc
	v_lshlrev_b32_e32 v9, 20, v9
	v_and_b32_e32 v13, 0x80000000, v11
	v_lshl_add_u32 v14, v14, 23, v49
	v_or3_b32 v9, v13, v14, v9
	v_cmp_ne_u32_e32 vcc, s71, v15
	v_cndmask_b32_e32 v9, v5, v9, vcc
	v_cmp_ne_u32_e32 vcc, s70, v2
	v_cndmask_b32_e32 v2, v35, v9, vcc
	v_cmp_lt_u64_e32 vcc, s[56:57], v[10:11]
	v_cndmask_b32_e32 v2, 0, v2, vcc
	v_mul_f32_e32 v8, v2, v8
	v_and_b32_e32 v2, 0x7f800000, v8
	v_cmp_ne_u64_e32 vcc, s[62:63], v[2:3]
                                        ; implicit-def: $vgpr2
	s_and_saveexec_b64 s[40:41], vcc
	s_xor_b64 s[42:43], exec, s[40:41]
	s_cbranch_execz .LBB2_2638
; %bb.2625:                             ;   in Loop: Header=BB2_2212 Depth=3
	v_and_b32_e32 v2, 0x7fffffff, v8
	v_cmp_gt_u64_e32 vcc, s[72:73], v[2:3]
	v_and_b32_sdwa v11, v8, s70 dst_sel:DWORD dst_unused:UNUSED_PAD src0_sel:BYTE_3 src1_sel:DWORD
                                        ; implicit-def: $vgpr2
	s_and_saveexec_b64 s[40:41], vcc
	s_xor_b64 s[38:39], exec, s[40:41]
	s_cbranch_execz .LBB2_2635
; %bb.2626:                             ;   in Loop: Header=BB2_2212 Depth=3
	v_mov_b32_e32 v2, 0
	v_cmp_ne_u32_e32 vcc, 0, v8
	s_and_saveexec_b64 s[48:49], vcc
	s_cbranch_execz .LBB2_2634
; %bb.2627:                             ;   in Loop: Header=BB2_2212 Depth=3
	v_bfe_u32 v13, v8, 23, 8
	v_and_b32_e32 v2, 0x7fffff, v8
	v_cmp_gt_u32_e64 s[40:41], s80, v13
	v_sub_u32_e32 v8, 0x79, v13
	v_cmp_eq_u32_e32 vcc, 0, v13
	v_cndmask_b32_e64 v8, 0, v8, s[40:41]
	v_cndmask_b32_e32 v14, v8, v1, vcc
	v_or_b32_e32 v9, 0x800000, v2
	v_add_u32_e32 v8, 20, v14
	v_cndmask_b32_e32 v2, v9, v2, vcc
	v_lshlrev_b64 v[8:9], v8, -1
	v_add_u32_e32 v10, 19, v14
	v_lshlrev_b64 v[44:45], v10, 1
	v_bfi_b32 v9, v9, 0, 0
	v_bfi_b32 v8, v8, 0, v2
	v_cmp_eq_u64_e64 s[40:41], v[8:9], v[44:45]
	v_lshrrev_b64 v[8:9], v14, v[2:3]
	v_mov_b32_e32 v10, v9
	v_mov_b32_e32 v9, v8
	s_and_saveexec_b64 s[50:51], s[40:41]
; %bb.2628:                             ;   in Loop: Header=BB2_2212 Depth=3
	v_bfe_u32 v2, v8, 20, 1
	v_add_co_u32_e64 v2, s[40:41], v8, v2
	v_add_co_u32_e64 v9, s[40:41], -1, v2
; %bb.2629:                             ;   in Loop: Header=BB2_2212 Depth=3
	s_or_b64 exec, exec, s[50:51]
	v_add_u32_e32 v2, 0xffffff81, v13
	v_cndmask_b32_e32 v2, v2, v0, vcc
	v_lshrrev_b32_e32 v10, 23, v8
	v_add3_u32 v14, v14, v2, v10
	v_add_u32_e32 v13, 6, v14
	v_and_b32_e32 v2, 0xfffff, v9
	v_add_u32_e32 v2, v2, v8
	v_cmp_ne_u32_e32 vcc, 0, v13
                                        ; implicit-def: $vgpr8_vgpr9
                                        ; implicit-def: $vgpr10
	s_and_saveexec_b64 s[40:41], vcc
	s_xor_b64 s[40:41], exec, s[40:41]
; %bb.2630:                             ;   in Loop: Header=BB2_2212 Depth=3
	v_cmp_lt_u64_e32 vcc, s[88:89], v[2:3]
	v_add_u32_e32 v8, 7, v14
	v_cndmask_b32_e32 v10, v13, v8, vcc
	v_cndmask_b32_e64 v8, 0, 1, vcc
	v_lshrrev_b64 v[8:9], v8, v[2:3]
; %bb.2631:                             ;   in Loop: Header=BB2_2212 Depth=3
	s_andn2_saveexec_b64 s[40:41], s[40:41]
; %bb.2632:                             ;   in Loop: Header=BB2_2212 Depth=3
	v_mov_b32_e32 v9, v3
	v_bfe_u32 v10, v2, 23, 1
	v_mov_b32_e32 v8, v2
; %bb.2633:                             ;   in Loop: Header=BB2_2212 Depth=3
	s_or_b64 exec, exec, s[40:41]
	v_lshrrev_b64 v[8:9], 20, v[8:9]
	v_cmp_gt_i32_e32 vcc, 16, v10
	v_cndmask_b32_e32 v9, 0, v9, vcc
	v_cndmask_b32_e32 v8, 7, v8, vcc
	v_min_i32_e32 v2, 15, v10
	v_cmp_eq_u64_e64 s[40:41], 0, v[8:9]
	v_lshlrev_b32_e32 v2, 3, v2
	v_cmp_eq_u32_e32 vcc, 0, v10
	v_and_b32_e32 v2, 0xf8, v2
	v_and_or_b32 v2, v8, 7, v2
	s_and_b64 s[40:41], vcc, s[40:41]
	v_cndmask_b32_e64 v2, v2, 0, s[40:41]
	v_or_b32_e32 v2, v2, v11
.LBB2_2634:                             ;   in Loop: Header=BB2_2212 Depth=3
	s_or_b64 exec, exec, s[48:49]
                                        ; implicit-def: $vgpr11
.LBB2_2635:                             ;   in Loop: Header=BB2_2212 Depth=3
	s_andn2_saveexec_b64 s[40:41], s[38:39]
; %bb.2636:                             ;   in Loop: Header=BB2_2212 Depth=3
	v_or_b32_e32 v2, 0x7e, v11
; %bb.2637:                             ;   in Loop: Header=BB2_2212 Depth=3
	s_or_b64 exec, exec, s[40:41]
                                        ; implicit-def: $vgpr8
.LBB2_2638:                             ;   in Loop: Header=BB2_2212 Depth=3
	s_andn2_saveexec_b64 s[40:41], s[42:43]
; %bb.2639:                             ;   in Loop: Header=BB2_2212 Depth=3
	v_or_b32_sdwa v2, v8, s71 dst_sel:DWORD dst_unused:UNUSED_PAD src0_sel:BYTE_3 src1_sel:DWORD
; %bb.2640:                             ;   in Loop: Header=BB2_2212 Depth=3
	s_or_b64 exec, exec, s[40:41]
	v_lshl_or_b32 v8, v27, 8, v26
	v_lshlrev_b32_e32 v9, 16, v30
	v_lshlrev_b32_e32 v10, 24, v34
	v_lshl_or_b32 v4, v6, 8, v4
	v_lshlrev_b32_e32 v6, 16, v7
	v_lshlrev_b32_e32 v7, 24, v21
	v_or3_b32 v9, v8, v9, v10
	v_or3_b32 v8, v4, v6, v7
	v_lshl_or_b32 v4, v16, 8, v52
	v_lshlrev_b32_e32 v6, 16, v48
	v_lshlrev_b32_e32 v7, 24, v59
	v_or3_b32 v10, v4, v6, v7
	v_lshlrev_b32_e32 v2, 24, v2
	v_lshlrev_b32_e32 v4, 16, v12
	v_lshl_or_b32 v6, v25, 8, v24
	v_or3_b32 v11, v6, v4, v2
	s_mov_b64 s[48:49], 0
	s_mov_b64 s[38:39], -1
.LBB2_2641:                             ;   Parent Loop BB2_47 Depth=1
                                        ;     Parent Loop BB2_1679 Depth=2
                                        ;       Parent Loop BB2_2212 Depth=3
                                        ; =>      This Inner Loop Header: Depth=4
	s_cmp_eq_u32 s48, 1
	s_cselect_b64 s[40:41], -1, 0
	v_cndmask_b32_e64 v6, v40, v61, s[40:41]
	v_cndmask_b32_e64 v7, v41, v31, s[40:41]
	v_add_co_u32_e32 v2, vcc, 0x400, v6
	s_cmp_eq_u32 s48, 0
	v_addc_co_u32_e32 v4, vcc, 0, v7, vcc
	s_cselect_b64 vcc, -1, 0
	s_and_b64 s[42:43], exec, s[38:39]
	s_mov_b64 s[48:49], 1
	v_cndmask_b32_e64 v61, v61, v2, s[40:41]
	s_mov_b64 s[38:39], 0
	v_cndmask_b32_e64 v31, v31, v4, s[40:41]
	v_cndmask_b32_e32 v41, v41, v4, vcc
	v_cndmask_b32_e32 v40, v40, v2, vcc
	s_mov_b64 vcc, s[42:43]
	global_store_dwordx4 v[6:7], v[8:11], off glc slc
	s_cbranch_vccnz .LBB2_2641
; %bb.2642:                             ;   in Loop: Header=BB2_2212 Depth=3
	buffer_load_dword v2, off, s[0:3], s33 offset:64 ; 4-byte Folded Reload
	buffer_load_dword v4, off, s[0:3], s33 offset:68 ; 4-byte Folded Reload
	v_sub_u32_e32 v37, v37, v38
	v_sub_u32_e32 v53, v53, v17
	s_waitcnt vmcnt(1)
	v_add_co_u32_e32 v46, vcc, v46, v2
	s_waitcnt vmcnt(0)
	v_addc_co_u32_e32 v47, vcc, v47, v4, vcc
	v_add_co_u32_e32 v55, vcc, v55, v2
	v_addc_co_u32_e32 v56, vcc, v56, v4, vcc
	buffer_load_dword v4, off, s[0:3], s33 offset:60 ; 4-byte Folded Reload
	v_add_u32_e32 v2, 0xfffffc00, v38
	v_add_co_u32_e32 v40, vcc, v40, v2
	s_waitcnt vmcnt(0)
	v_addc_co_u32_e32 v41, vcc, v41, v4, vcc
	v_add_co_u32_e32 v61, vcc, v61, v2
	v_addc_co_u32_e32 v31, vcc, v31, v4, vcc
	v_cmp_gt_i32_e32 vcc, 16, v37
	s_or_b64 s[36:37], vcc, s[36:37]
	s_andn2_b64 exec, exec, s[36:37]
	s_cbranch_execnz .LBB2_2212
	s_branch .LBB2_2663
.LBB2_2643:                             ;   in Loop: Header=BB2_2212 Depth=3
	s_or_saveexec_b64 s[42:43], s[42:43]
	v_bfrev_b32_e32 v4, 1
	s_xor_b64 exec, exec, s[42:43]
	s_cbranch_execz .LBB2_2222
.LBB2_2644:                             ;   in Loop: Header=BB2_2212 Depth=3
	v_cmp_ne_u16_sdwa s[44:45], v8, v3 src0_sel:BYTE_0 src1_sel:DWORD
	s_andn2_b64 s[40:41], s[40:41], exec
	s_and_b64 s[44:45], s[44:45], exec
	v_mov_b32_e32 v4, 0
	s_or_b64 s[40:41], s[40:41], s[44:45]
	s_or_b64 exec, exec, s[42:43]
	s_and_saveexec_b64 s[42:43], s[40:41]
	s_cbranch_execnz .LBB2_2223
	s_branch .LBB2_2224
.LBB2_2645:                             ;   in Loop: Header=BB2_2212 Depth=3
	s_or_saveexec_b64 s[42:43], s[42:43]
	v_bfrev_b32_e32 v7, 1
	s_xor_b64 exec, exec, s[42:43]
	s_cbranch_execz .LBB2_2250
.LBB2_2646:                             ;   in Loop: Header=BB2_2212 Depth=3
	v_cmp_ne_u16_e32 vcc, 0, v2
	s_andn2_b64 s[40:41], s[40:41], exec
	s_and_b64 s[44:45], vcc, exec
	v_mov_b32_e32 v7, 0
	s_or_b64 s[40:41], s[40:41], s[44:45]
	s_or_b64 exec, exec, s[42:43]
	s_and_saveexec_b64 s[42:43], s[40:41]
	s_cbranch_execnz .LBB2_2251
	s_branch .LBB2_2252
.LBB2_2647:                             ;   in Loop: Header=BB2_2212 Depth=3
	s_or_saveexec_b64 s[42:43], s[42:43]
	v_bfrev_b32_e32 v16, 1
	s_xor_b64 exec, exec, s[42:43]
	s_cbranch_execz .LBB2_2278
.LBB2_2648:                             ;   in Loop: Header=BB2_2212 Depth=3
	v_cmp_ne_u16_sdwa s[44:45], v2, v3 src0_sel:BYTE_0 src1_sel:DWORD
	s_andn2_b64 s[40:41], s[40:41], exec
	s_and_b64 s[44:45], s[44:45], exec
	v_mov_b32_e32 v16, 0
	s_or_b64 s[40:41], s[40:41], s[44:45]
	s_or_b64 exec, exec, s[42:43]
	s_and_saveexec_b64 s[42:43], s[40:41]
	s_cbranch_execnz .LBB2_2279
	s_branch .LBB2_2280
.LBB2_2649:                             ;   in Loop: Header=BB2_2212 Depth=3
	s_or_saveexec_b64 s[42:43], s[42:43]
	v_bfrev_b32_e32 v24, 1
	s_xor_b64 exec, exec, s[42:43]
	s_cbranch_execz .LBB2_2358
.LBB2_2650:                             ;   in Loop: Header=BB2_2212 Depth=3
	v_cmp_ne_u16_e32 vcc, 0, v2
	s_andn2_b64 s[40:41], s[40:41], exec
	s_and_b64 s[44:45], vcc, exec
	v_mov_b32_e32 v24, 0
	s_or_b64 s[40:41], s[40:41], s[44:45]
	s_or_b64 exec, exec, s[42:43]
	s_and_saveexec_b64 s[42:43], s[40:41]
	s_cbranch_execnz .LBB2_2359
	s_branch .LBB2_2360
.LBB2_2651:                             ;   in Loop: Header=BB2_2212 Depth=3
	s_or_saveexec_b64 s[42:43], s[42:43]
	v_bfrev_b32_e32 v24, 1
	s_xor_b64 exec, exec, s[42:43]
	s_cbranch_execz .LBB2_2386
.LBB2_2652:                             ;   in Loop: Header=BB2_2212 Depth=3
	v_cmp_ne_u16_sdwa s[44:45], v2, v3 src0_sel:BYTE_0 src1_sel:DWORD
	s_andn2_b64 s[40:41], s[40:41], exec
	s_and_b64 s[44:45], s[44:45], exec
	v_mov_b32_e32 v24, 0
	s_or_b64 s[40:41], s[40:41], s[44:45]
	s_or_b64 exec, exec, s[42:43]
	s_and_saveexec_b64 s[42:43], s[40:41]
	s_cbranch_execnz .LBB2_2387
	s_branch .LBB2_2388
.LBB2_2653:                             ;   in Loop: Header=BB2_2212 Depth=3
	s_or_saveexec_b64 s[42:43], s[42:43]
	v_bfrev_b32_e32 v8, 1
	s_xor_b64 exec, exec, s[42:43]
	s_cbranch_execz .LBB2_2436
.LBB2_2654:                             ;   in Loop: Header=BB2_2212 Depth=3
	v_cmp_ne_u16_sdwa s[44:45], v10, v3 src0_sel:BYTE_0 src1_sel:DWORD
	s_andn2_b64 s[40:41], s[40:41], exec
	s_and_b64 s[44:45], s[44:45], exec
	v_mov_b32_e32 v8, 0
	s_or_b64 s[40:41], s[40:41], s[44:45]
	s_or_b64 exec, exec, s[42:43]
	s_and_saveexec_b64 s[42:43], s[40:41]
	s_cbranch_execnz .LBB2_2437
	s_branch .LBB2_2438
.LBB2_2655:                             ;   in Loop: Header=BB2_2212 Depth=3
	s_or_saveexec_b64 s[42:43], s[42:43]
	v_bfrev_b32_e32 v9, 1
	s_xor_b64 exec, exec, s[42:43]
	s_cbranch_execz .LBB2_2464
.LBB2_2656:                             ;   in Loop: Header=BB2_2212 Depth=3
	v_cmp_ne_u16_e32 vcc, 0, v2
	s_andn2_b64 s[40:41], s[40:41], exec
	s_and_b64 s[44:45], vcc, exec
	v_mov_b32_e32 v9, 0
	s_or_b64 s[40:41], s[40:41], s[44:45]
	s_or_b64 exec, exec, s[42:43]
	s_and_saveexec_b64 s[42:43], s[40:41]
	s_cbranch_execnz .LBB2_2465
	s_branch .LBB2_2466
.LBB2_2657:                             ;   in Loop: Header=BB2_2212 Depth=3
	s_or_saveexec_b64 s[42:43], s[42:43]
	v_bfrev_b32_e32 v9, 1
	s_xor_b64 exec, exec, s[42:43]
	s_cbranch_execz .LBB2_2492
.LBB2_2658:                             ;   in Loop: Header=BB2_2212 Depth=3
	v_cmp_ne_u16_sdwa s[44:45], v2, v3 src0_sel:BYTE_0 src1_sel:DWORD
	s_andn2_b64 s[40:41], s[40:41], exec
	s_and_b64 s[44:45], s[44:45], exec
	v_mov_b32_e32 v9, 0
	s_or_b64 s[40:41], s[40:41], s[44:45]
	s_or_b64 exec, exec, s[42:43]
	s_and_saveexec_b64 s[42:43], s[40:41]
	s_cbranch_execnz .LBB2_2493
	s_branch .LBB2_2494
.LBB2_2659:                             ;   in Loop: Header=BB2_2212 Depth=3
	s_or_saveexec_b64 s[42:43], s[42:43]
	v_bfrev_b32_e32 v8, 1
	s_xor_b64 exec, exec, s[42:43]
	s_cbranch_execz .LBB2_2572
.LBB2_2660:                             ;   in Loop: Header=BB2_2212 Depth=3
	v_cmp_ne_u16_e32 vcc, 0, v2
	s_andn2_b64 s[40:41], s[40:41], exec
	s_and_b64 s[44:45], vcc, exec
	v_mov_b32_e32 v8, 0
	s_or_b64 s[40:41], s[40:41], s[44:45]
	s_or_b64 exec, exec, s[42:43]
	s_and_saveexec_b64 s[42:43], s[40:41]
	s_cbranch_execnz .LBB2_2573
	s_branch .LBB2_2574
.LBB2_2661:                             ;   in Loop: Header=BB2_2212 Depth=3
	s_or_saveexec_b64 s[42:43], s[42:43]
	v_bfrev_b32_e32 v9, 1
	s_xor_b64 exec, exec, s[42:43]
	s_cbranch_execz .LBB2_2600
.LBB2_2662:                             ;   in Loop: Header=BB2_2212 Depth=3
	v_cmp_ne_u16_sdwa s[44:45], v2, v3 src0_sel:BYTE_0 src1_sel:DWORD
	s_andn2_b64 s[40:41], s[40:41], exec
	s_and_b64 s[44:45], s[44:45], exec
	v_mov_b32_e32 v9, 0
	s_or_b64 s[40:41], s[40:41], s[44:45]
	s_or_b64 exec, exec, s[42:43]
	s_and_saveexec_b64 s[42:43], s[40:41]
	s_cbranch_execnz .LBB2_2601
	s_branch .LBB2_2602
.LBB2_2663:                             ;   in Loop: Header=BB2_1679 Depth=2
	s_or_b64 exec, exec, s[36:37]
	buffer_load_dword v56, off, s[0:3], s33 offset:148 ; 4-byte Folded Reload
	buffer_load_dword v47, off, s[0:3], s33 offset:144 ; 4-byte Folded Reload
	;; [unrolled: 1-line block ×8, first 2 shown]
.LBB2_2664:                             ;   in Loop: Header=BB2_1679 Depth=2
	s_or_b64 exec, exec, s[34:35]
	s_waitcnt vmcnt(4)
	v_and_b32_e32 v8, 15, v9
	s_waitcnt vmcnt(0)
	v_cndmask_b32_e64 v6, v13, v8, s[28:29]
	v_mov_b32_e32 v4, 0
	v_cmp_ne_u32_e32 vcc, 0, v6
	s_mov_b64 s[42:43], 0
                                        ; implicit-def: $vgpr7
                                        ; implicit-def: $vgpr2
	s_and_saveexec_b64 s[40:41], vcc
	s_cbranch_execz .LBB2_2666
; %bb.2665:                             ;   in Loop: Header=BB2_1679 Depth=2
	v_sub_u32_e32 v2, v13, v8
	v_cndmask_b32_e64 v2, 0, v2, s[28:29]
	v_cmp_lt_i32_e32 vcc, 0, v53
	v_add3_u32 v4, v12, v10, v2
	v_cndmask_b32_e32 v2, 0, v17, vcc
	v_sub_u32_e32 v2, v2, v53
	v_lshl_add_u32 v7, v2, 6, v11
	v_ashrrev_i32_e32 v2, 31, v7
	v_lshrrev_b32_e32 v2, 26, v2
	v_add_u32_e32 v2, v7, v2
	v_ashrrev_i32_e32 v2, 6, v2
	s_mov_b64 s[42:43], exec
.LBB2_2666:                             ;   in Loop: Header=BB2_1679 Depth=2
	s_or_b64 exec, exec, s[40:41]
	s_and_b64 s[40:41], s[42:43], exec
.LBB2_2667:                             ;   in Loop: Header=BB2_1679 Depth=2
	s_or_b64 exec, exec, s[30:31]
	s_and_saveexec_b64 s[42:43], s[40:41]
	s_cbranch_execz .LBB2_2966
.LBB2_2668:                             ;   in Loop: Header=BB2_1679 Depth=2
	v_ashrrev_i32_e32 v8, 31, v6
	v_lshrrev_b32_e32 v8, 23, v8
	v_add_u32_e32 v8, v6, v8
	v_ashrrev_i32_e32 v27, 9, v8
	s_waitcnt vmcnt(0)
	v_sub_u32_e32 v21, v27, v2
	v_ashrrev_i32_e32 v8, 31, v7
	v_cmp_lt_i32_e32 vcc, 0, v21
	v_lshrrev_b32_e32 v26, 26, v8
	s_and_saveexec_b64 s[40:41], vcc
	s_cbranch_execz .LBB2_2928
; %bb.2669:                             ;   in Loop: Header=BB2_1679 Depth=2
	v_add_u32_e32 v8, v7, v26
	v_and_b32_e32 v8, 0xffffffc0, v8
	v_sub_u32_e32 v8, v7, v8
	v_lshlrev_b32_e32 v2, 9, v2
	v_add3_u32 v2, v4, v8, v2
	buffer_load_dword v8, off, s[0:3], s33 offset:156 ; 4-byte Folded Reload
	buffer_load_dword v9, off, s[0:3], s33 offset:160 ; 4-byte Folded Reload
	;; [unrolled: 1-line block ×4, first 2 shown]
	v_ashrrev_i32_e32 v16, 31, v2
	s_trap 2
	ds_read_b64 v[14:15], v0
	v_mov_b32_e32 v60, v30
	s_mov_b64 s[30:31], 0
	s_waitcnt vmcnt(3)
	v_add_co_u32_e32 v8, vcc, v2, v8
	s_waitcnt vmcnt(2)
	v_addc_co_u32_e32 v9, vcc, v16, v9, vcc
	s_waitcnt vmcnt(1)
	v_add_co_u32_e32 v10, vcc, v2, v10
	s_waitcnt vmcnt(0)
	v_addc_co_u32_e32 v11, vcc, v16, v11, vcc
	v_add_co_u32_e32 v12, vcc, v2, v42
	v_addc_co_u32_e32 v13, vcc, v16, v43, vcc
	s_waitcnt lgkmcnt(0)
	v_add_co_u32_e32 v14, vcc, v14, v2
	v_addc_co_u32_e32 v15, vcc, v15, v16, vcc
	s_branch .LBB2_2671
.LBB2_2670:                             ;   in Loop: Header=BB2_2671 Depth=3
	s_or_b64 exec, exec, s[28:29]
	v_add_co_u32_e32 v12, vcc, v12, v39
	v_addc_co_u32_e32 v13, vcc, 0, v13, vcc
	v_add_co_u32_e32 v14, vcc, v14, v39
	v_addc_co_u32_e32 v15, vcc, 0, v15, vcc
	flat_store_byte v[8:9], v31 glc slc
	flat_store_byte v[8:9], v37 offset:64 glc slc
	flat_store_byte v[8:9], v53 offset:128 glc slc
	;; [unrolled: 1-line block ×7, first 2 shown]
	flat_store_byte v[10:11], v31 glc slc
	flat_store_byte v[10:11], v37 offset:64 glc slc
	flat_store_byte v[10:11], v53 offset:128 glc slc
	;; [unrolled: 1-line block ×7, first 2 shown]
	v_add_co_u32_e32 v8, vcc, v8, v39
	v_addc_co_u32_e32 v9, vcc, 0, v9, vcc
	v_sub_u32_e32 v21, v21, v17
	v_cmp_gt_i32_e32 vcc, 1, v21
	s_or_b64 s[30:31], vcc, s[30:31]
	v_add_co_u32_e32 v10, vcc, v10, v39
	v_addc_co_u32_e32 v11, vcc, 0, v11, vcc
	s_andn2_b64 exec, exec, s[30:31]
	s_cbranch_execz .LBB2_2927
.LBB2_2671:                             ;   Parent Loop BB2_47 Depth=1
                                        ;     Parent Loop BB2_1679 Depth=2
                                        ; =>    This Inner Loop Header: Depth=3
	flat_load_ubyte v46, v[12:13] glc slc
	flat_load_ubyte v56, v[12:13] offset:64 glc slc
	flat_load_ubyte v41, v[12:13] offset:128 glc slc
	flat_load_ubyte v25, v[12:13] offset:192 glc slc
	flat_load_ubyte v47, v[12:13] offset:256 glc slc
	flat_load_ubyte v55, v[12:13] offset:320 glc slc
	flat_load_ubyte v52, v[12:13] offset:384 glc slc
	flat_load_ubyte v34, v[12:13] offset:448 glc slc
	flat_load_ubyte v31, v[14:15] glc slc
	flat_load_ubyte v37, v[14:15] offset:64 glc slc
	flat_load_ubyte v53, v[14:15] offset:128 glc slc
	;; [unrolled: 1-line block ×7, first 2 shown]
	v_mov_b32_e32 v44, 0
	v_mov_b32_e32 v45, 0
	s_waitcnt vmcnt(0) lgkmcnt(0)
	v_cmp_ne_u16_e32 vcc, 0, v46
	s_and_saveexec_b64 s[28:29], vcc
	s_cbranch_execz .LBB2_2677
; %bb.2672:                             ;   in Loop: Header=BB2_2671 Depth=3
	v_cmp_ne_u16_e32 vcc, s70, v46
	v_bfrev_b32_e32 v45, 1
	s_and_saveexec_b64 s[34:35], vcc
	s_cbranch_execz .LBB2_2676
; %bb.2673:                             ;   in Loop: Header=BB2_2671 Depth=3
	v_and_b32_e32 v2, 0xffff, v46
	v_and_b32_e32 v36, 0x7f, v2
	v_cmp_ne_u32_e32 vcc, s71, v36
	v_mov_b32_e32 v45, 0x7f800001
	s_and_saveexec_b64 s[36:37], vcc
	s_cbranch_execz .LBB2_2675
; %bb.2674:                             ;   in Loop: Header=BB2_2671 Depth=3
	v_and_b32_e32 v45, 7, v2
	v_lshrrev_b32_e32 v59, 3, v36
	v_cmp_gt_u32_e32 vcc, 8, v36
	v_ffbh_u32_e32 v36, v45
	v_min_u32_e32 v36, 32, v36
	v_subrev_u32_e32 v57, 28, v36
	v_lshlrev_b64 v[57:58], v57, v[2:3]
	v_sub_u32_e32 v2, 29, v36
	v_and_b32_e32 v36, 7, v57
	v_cndmask_b32_e32 v2, v59, v2, vcc
	v_cndmask_b32_e32 v36, v45, v36, vcc
	v_lshlrev_b32_e32 v45, 24, v46
	v_lshlrev_b32_e32 v36, 20, v36
	v_and_b32_e32 v45, 0x80000000, v45
	v_lshl_add_u32 v2, v2, 23, v49
	v_or3_b32 v45, v45, v2, v36
.LBB2_2675:                             ;   in Loop: Header=BB2_2671 Depth=3
	s_or_b64 exec, exec, s[36:37]
.LBB2_2676:                             ;   in Loop: Header=BB2_2671 Depth=3
	s_or_b64 exec, exec, s[34:35]
.LBB2_2677:                             ;   in Loop: Header=BB2_2671 Depth=3
	s_or_b64 exec, exec, s[28:29]
	v_and_b32_e32 v2, 0xff, v31
	v_cmp_ne_u16_e32 vcc, 0, v2
	s_and_saveexec_b64 s[28:29], vcc
	s_cbranch_execz .LBB2_2683
; %bb.2678:                             ;   in Loop: Header=BB2_2671 Depth=3
	v_cmp_ne_u16_e32 vcc, s70, v2
	v_bfrev_b32_e32 v44, 1
	s_and_saveexec_b64 s[34:35], vcc
	s_cbranch_execz .LBB2_2682
; %bb.2679:                             ;   in Loop: Header=BB2_2671 Depth=3
	v_and_b32_e32 v36, 0x7f, v31
	v_cmp_ne_u32_e32 vcc, s71, v36
	v_mov_b32_e32 v44, 0x7f800001
	s_and_saveexec_b64 s[36:37], vcc
	s_cbranch_execz .LBB2_2681
; %bb.2680:                             ;   in Loop: Header=BB2_2671 Depth=3
	v_and_b32_e32 v44, 7, v2
	v_lshrrev_b32_e32 v46, 3, v36
	v_cmp_gt_u32_e32 vcc, 8, v36
	v_ffbh_u32_e32 v36, v44
	v_min_u32_e32 v36, 32, v36
	v_subrev_u32_e32 v57, 28, v36
	v_lshlrev_b64 v[57:58], v57, v[2:3]
	v_sub_u32_e32 v2, 29, v36
	v_and_b32_e32 v36, 7, v57
	v_cndmask_b32_e32 v2, v46, v2, vcc
	v_cndmask_b32_e32 v36, v44, v36, vcc
	v_lshlrev_b32_e32 v31, 24, v31
	v_lshlrev_b32_e32 v36, 20, v36
	v_and_b32_e32 v31, 0x80000000, v31
	v_lshl_add_u32 v2, v2, 23, v49
	v_or3_b32 v44, v31, v2, v36
.LBB2_2681:                             ;   in Loop: Header=BB2_2671 Depth=3
	s_or_b64 exec, exec, s[36:37]
.LBB2_2682:                             ;   in Loop: Header=BB2_2671 Depth=3
	s_or_b64 exec, exec, s[34:35]
.LBB2_2683:                             ;   in Loop: Header=BB2_2671 Depth=3
	s_or_b64 exec, exec, s[28:29]
	v_mul_f32_e32 v36, v45, v44
	v_and_b32_e32 v2, 0x7f800000, v36
	v_cmp_ne_u64_e32 vcc, s[62:63], v[2:3]
                                        ; implicit-def: $vgpr31
	s_and_saveexec_b64 s[28:29], vcc
	s_xor_b64 s[34:35], exec, s[28:29]
	s_cbranch_execz .LBB2_2701
; %bb.2684:                             ;   in Loop: Header=BB2_2671 Depth=3
	v_and_b32_e32 v2, 0x7fffffff, v36
	v_cmp_gt_u64_e32 vcc, s[72:73], v[2:3]
	v_and_b32_sdwa v57, v36, s70 dst_sel:DWORD dst_unused:UNUSED_PAD src0_sel:BYTE_3 src1_sel:DWORD
                                        ; implicit-def: $vgpr31
	s_and_saveexec_b64 s[28:29], vcc
	s_xor_b64 s[36:37], exec, s[28:29]
	s_cbranch_execz .LBB2_2698
; %bb.2685:                             ;   in Loop: Header=BB2_2671 Depth=3
	v_cmp_ne_u32_e32 vcc, 0, v36
	v_mov_b32_e32 v31, 0
	s_and_saveexec_b64 s[38:39], vcc
	s_cbranch_execz .LBB2_2697
; %bb.2686:                             ;   in Loop: Header=BB2_2671 Depth=3
	v_bfe_u32 v31, v36, 23, 8
	v_and_b32_e32 v2, 0x7fffff, v36
	v_cmp_gt_u32_e64 s[28:29], s80, v31
	v_sub_u32_e32 v36, 0x79, v31
	v_cmp_eq_u32_e32 vcc, 0, v31
	v_cndmask_b32_e64 v36, 0, v36, s[28:29]
	v_or_b32_e32 v44, 0x800000, v2
	v_cndmask_b32_e32 v36, v36, v1, vcc
	v_cndmask_b32_e32 v2, v44, v2, vcc
	v_add_u32_e32 v44, 20, v36
	v_lshlrev_b64 v[44:45], v44, -1
	v_add_u32_e32 v46, 19, v36
	v_lshlrev_b64 v[58:59], v46, 1
	v_bfi_b32 v45, v45, 0, 0
	v_bfi_b32 v44, v44, 0, v2
	v_cmp_eq_u64_e64 s[28:29], v[44:45], v[58:59]
	v_lshrrev_b64 v[44:45], v36, v[2:3]
	v_mov_b32_e32 v46, v45
	v_mov_b32_e32 v45, v44
	s_and_saveexec_b64 s[48:49], s[28:29]
; %bb.2687:                             ;   in Loop: Header=BB2_2671 Depth=3
	v_bfe_u32 v2, v44, 20, 1
	v_add_co_u32_e64 v2, s[28:29], v44, v2
	v_add_co_u32_e64 v45, s[28:29], -1, v2
; %bb.2688:                             ;   in Loop: Header=BB2_2671 Depth=3
	s_or_b64 exec, exec, s[48:49]
	v_add_u32_e32 v2, 0xffffff81, v31
	v_cndmask_b32_e32 v2, v2, v0, vcc
	v_lshrrev_b32_e32 v31, 23, v44
	v_add3_u32 v46, v36, v2, v31
	v_add_u32_e32 v31, 6, v46
	v_and_b32_e32 v2, 0xfffff, v45
	v_add_u32_e32 v2, v2, v44
	v_cmp_ne_u32_e32 vcc, 0, v31
                                        ; implicit-def: $vgpr44_vgpr45
                                        ; implicit-def: $vgpr36
	s_and_saveexec_b64 s[28:29], vcc
	s_xor_b64 s[28:29], exec, s[28:29]
; %bb.2689:                             ;   in Loop: Header=BB2_2671 Depth=3
	v_cmp_lt_u64_e32 vcc, s[88:89], v[2:3]
	v_add_u32_e32 v36, 7, v46
	v_cndmask_b32_e32 v36, v31, v36, vcc
	v_cndmask_b32_e64 v31, 0, 1, vcc
	v_lshrrev_b64 v[44:45], v31, v[2:3]
; %bb.2690:                             ;   in Loop: Header=BB2_2671 Depth=3
	s_andn2_saveexec_b64 s[28:29], s[28:29]
; %bb.2691:                             ;   in Loop: Header=BB2_2671 Depth=3
	v_mov_b32_e32 v45, v3
	v_bfe_u32 v36, v2, 23, 1
	v_mov_b32_e32 v44, v2
; %bb.2692:                             ;   in Loop: Header=BB2_2671 Depth=3
	s_or_b64 exec, exec, s[28:29]
	v_lshrrev_b64 v[44:45], 20, v[44:45]
	v_cmp_gt_i32_e32 vcc, 16, v36
	v_cndmask_b32_e32 v45, 0, v45, vcc
	v_cndmask_b32_e32 v44, 7, v44, vcc
	v_cmp_ne_u64_e32 vcc, 0, v[44:45]
	v_cmp_ne_u32_e64 s[28:29], 0, v36
	s_or_b64 s[28:29], s[28:29], vcc
                                        ; implicit-def: $vgpr31
	s_and_saveexec_b64 s[44:45], s[28:29]
	s_xor_b64 s[28:29], exec, s[44:45]
; %bb.2693:                             ;   in Loop: Header=BB2_2671 Depth=3
	v_min_i32_e32 v2, 15, v36
	v_lshl_or_b32 v2, v2, 3, v57
	v_and_or_b32 v31, v44, 7, v2
                                        ; implicit-def: $vgpr57
; %bb.2694:                             ;   in Loop: Header=BB2_2671 Depth=3
	s_andn2_saveexec_b64 s[28:29], s[28:29]
; %bb.2695:                             ;   in Loop: Header=BB2_2671 Depth=3
	v_mov_b32_e32 v31, v57
; %bb.2696:                             ;   in Loop: Header=BB2_2671 Depth=3
	s_or_b64 exec, exec, s[28:29]
.LBB2_2697:                             ;   in Loop: Header=BB2_2671 Depth=3
	s_or_b64 exec, exec, s[38:39]
                                        ; implicit-def: $vgpr57
.LBB2_2698:                             ;   in Loop: Header=BB2_2671 Depth=3
	s_andn2_saveexec_b64 s[28:29], s[36:37]
; %bb.2699:                             ;   in Loop: Header=BB2_2671 Depth=3
	v_or_b32_e32 v31, 0x7e, v57
; %bb.2700:                             ;   in Loop: Header=BB2_2671 Depth=3
	s_or_b64 exec, exec, s[28:29]
                                        ; implicit-def: $vgpr36
.LBB2_2701:                             ;   in Loop: Header=BB2_2671 Depth=3
	s_andn2_saveexec_b64 s[28:29], s[34:35]
; %bb.2702:                             ;   in Loop: Header=BB2_2671 Depth=3
	v_or_b32_sdwa v31, v36, s71 dst_sel:DWORD dst_unused:UNUSED_PAD src0_sel:BYTE_3 src1_sel:DWORD
; %bb.2703:                             ;   in Loop: Header=BB2_2671 Depth=3
	s_or_b64 exec, exec, s[28:29]
	v_and_b32_e32 v2, 0xff, v56
	v_cmp_ne_u16_e32 vcc, 0, v2
	v_mov_b32_e32 v44, 0
	v_mov_b32_e32 v45, 0
	s_and_saveexec_b64 s[28:29], vcc
	s_cbranch_execz .LBB2_2709
; %bb.2704:                             ;   in Loop: Header=BB2_2671 Depth=3
	v_cmp_ne_u16_e32 vcc, s70, v2
	v_bfrev_b32_e32 v45, 1
	s_and_saveexec_b64 s[34:35], vcc
	s_cbranch_execz .LBB2_2708
; %bb.2705:                             ;   in Loop: Header=BB2_2671 Depth=3
	v_and_b32_e32 v36, 0x7f, v56
	v_cmp_ne_u32_e32 vcc, s71, v36
	v_mov_b32_e32 v45, 0x7f800001
	s_and_saveexec_b64 s[36:37], vcc
	s_cbranch_execz .LBB2_2707
; %bb.2706:                             ;   in Loop: Header=BB2_2671 Depth=3
	v_and_b32_e32 v57, 7, v2
	v_lshrrev_b32_e32 v58, 3, v36
	v_cmp_gt_u32_e32 vcc, 8, v36
	v_ffbh_u32_e32 v36, v57
	v_min_u32_e32 v36, 32, v36
	v_subrev_u32_e32 v45, 28, v36
	v_lshlrev_b64 v[45:46], v45, v[2:3]
	v_sub_u32_e32 v2, 29, v36
	v_and_b32_e32 v36, 7, v45
	v_cndmask_b32_e32 v2, v58, v2, vcc
	v_cndmask_b32_e32 v36, v57, v36, vcc
	v_lshlrev_b32_e32 v45, 24, v56
	v_lshlrev_b32_e32 v36, 20, v36
	v_and_b32_e32 v45, 0x80000000, v45
	v_lshl_add_u32 v2, v2, 23, v49
	v_or3_b32 v45, v45, v2, v36
.LBB2_2707:                             ;   in Loop: Header=BB2_2671 Depth=3
	s_or_b64 exec, exec, s[36:37]
.LBB2_2708:                             ;   in Loop: Header=BB2_2671 Depth=3
	s_or_b64 exec, exec, s[34:35]
.LBB2_2709:                             ;   in Loop: Header=BB2_2671 Depth=3
	s_or_b64 exec, exec, s[28:29]
	v_and_b32_e32 v2, 0xff, v37
	v_cmp_ne_u16_e32 vcc, 0, v2
	s_and_saveexec_b64 s[28:29], vcc
	s_cbranch_execz .LBB2_2715
; %bb.2710:                             ;   in Loop: Header=BB2_2671 Depth=3
	v_cmp_ne_u16_e32 vcc, s70, v2
	v_bfrev_b32_e32 v44, 1
	s_and_saveexec_b64 s[34:35], vcc
	s_cbranch_execz .LBB2_2714
; %bb.2711:                             ;   in Loop: Header=BB2_2671 Depth=3
	v_and_b32_e32 v36, 0x7f, v37
	v_cmp_ne_u32_e32 vcc, s71, v36
	v_mov_b32_e32 v44, 0x7f800001
	s_and_saveexec_b64 s[36:37], vcc
	s_cbranch_execz .LBB2_2713
; %bb.2712:                             ;   in Loop: Header=BB2_2671 Depth=3
	v_and_b32_e32 v44, 7, v2
	v_lshrrev_b32_e32 v46, 3, v36
	v_cmp_gt_u32_e32 vcc, 8, v36
	v_ffbh_u32_e32 v36, v44
	v_min_u32_e32 v36, 32, v36
	v_subrev_u32_e32 v56, 28, v36
	v_lshlrev_b64 v[56:57], v56, v[2:3]
	v_sub_u32_e32 v2, 29, v36
	v_and_b32_e32 v36, 7, v56
	v_cndmask_b32_e32 v2, v46, v2, vcc
	v_cndmask_b32_e32 v36, v44, v36, vcc
	v_lshlrev_b32_e32 v37, 24, v37
	v_lshlrev_b32_e32 v36, 20, v36
	v_and_b32_e32 v37, 0x80000000, v37
	v_lshl_add_u32 v2, v2, 23, v49
	v_or3_b32 v44, v37, v2, v36
.LBB2_2713:                             ;   in Loop: Header=BB2_2671 Depth=3
	s_or_b64 exec, exec, s[36:37]
.LBB2_2714:                             ;   in Loop: Header=BB2_2671 Depth=3
	s_or_b64 exec, exec, s[34:35]
.LBB2_2715:                             ;   in Loop: Header=BB2_2671 Depth=3
	s_or_b64 exec, exec, s[28:29]
	v_mul_f32_e32 v36, v45, v44
	v_and_b32_e32 v2, 0x7f800000, v36
	v_cmp_ne_u64_e32 vcc, s[62:63], v[2:3]
                                        ; implicit-def: $vgpr37
	s_and_saveexec_b64 s[28:29], vcc
	s_xor_b64 s[34:35], exec, s[28:29]
	s_cbranch_execz .LBB2_2733
; %bb.2716:                             ;   in Loop: Header=BB2_2671 Depth=3
	v_and_b32_e32 v2, 0x7fffffff, v36
	v_cmp_gt_u64_e32 vcc, s[72:73], v[2:3]
	v_and_b32_sdwa v56, v36, s70 dst_sel:DWORD dst_unused:UNUSED_PAD src0_sel:BYTE_3 src1_sel:DWORD
                                        ; implicit-def: $vgpr37
	s_and_saveexec_b64 s[28:29], vcc
	s_xor_b64 s[36:37], exec, s[28:29]
	s_cbranch_execz .LBB2_2730
; %bb.2717:                             ;   in Loop: Header=BB2_2671 Depth=3
	v_cmp_ne_u32_e32 vcc, 0, v36
	v_mov_b32_e32 v37, 0
	s_and_saveexec_b64 s[38:39], vcc
	s_cbranch_execz .LBB2_2729
; %bb.2718:                             ;   in Loop: Header=BB2_2671 Depth=3
	v_bfe_u32 v37, v36, 23, 8
	v_and_b32_e32 v2, 0x7fffff, v36
	v_cmp_gt_u32_e64 s[28:29], s80, v37
	v_sub_u32_e32 v36, 0x79, v37
	v_cmp_eq_u32_e32 vcc, 0, v37
	v_cndmask_b32_e64 v36, 0, v36, s[28:29]
	v_or_b32_e32 v44, 0x800000, v2
	v_cndmask_b32_e32 v36, v36, v1, vcc
	v_cndmask_b32_e32 v2, v44, v2, vcc
	v_add_u32_e32 v44, 20, v36
	v_lshlrev_b64 v[44:45], v44, -1
	v_add_u32_e32 v46, 19, v36
	v_lshlrev_b64 v[57:58], v46, 1
	v_bfi_b32 v45, v45, 0, 0
	v_bfi_b32 v44, v44, 0, v2
	v_cmp_eq_u64_e64 s[28:29], v[44:45], v[57:58]
	v_lshrrev_b64 v[44:45], v36, v[2:3]
	v_mov_b32_e32 v46, v45
	v_mov_b32_e32 v45, v44
	s_and_saveexec_b64 s[48:49], s[28:29]
; %bb.2719:                             ;   in Loop: Header=BB2_2671 Depth=3
	v_bfe_u32 v2, v44, 20, 1
	v_add_co_u32_e64 v2, s[28:29], v44, v2
	v_add_co_u32_e64 v45, s[28:29], -1, v2
; %bb.2720:                             ;   in Loop: Header=BB2_2671 Depth=3
	s_or_b64 exec, exec, s[48:49]
	v_add_u32_e32 v2, 0xffffff81, v37
	v_cndmask_b32_e32 v2, v2, v0, vcc
	v_lshrrev_b32_e32 v37, 23, v44
	v_add3_u32 v46, v36, v2, v37
	v_add_u32_e32 v37, 6, v46
	v_and_b32_e32 v2, 0xfffff, v45
	v_add_u32_e32 v2, v2, v44
	v_cmp_ne_u32_e32 vcc, 0, v37
                                        ; implicit-def: $vgpr44_vgpr45
                                        ; implicit-def: $vgpr36
	s_and_saveexec_b64 s[28:29], vcc
	s_xor_b64 s[28:29], exec, s[28:29]
; %bb.2721:                             ;   in Loop: Header=BB2_2671 Depth=3
	v_cmp_lt_u64_e32 vcc, s[88:89], v[2:3]
	v_add_u32_e32 v36, 7, v46
	v_cndmask_b32_e32 v36, v37, v36, vcc
	v_cndmask_b32_e64 v37, 0, 1, vcc
	v_lshrrev_b64 v[44:45], v37, v[2:3]
; %bb.2722:                             ;   in Loop: Header=BB2_2671 Depth=3
	s_andn2_saveexec_b64 s[28:29], s[28:29]
; %bb.2723:                             ;   in Loop: Header=BB2_2671 Depth=3
	v_mov_b32_e32 v45, v3
	v_bfe_u32 v36, v2, 23, 1
	v_mov_b32_e32 v44, v2
; %bb.2724:                             ;   in Loop: Header=BB2_2671 Depth=3
	s_or_b64 exec, exec, s[28:29]
	v_lshrrev_b64 v[44:45], 20, v[44:45]
	v_cmp_gt_i32_e32 vcc, 16, v36
	v_cndmask_b32_e32 v45, 0, v45, vcc
	v_cndmask_b32_e32 v44, 7, v44, vcc
	v_cmp_ne_u64_e32 vcc, 0, v[44:45]
	v_cmp_ne_u32_e64 s[28:29], 0, v36
	s_or_b64 s[28:29], s[28:29], vcc
                                        ; implicit-def: $vgpr37
	s_and_saveexec_b64 s[44:45], s[28:29]
	s_xor_b64 s[28:29], exec, s[44:45]
; %bb.2725:                             ;   in Loop: Header=BB2_2671 Depth=3
	v_min_i32_e32 v2, 15, v36
	v_lshl_or_b32 v2, v2, 3, v56
	v_and_or_b32 v37, v44, 7, v2
                                        ; implicit-def: $vgpr56
; %bb.2726:                             ;   in Loop: Header=BB2_2671 Depth=3
	s_andn2_saveexec_b64 s[28:29], s[28:29]
; %bb.2727:                             ;   in Loop: Header=BB2_2671 Depth=3
	v_mov_b32_e32 v37, v56
; %bb.2728:                             ;   in Loop: Header=BB2_2671 Depth=3
	s_or_b64 exec, exec, s[28:29]
.LBB2_2729:                             ;   in Loop: Header=BB2_2671 Depth=3
	s_or_b64 exec, exec, s[38:39]
                                        ; implicit-def: $vgpr56
.LBB2_2730:                             ;   in Loop: Header=BB2_2671 Depth=3
	s_andn2_saveexec_b64 s[28:29], s[36:37]
; %bb.2731:                             ;   in Loop: Header=BB2_2671 Depth=3
	v_or_b32_e32 v37, 0x7e, v56
; %bb.2732:                             ;   in Loop: Header=BB2_2671 Depth=3
	s_or_b64 exec, exec, s[28:29]
                                        ; implicit-def: $vgpr36
.LBB2_2733:                             ;   in Loop: Header=BB2_2671 Depth=3
	s_andn2_saveexec_b64 s[28:29], s[34:35]
; %bb.2734:                             ;   in Loop: Header=BB2_2671 Depth=3
	v_or_b32_sdwa v37, v36, s71 dst_sel:DWORD dst_unused:UNUSED_PAD src0_sel:BYTE_3 src1_sel:DWORD
; %bb.2735:                             ;   in Loop: Header=BB2_2671 Depth=3
	s_or_b64 exec, exec, s[28:29]
	v_and_b32_e32 v2, 0xff, v41
	v_cmp_ne_u16_e32 vcc, 0, v2
	v_mov_b32_e32 v44, 0
	v_mov_b32_e32 v45, 0
	s_and_saveexec_b64 s[28:29], vcc
	s_cbranch_execz .LBB2_2741
; %bb.2736:                             ;   in Loop: Header=BB2_2671 Depth=3
	v_cmp_ne_u16_e32 vcc, s70, v2
	v_bfrev_b32_e32 v45, 1
	s_and_saveexec_b64 s[34:35], vcc
	s_cbranch_execz .LBB2_2740
; %bb.2737:                             ;   in Loop: Header=BB2_2671 Depth=3
	v_and_b32_e32 v36, 0x7f, v41
	v_cmp_ne_u32_e32 vcc, s71, v36
	v_mov_b32_e32 v45, 0x7f800001
	s_and_saveexec_b64 s[36:37], vcc
	s_cbranch_execz .LBB2_2739
; %bb.2738:                             ;   in Loop: Header=BB2_2671 Depth=3
	v_and_b32_e32 v56, 7, v2
	v_lshrrev_b32_e32 v57, 3, v36
	v_cmp_gt_u32_e32 vcc, 8, v36
	v_ffbh_u32_e32 v36, v56
	v_min_u32_e32 v36, 32, v36
	v_subrev_u32_e32 v45, 28, v36
	v_lshlrev_b64 v[45:46], v45, v[2:3]
	v_sub_u32_e32 v2, 29, v36
	v_and_b32_e32 v36, 7, v45
	v_cndmask_b32_e32 v2, v57, v2, vcc
	v_cndmask_b32_e32 v36, v56, v36, vcc
	v_lshlrev_b32_e32 v41, 24, v41
	v_lshlrev_b32_e32 v36, 20, v36
	v_and_b32_e32 v41, 0x80000000, v41
	v_lshl_add_u32 v2, v2, 23, v49
	v_or3_b32 v45, v41, v2, v36
.LBB2_2739:                             ;   in Loop: Header=BB2_2671 Depth=3
	s_or_b64 exec, exec, s[36:37]
.LBB2_2740:                             ;   in Loop: Header=BB2_2671 Depth=3
	s_or_b64 exec, exec, s[34:35]
.LBB2_2741:                             ;   in Loop: Header=BB2_2671 Depth=3
	s_or_b64 exec, exec, s[28:29]
	v_and_b32_e32 v2, 0xff, v53
	v_cmp_ne_u16_e32 vcc, 0, v2
	s_and_saveexec_b64 s[28:29], vcc
	s_cbranch_execz .LBB2_2747
; %bb.2742:                             ;   in Loop: Header=BB2_2671 Depth=3
	v_cmp_ne_u16_e32 vcc, s70, v2
	v_bfrev_b32_e32 v44, 1
	s_and_saveexec_b64 s[34:35], vcc
	s_cbranch_execz .LBB2_2746
; %bb.2743:                             ;   in Loop: Header=BB2_2671 Depth=3
	v_and_b32_e32 v36, 0x7f, v53
	v_cmp_ne_u32_e32 vcc, s71, v36
	v_mov_b32_e32 v44, 0x7f800001
	s_and_saveexec_b64 s[36:37], vcc
	s_cbranch_execz .LBB2_2745
; %bb.2744:                             ;   in Loop: Header=BB2_2671 Depth=3
	v_and_b32_e32 v41, 7, v2
	v_lshrrev_b32_e32 v44, 3, v36
	v_cmp_gt_u32_e32 vcc, 8, v36
	v_ffbh_u32_e32 v36, v41
	v_min_u32_e32 v36, 32, v36
	v_subrev_u32_e32 v46, 28, v36
	v_lshlrev_b64 v[56:57], v46, v[2:3]
	v_sub_u32_e32 v2, 29, v36
	v_and_b32_e32 v36, 7, v56
	v_cndmask_b32_e32 v2, v44, v2, vcc
	v_cndmask_b32_e32 v36, v41, v36, vcc
	v_lshlrev_b32_e32 v53, 24, v53
	v_lshlrev_b32_e32 v36, 20, v36
	v_and_b32_e32 v53, 0x80000000, v53
	v_lshl_add_u32 v2, v2, 23, v49
	v_or3_b32 v44, v53, v2, v36
.LBB2_2745:                             ;   in Loop: Header=BB2_2671 Depth=3
	s_or_b64 exec, exec, s[36:37]
.LBB2_2746:                             ;   in Loop: Header=BB2_2671 Depth=3
	s_or_b64 exec, exec, s[34:35]
.LBB2_2747:                             ;   in Loop: Header=BB2_2671 Depth=3
	s_or_b64 exec, exec, s[28:29]
	v_mul_f32_e32 v36, v45, v44
	v_and_b32_e32 v2, 0x7f800000, v36
	v_cmp_ne_u64_e32 vcc, s[62:63], v[2:3]
                                        ; implicit-def: $vgpr53
	s_and_saveexec_b64 s[28:29], vcc
	s_xor_b64 s[34:35], exec, s[28:29]
	s_cbranch_execz .LBB2_2765
; %bb.2748:                             ;   in Loop: Header=BB2_2671 Depth=3
	v_and_b32_e32 v2, 0x7fffffff, v36
	v_cmp_gt_u64_e32 vcc, s[72:73], v[2:3]
	v_and_b32_sdwa v41, v36, s70 dst_sel:DWORD dst_unused:UNUSED_PAD src0_sel:BYTE_3 src1_sel:DWORD
                                        ; implicit-def: $vgpr53
	s_and_saveexec_b64 s[28:29], vcc
	s_xor_b64 s[36:37], exec, s[28:29]
	s_cbranch_execz .LBB2_2762
; %bb.2749:                             ;   in Loop: Header=BB2_2671 Depth=3
	v_cmp_ne_u32_e32 vcc, 0, v36
	v_mov_b32_e32 v53, 0
	s_and_saveexec_b64 s[38:39], vcc
	s_cbranch_execz .LBB2_2761
; %bb.2750:                             ;   in Loop: Header=BB2_2671 Depth=3
	v_bfe_u32 v53, v36, 23, 8
	v_and_b32_e32 v2, 0x7fffff, v36
	v_cmp_gt_u32_e64 s[28:29], s80, v53
	v_sub_u32_e32 v36, 0x79, v53
	v_cmp_eq_u32_e32 vcc, 0, v53
	v_cndmask_b32_e64 v36, 0, v36, s[28:29]
	v_or_b32_e32 v44, 0x800000, v2
	v_cndmask_b32_e32 v36, v36, v1, vcc
	v_cndmask_b32_e32 v2, v44, v2, vcc
	v_add_u32_e32 v44, 20, v36
	v_lshlrev_b64 v[44:45], v44, -1
	v_add_u32_e32 v46, 19, v36
	v_lshlrev_b64 v[56:57], v46, 1
	v_bfi_b32 v45, v45, 0, 0
	v_bfi_b32 v44, v44, 0, v2
	v_cmp_eq_u64_e64 s[28:29], v[44:45], v[56:57]
	v_lshrrev_b64 v[44:45], v36, v[2:3]
	v_mov_b32_e32 v46, v45
	v_mov_b32_e32 v45, v44
	s_and_saveexec_b64 s[48:49], s[28:29]
; %bb.2751:                             ;   in Loop: Header=BB2_2671 Depth=3
	v_bfe_u32 v2, v44, 20, 1
	v_add_co_u32_e64 v2, s[28:29], v44, v2
	v_add_co_u32_e64 v45, s[28:29], -1, v2
; %bb.2752:                             ;   in Loop: Header=BB2_2671 Depth=3
	s_or_b64 exec, exec, s[48:49]
	v_add_u32_e32 v2, 0xffffff81, v53
	v_cndmask_b32_e32 v2, v2, v0, vcc
	v_lshrrev_b32_e32 v53, 23, v44
	v_add3_u32 v46, v36, v2, v53
	v_add_u32_e32 v53, 6, v46
	v_and_b32_e32 v2, 0xfffff, v45
	v_add_u32_e32 v2, v2, v44
	v_cmp_ne_u32_e32 vcc, 0, v53
                                        ; implicit-def: $vgpr44_vgpr45
                                        ; implicit-def: $vgpr36
	s_and_saveexec_b64 s[28:29], vcc
	s_xor_b64 s[28:29], exec, s[28:29]
; %bb.2753:                             ;   in Loop: Header=BB2_2671 Depth=3
	v_cmp_lt_u64_e32 vcc, s[88:89], v[2:3]
	v_add_u32_e32 v36, 7, v46
	v_cndmask_b32_e32 v36, v53, v36, vcc
	v_cndmask_b32_e64 v53, 0, 1, vcc
	v_lshrrev_b64 v[44:45], v53, v[2:3]
; %bb.2754:                             ;   in Loop: Header=BB2_2671 Depth=3
	s_andn2_saveexec_b64 s[28:29], s[28:29]
; %bb.2755:                             ;   in Loop: Header=BB2_2671 Depth=3
	v_mov_b32_e32 v45, v3
	v_bfe_u32 v36, v2, 23, 1
	v_mov_b32_e32 v44, v2
; %bb.2756:                             ;   in Loop: Header=BB2_2671 Depth=3
	s_or_b64 exec, exec, s[28:29]
	v_lshrrev_b64 v[44:45], 20, v[44:45]
	v_cmp_gt_i32_e32 vcc, 16, v36
	v_cndmask_b32_e32 v45, 0, v45, vcc
	v_cndmask_b32_e32 v44, 7, v44, vcc
	v_cmp_ne_u64_e32 vcc, 0, v[44:45]
	v_cmp_ne_u32_e64 s[28:29], 0, v36
	s_or_b64 s[28:29], s[28:29], vcc
                                        ; implicit-def: $vgpr53
	s_and_saveexec_b64 s[44:45], s[28:29]
	s_xor_b64 s[28:29], exec, s[44:45]
; %bb.2757:                             ;   in Loop: Header=BB2_2671 Depth=3
	v_min_i32_e32 v2, 15, v36
	v_lshl_or_b32 v2, v2, 3, v41
	v_and_or_b32 v53, v44, 7, v2
                                        ; implicit-def: $vgpr41
; %bb.2758:                             ;   in Loop: Header=BB2_2671 Depth=3
	s_andn2_saveexec_b64 s[28:29], s[28:29]
; %bb.2759:                             ;   in Loop: Header=BB2_2671 Depth=3
	v_mov_b32_e32 v53, v41
; %bb.2760:                             ;   in Loop: Header=BB2_2671 Depth=3
	s_or_b64 exec, exec, s[28:29]
.LBB2_2761:                             ;   in Loop: Header=BB2_2671 Depth=3
	s_or_b64 exec, exec, s[38:39]
                                        ; implicit-def: $vgpr41
.LBB2_2762:                             ;   in Loop: Header=BB2_2671 Depth=3
	s_andn2_saveexec_b64 s[28:29], s[36:37]
; %bb.2763:                             ;   in Loop: Header=BB2_2671 Depth=3
	v_or_b32_e32 v53, 0x7e, v41
; %bb.2764:                             ;   in Loop: Header=BB2_2671 Depth=3
	s_or_b64 exec, exec, s[28:29]
                                        ; implicit-def: $vgpr36
.LBB2_2765:                             ;   in Loop: Header=BB2_2671 Depth=3
	s_andn2_saveexec_b64 s[28:29], s[34:35]
; %bb.2766:                             ;   in Loop: Header=BB2_2671 Depth=3
	v_or_b32_sdwa v53, v36, s71 dst_sel:DWORD dst_unused:UNUSED_PAD src0_sel:BYTE_3 src1_sel:DWORD
; %bb.2767:                             ;   in Loop: Header=BB2_2671 Depth=3
	s_or_b64 exec, exec, s[28:29]
	v_and_b32_e32 v2, 0xff, v25
	v_cmp_ne_u16_e32 vcc, 0, v2
	v_mov_b32_e32 v41, 0
	v_mov_b32_e32 v44, 0
	s_and_saveexec_b64 s[28:29], vcc
	s_cbranch_execz .LBB2_2773
; %bb.2768:                             ;   in Loop: Header=BB2_2671 Depth=3
	v_cmp_ne_u16_e32 vcc, s70, v2
	v_bfrev_b32_e32 v44, 1
	s_and_saveexec_b64 s[34:35], vcc
	s_cbranch_execz .LBB2_2772
; %bb.2769:                             ;   in Loop: Header=BB2_2671 Depth=3
	v_and_b32_e32 v36, 0x7f, v25
	v_cmp_ne_u32_e32 vcc, s71, v36
	v_mov_b32_e32 v44, 0x7f800001
	s_and_saveexec_b64 s[36:37], vcc
	s_cbranch_execz .LBB2_2771
; %bb.2770:                             ;   in Loop: Header=BB2_2671 Depth=3
	v_and_b32_e32 v46, 7, v2
	v_lshrrev_b32_e32 v56, 3, v36
	v_cmp_gt_u32_e32 vcc, 8, v36
	v_ffbh_u32_e32 v36, v46
	v_min_u32_e32 v36, 32, v36
	v_subrev_u32_e32 v44, 28, v36
	v_lshlrev_b64 v[44:45], v44, v[2:3]
	v_sub_u32_e32 v2, 29, v36
	v_and_b32_e32 v36, 7, v44
	v_cndmask_b32_e32 v2, v56, v2, vcc
	v_cndmask_b32_e32 v36, v46, v36, vcc
	v_lshlrev_b32_e32 v25, 24, v25
	v_lshlrev_b32_e32 v36, 20, v36
	v_and_b32_e32 v25, 0x80000000, v25
	v_lshl_add_u32 v2, v2, 23, v49
	v_or3_b32 v44, v25, v2, v36
.LBB2_2771:                             ;   in Loop: Header=BB2_2671 Depth=3
	s_or_b64 exec, exec, s[36:37]
.LBB2_2772:                             ;   in Loop: Header=BB2_2671 Depth=3
	s_or_b64 exec, exec, s[34:35]
.LBB2_2773:                             ;   in Loop: Header=BB2_2671 Depth=3
	s_or_b64 exec, exec, s[28:29]
	v_and_b32_e32 v2, 0xff, v24
	v_cmp_ne_u16_e32 vcc, 0, v2
	s_and_saveexec_b64 s[28:29], vcc
	s_cbranch_execz .LBB2_2779
; %bb.2774:                             ;   in Loop: Header=BB2_2671 Depth=3
	v_cmp_ne_u16_e32 vcc, s70, v2
	v_bfrev_b32_e32 v41, 1
	s_and_saveexec_b64 s[34:35], vcc
	s_cbranch_execz .LBB2_2778
; %bb.2775:                             ;   in Loop: Header=BB2_2671 Depth=3
	v_and_b32_e32 v25, 0x7f, v24
	v_cmp_ne_u32_e32 vcc, s71, v25
	v_mov_b32_e32 v41, 0x7f800001
	s_and_saveexec_b64 s[36:37], vcc
	s_cbranch_execz .LBB2_2777
; %bb.2776:                             ;   in Loop: Header=BB2_2671 Depth=3
	v_and_b32_e32 v36, 7, v2
	v_lshrrev_b32_e32 v41, 3, v25
	v_cmp_gt_u32_e32 vcc, 8, v25
	v_ffbh_u32_e32 v25, v36
	v_min_u32_e32 v25, 32, v25
	v_subrev_u32_e32 v45, 28, v25
	v_lshlrev_b64 v[45:46], v45, v[2:3]
	v_sub_u32_e32 v2, 29, v25
	v_and_b32_e32 v25, 7, v45
	v_cndmask_b32_e32 v2, v41, v2, vcc
	v_cndmask_b32_e32 v25, v36, v25, vcc
	v_lshlrev_b32_e32 v24, 24, v24
	v_lshlrev_b32_e32 v25, 20, v25
	v_and_b32_e32 v24, 0x80000000, v24
	v_lshl_add_u32 v2, v2, 23, v49
	v_or3_b32 v41, v24, v2, v25
.LBB2_2777:                             ;   in Loop: Header=BB2_2671 Depth=3
	s_or_b64 exec, exec, s[36:37]
.LBB2_2778:                             ;   in Loop: Header=BB2_2671 Depth=3
	s_or_b64 exec, exec, s[34:35]
.LBB2_2779:                             ;   in Loop: Header=BB2_2671 Depth=3
	s_or_b64 exec, exec, s[28:29]
	v_mul_f32_e32 v25, v44, v41
	v_and_b32_e32 v2, 0x7f800000, v25
	v_cmp_ne_u64_e32 vcc, s[62:63], v[2:3]
                                        ; implicit-def: $vgpr41
	s_and_saveexec_b64 s[28:29], vcc
	s_xor_b64 s[34:35], exec, s[28:29]
	s_cbranch_execz .LBB2_2797
; %bb.2780:                             ;   in Loop: Header=BB2_2671 Depth=3
	v_and_b32_e32 v2, 0x7fffffff, v25
	v_cmp_gt_u64_e32 vcc, s[72:73], v[2:3]
	v_and_b32_sdwa v24, v25, s70 dst_sel:DWORD dst_unused:UNUSED_PAD src0_sel:BYTE_3 src1_sel:DWORD
                                        ; implicit-def: $vgpr41
	s_and_saveexec_b64 s[28:29], vcc
	s_xor_b64 s[36:37], exec, s[28:29]
	s_cbranch_execz .LBB2_2794
; %bb.2781:                             ;   in Loop: Header=BB2_2671 Depth=3
	v_cmp_ne_u32_e32 vcc, 0, v25
	v_mov_b32_e32 v41, 0
	s_and_saveexec_b64 s[38:39], vcc
	s_cbranch_execz .LBB2_2793
; %bb.2782:                             ;   in Loop: Header=BB2_2671 Depth=3
	v_and_b32_e32 v2, 0x7fffff, v25
	v_bfe_u32 v25, v25, 23, 8
	v_cmp_gt_u32_e64 s[28:29], s80, v25
	v_sub_u32_e32 v36, 0x79, v25
	v_cmp_eq_u32_e32 vcc, 0, v25
	v_cndmask_b32_e64 v36, 0, v36, s[28:29]
	v_or_b32_e32 v41, 0x800000, v2
	v_cndmask_b32_e32 v36, v36, v1, vcc
	v_cndmask_b32_e32 v2, v41, v2, vcc
	v_add_u32_e32 v41, 20, v36
	v_lshlrev_b64 v[44:45], v41, -1
	v_add_u32_e32 v41, 19, v36
	v_lshlrev_b64 v[56:57], v41, 1
	v_bfi_b32 v45, v45, 0, 0
	v_bfi_b32 v44, v44, 0, v2
	v_cmp_eq_u64_e64 s[28:29], v[44:45], v[56:57]
	v_lshrrev_b64 v[44:45], v36, v[2:3]
	v_mov_b32_e32 v46, v45
	v_mov_b32_e32 v45, v44
	s_and_saveexec_b64 s[48:49], s[28:29]
; %bb.2783:                             ;   in Loop: Header=BB2_2671 Depth=3
	v_bfe_u32 v2, v44, 20, 1
	v_add_co_u32_e64 v2, s[28:29], v44, v2
	v_add_co_u32_e64 v45, s[28:29], -1, v2
; %bb.2784:                             ;   in Loop: Header=BB2_2671 Depth=3
	s_or_b64 exec, exec, s[48:49]
	v_add_u32_e32 v2, 0xffffff81, v25
	v_cndmask_b32_e32 v2, v2, v0, vcc
	v_lshrrev_b32_e32 v25, 23, v44
	v_add3_u32 v41, v36, v2, v25
	v_add_u32_e32 v36, 6, v41
	v_and_b32_e32 v2, 0xfffff, v45
	v_add_u32_e32 v2, v2, v44
	v_cmp_ne_u32_e32 vcc, 0, v36
                                        ; implicit-def: $vgpr44_vgpr45
                                        ; implicit-def: $vgpr25
	s_and_saveexec_b64 s[28:29], vcc
	s_xor_b64 s[28:29], exec, s[28:29]
; %bb.2785:                             ;   in Loop: Header=BB2_2671 Depth=3
	v_cmp_lt_u64_e32 vcc, s[88:89], v[2:3]
	v_add_u32_e32 v25, 7, v41
	v_cndmask_b32_e32 v25, v36, v25, vcc
	v_cndmask_b32_e64 v36, 0, 1, vcc
	v_lshrrev_b64 v[44:45], v36, v[2:3]
; %bb.2786:                             ;   in Loop: Header=BB2_2671 Depth=3
	s_andn2_saveexec_b64 s[28:29], s[28:29]
; %bb.2787:                             ;   in Loop: Header=BB2_2671 Depth=3
	v_mov_b32_e32 v45, v3
	v_bfe_u32 v25, v2, 23, 1
	v_mov_b32_e32 v44, v2
; %bb.2788:                             ;   in Loop: Header=BB2_2671 Depth=3
	s_or_b64 exec, exec, s[28:29]
	v_lshrrev_b64 v[44:45], 20, v[44:45]
	v_cmp_gt_i32_e32 vcc, 16, v25
	v_cndmask_b32_e32 v45, 0, v45, vcc
	v_cndmask_b32_e32 v44, 7, v44, vcc
	v_cmp_ne_u64_e32 vcc, 0, v[44:45]
	v_cmp_ne_u32_e64 s[28:29], 0, v25
	s_or_b64 s[28:29], s[28:29], vcc
                                        ; implicit-def: $vgpr41
	s_and_saveexec_b64 s[44:45], s[28:29]
	s_xor_b64 s[28:29], exec, s[44:45]
; %bb.2789:                             ;   in Loop: Header=BB2_2671 Depth=3
	v_min_i32_e32 v2, 15, v25
	v_lshl_or_b32 v2, v2, 3, v24
	v_and_or_b32 v41, v44, 7, v2
                                        ; implicit-def: $vgpr24
; %bb.2790:                             ;   in Loop: Header=BB2_2671 Depth=3
	s_andn2_saveexec_b64 s[28:29], s[28:29]
; %bb.2791:                             ;   in Loop: Header=BB2_2671 Depth=3
	v_mov_b32_e32 v41, v24
; %bb.2792:                             ;   in Loop: Header=BB2_2671 Depth=3
	s_or_b64 exec, exec, s[28:29]
.LBB2_2793:                             ;   in Loop: Header=BB2_2671 Depth=3
	s_or_b64 exec, exec, s[38:39]
                                        ; implicit-def: $vgpr24
.LBB2_2794:                             ;   in Loop: Header=BB2_2671 Depth=3
	s_andn2_saveexec_b64 s[28:29], s[36:37]
; %bb.2795:                             ;   in Loop: Header=BB2_2671 Depth=3
	v_or_b32_e32 v41, 0x7e, v24
; %bb.2796:                             ;   in Loop: Header=BB2_2671 Depth=3
	s_or_b64 exec, exec, s[28:29]
                                        ; implicit-def: $vgpr25
.LBB2_2797:                             ;   in Loop: Header=BB2_2671 Depth=3
	s_andn2_saveexec_b64 s[28:29], s[34:35]
; %bb.2798:                             ;   in Loop: Header=BB2_2671 Depth=3
	v_or_b32_sdwa v41, v25, s71 dst_sel:DWORD dst_unused:UNUSED_PAD src0_sel:BYTE_3 src1_sel:DWORD
; %bb.2799:                             ;   in Loop: Header=BB2_2671 Depth=3
	s_or_b64 exec, exec, s[28:29]
	v_and_b32_e32 v2, 0xff, v47
	v_cmp_ne_u16_e32 vcc, 0, v2
	v_mov_b32_e32 v24, 0
	v_mov_b32_e32 v25, 0
	s_and_saveexec_b64 s[28:29], vcc
	s_cbranch_execz .LBB2_2805
; %bb.2800:                             ;   in Loop: Header=BB2_2671 Depth=3
	v_cmp_ne_u16_e32 vcc, s70, v2
	v_bfrev_b32_e32 v25, 1
	s_and_saveexec_b64 s[34:35], vcc
	s_cbranch_execz .LBB2_2804
; %bb.2801:                             ;   in Loop: Header=BB2_2671 Depth=3
	v_and_b32_e32 v36, 0x7f, v47
	v_cmp_ne_u32_e32 vcc, s71, v36
	v_mov_b32_e32 v25, 0x7f800001
	s_and_saveexec_b64 s[36:37], vcc
	s_cbranch_execz .LBB2_2803
; %bb.2802:                             ;   in Loop: Header=BB2_2671 Depth=3
	v_and_b32_e32 v25, 7, v2
	v_lshrrev_b32_e32 v46, 3, v36
	v_cmp_gt_u32_e32 vcc, 8, v36
	v_ffbh_u32_e32 v36, v25
	v_min_u32_e32 v36, 32, v36
	v_subrev_u32_e32 v44, 28, v36
	v_lshlrev_b64 v[44:45], v44, v[2:3]
	v_sub_u32_e32 v2, 29, v36
	v_and_b32_e32 v36, 7, v44
	v_cndmask_b32_e32 v2, v46, v2, vcc
	v_cndmask_b32_e32 v25, v25, v36, vcc
	v_lshlrev_b32_e32 v36, 24, v47
	v_lshlrev_b32_e32 v25, 20, v25
	v_and_b32_e32 v36, 0x80000000, v36
	v_lshl_add_u32 v2, v2, 23, v49
	v_or3_b32 v25, v36, v2, v25
.LBB2_2803:                             ;   in Loop: Header=BB2_2671 Depth=3
	s_or_b64 exec, exec, s[36:37]
.LBB2_2804:                             ;   in Loop: Header=BB2_2671 Depth=3
	s_or_b64 exec, exec, s[34:35]
.LBB2_2805:                             ;   in Loop: Header=BB2_2671 Depth=3
	s_or_b64 exec, exec, s[28:29]
	v_and_b32_e32 v2, 0xff, v40
	v_cmp_ne_u16_e32 vcc, 0, v2
	s_and_saveexec_b64 s[28:29], vcc
	s_cbranch_execz .LBB2_2811
; %bb.2806:                             ;   in Loop: Header=BB2_2671 Depth=3
	v_cmp_ne_u16_e32 vcc, s70, v2
	v_bfrev_b32_e32 v24, 1
	s_and_saveexec_b64 s[34:35], vcc
	s_cbranch_execz .LBB2_2810
; %bb.2807:                             ;   in Loop: Header=BB2_2671 Depth=3
	v_and_b32_e32 v36, 0x7f, v40
	v_cmp_ne_u32_e32 vcc, s71, v36
	v_mov_b32_e32 v24, 0x7f800001
	s_and_saveexec_b64 s[36:37], vcc
	s_cbranch_execz .LBB2_2809
; %bb.2808:                             ;   in Loop: Header=BB2_2671 Depth=3
	v_and_b32_e32 v24, 7, v2
	v_lshrrev_b32_e32 v46, 3, v36
	v_cmp_gt_u32_e32 vcc, 8, v36
	v_ffbh_u32_e32 v36, v24
	v_min_u32_e32 v36, 32, v36
	v_subrev_u32_e32 v44, 28, v36
	v_lshlrev_b64 v[44:45], v44, v[2:3]
	v_sub_u32_e32 v2, 29, v36
	v_and_b32_e32 v36, 7, v44
	v_cndmask_b32_e32 v2, v46, v2, vcc
	v_cndmask_b32_e32 v24, v24, v36, vcc
	v_lshlrev_b32_e32 v36, 24, v40
	v_lshlrev_b32_e32 v24, 20, v24
	v_and_b32_e32 v36, 0x80000000, v36
	v_lshl_add_u32 v2, v2, 23, v49
	v_or3_b32 v24, v36, v2, v24
.LBB2_2809:                             ;   in Loop: Header=BB2_2671 Depth=3
	s_or_b64 exec, exec, s[36:37]
.LBB2_2810:                             ;   in Loop: Header=BB2_2671 Depth=3
	s_or_b64 exec, exec, s[34:35]
.LBB2_2811:                             ;   in Loop: Header=BB2_2671 Depth=3
	s_or_b64 exec, exec, s[28:29]
	v_mul_f32_e32 v36, v25, v24
	v_and_b32_e32 v2, 0x7f800000, v36
	v_cmp_ne_u64_e32 vcc, s[62:63], v[2:3]
                                        ; implicit-def: $vgpr24
	s_and_saveexec_b64 s[28:29], vcc
	s_xor_b64 s[34:35], exec, s[28:29]
	s_cbranch_execz .LBB2_2829
; %bb.2812:                             ;   in Loop: Header=BB2_2671 Depth=3
	v_and_b32_e32 v2, 0x7fffffff, v36
	v_cmp_gt_u64_e32 vcc, s[72:73], v[2:3]
	v_and_b32_sdwa v25, v36, s70 dst_sel:DWORD dst_unused:UNUSED_PAD src0_sel:BYTE_3 src1_sel:DWORD
                                        ; implicit-def: $vgpr24
	s_and_saveexec_b64 s[28:29], vcc
	s_xor_b64 s[36:37], exec, s[28:29]
	s_cbranch_execz .LBB2_2826
; %bb.2813:                             ;   in Loop: Header=BB2_2671 Depth=3
	v_cmp_ne_u32_e32 vcc, 0, v36
	v_mov_b32_e32 v24, 0
	s_and_saveexec_b64 s[38:39], vcc
	s_cbranch_execz .LBB2_2825
; %bb.2814:                             ;   in Loop: Header=BB2_2671 Depth=3
	v_bfe_u32 v24, v36, 23, 8
	v_and_b32_e32 v2, 0x7fffff, v36
	v_cmp_gt_u32_e64 s[28:29], s80, v24
	v_sub_u32_e32 v36, 0x79, v24
	v_cmp_eq_u32_e32 vcc, 0, v24
	v_cndmask_b32_e64 v36, 0, v36, s[28:29]
	v_or_b32_e32 v40, 0x800000, v2
	v_cndmask_b32_e32 v36, v36, v1, vcc
	v_cndmask_b32_e32 v2, v40, v2, vcc
	v_add_u32_e32 v40, 20, v36
	v_lshlrev_b64 v[44:45], v40, -1
	v_add_u32_e32 v40, 19, v36
	v_lshlrev_b64 v[46:47], v40, 1
	v_bfi_b32 v45, v45, 0, 0
	v_bfi_b32 v44, v44, 0, v2
	v_cmp_eq_u64_e64 s[28:29], v[44:45], v[46:47]
	v_lshrrev_b64 v[44:45], v36, v[2:3]
	v_mov_b32_e32 v46, v45
	v_mov_b32_e32 v45, v44
	s_and_saveexec_b64 s[48:49], s[28:29]
; %bb.2815:                             ;   in Loop: Header=BB2_2671 Depth=3
	v_bfe_u32 v2, v44, 20, 1
	v_add_co_u32_e64 v2, s[28:29], v44, v2
	v_add_co_u32_e64 v45, s[28:29], -1, v2
; %bb.2816:                             ;   in Loop: Header=BB2_2671 Depth=3
	s_or_b64 exec, exec, s[48:49]
	v_add_u32_e32 v2, 0xffffff81, v24
	v_cndmask_b32_e32 v2, v2, v0, vcc
	v_lshrrev_b32_e32 v24, 23, v44
	v_add3_u32 v40, v36, v2, v24
	v_add_u32_e32 v24, 6, v40
	v_and_b32_e32 v2, 0xfffff, v45
	v_add_u32_e32 v2, v2, v44
	v_cmp_ne_u32_e32 vcc, 0, v24
                                        ; implicit-def: $vgpr44_vgpr45
                                        ; implicit-def: $vgpr36
	s_and_saveexec_b64 s[28:29], vcc
	s_xor_b64 s[28:29], exec, s[28:29]
; %bb.2817:                             ;   in Loop: Header=BB2_2671 Depth=3
	v_cmp_lt_u64_e32 vcc, s[88:89], v[2:3]
	v_add_u32_e32 v36, 7, v40
	v_cndmask_b32_e32 v36, v24, v36, vcc
	v_cndmask_b32_e64 v24, 0, 1, vcc
	v_lshrrev_b64 v[44:45], v24, v[2:3]
; %bb.2818:                             ;   in Loop: Header=BB2_2671 Depth=3
	s_andn2_saveexec_b64 s[28:29], s[28:29]
; %bb.2819:                             ;   in Loop: Header=BB2_2671 Depth=3
	v_mov_b32_e32 v45, v3
	v_bfe_u32 v36, v2, 23, 1
	v_mov_b32_e32 v44, v2
; %bb.2820:                             ;   in Loop: Header=BB2_2671 Depth=3
	s_or_b64 exec, exec, s[28:29]
	v_lshrrev_b64 v[44:45], 20, v[44:45]
	v_cmp_gt_i32_e32 vcc, 16, v36
	v_cndmask_b32_e32 v45, 0, v45, vcc
	v_cndmask_b32_e32 v44, 7, v44, vcc
	v_cmp_ne_u64_e32 vcc, 0, v[44:45]
	v_cmp_ne_u32_e64 s[28:29], 0, v36
	s_or_b64 s[28:29], s[28:29], vcc
                                        ; implicit-def: $vgpr24
	s_and_saveexec_b64 s[44:45], s[28:29]
	s_xor_b64 s[28:29], exec, s[44:45]
; %bb.2821:                             ;   in Loop: Header=BB2_2671 Depth=3
	v_min_i32_e32 v2, 15, v36
	v_lshl_or_b32 v2, v2, 3, v25
	v_and_or_b32 v24, v44, 7, v2
                                        ; implicit-def: $vgpr25
; %bb.2822:                             ;   in Loop: Header=BB2_2671 Depth=3
	s_andn2_saveexec_b64 s[28:29], s[28:29]
; %bb.2823:                             ;   in Loop: Header=BB2_2671 Depth=3
	v_mov_b32_e32 v24, v25
; %bb.2824:                             ;   in Loop: Header=BB2_2671 Depth=3
	s_or_b64 exec, exec, s[28:29]
.LBB2_2825:                             ;   in Loop: Header=BB2_2671 Depth=3
	s_or_b64 exec, exec, s[38:39]
                                        ; implicit-def: $vgpr25
.LBB2_2826:                             ;   in Loop: Header=BB2_2671 Depth=3
	s_andn2_saveexec_b64 s[28:29], s[36:37]
; %bb.2827:                             ;   in Loop: Header=BB2_2671 Depth=3
	v_or_b32_e32 v24, 0x7e, v25
; %bb.2828:                             ;   in Loop: Header=BB2_2671 Depth=3
	s_or_b64 exec, exec, s[28:29]
                                        ; implicit-def: $vgpr36
.LBB2_2829:                             ;   in Loop: Header=BB2_2671 Depth=3
	s_andn2_saveexec_b64 s[28:29], s[34:35]
; %bb.2830:                             ;   in Loop: Header=BB2_2671 Depth=3
	v_or_b32_sdwa v24, v36, s71 dst_sel:DWORD dst_unused:UNUSED_PAD src0_sel:BYTE_3 src1_sel:DWORD
; %bb.2831:                             ;   in Loop: Header=BB2_2671 Depth=3
	s_or_b64 exec, exec, s[28:29]
	v_and_b32_e32 v2, 0xff, v55
	v_cmp_ne_u16_e32 vcc, 0, v2
	v_mov_b32_e32 v25, 0
	v_mov_b32_e32 v40, 0
	s_and_saveexec_b64 s[28:29], vcc
	s_cbranch_execz .LBB2_2837
; %bb.2832:                             ;   in Loop: Header=BB2_2671 Depth=3
	v_cmp_ne_u16_e32 vcc, s70, v2
	v_bfrev_b32_e32 v40, 1
	s_and_saveexec_b64 s[34:35], vcc
	s_cbranch_execz .LBB2_2836
; %bb.2833:                             ;   in Loop: Header=BB2_2671 Depth=3
	v_and_b32_e32 v36, 0x7f, v55
	v_cmp_ne_u32_e32 vcc, s71, v36
	v_mov_b32_e32 v40, 0x7f800001
	s_and_saveexec_b64 s[36:37], vcc
	s_cbranch_execz .LBB2_2835
; %bb.2834:                             ;   in Loop: Header=BB2_2671 Depth=3
	v_and_b32_e32 v40, 7, v2
	v_lshrrev_b32_e32 v46, 3, v36
	v_cmp_gt_u32_e32 vcc, 8, v36
	v_ffbh_u32_e32 v36, v40
	v_min_u32_e32 v36, 32, v36
	v_subrev_u32_e32 v44, 28, v36
	v_lshlrev_b64 v[44:45], v44, v[2:3]
	v_sub_u32_e32 v2, 29, v36
	v_and_b32_e32 v36, 7, v44
	v_cndmask_b32_e32 v2, v46, v2, vcc
	v_cndmask_b32_e32 v36, v40, v36, vcc
	v_lshlrev_b32_e32 v55, 24, v55
	v_lshlrev_b32_e32 v36, 20, v36
	v_and_b32_e32 v55, 0x80000000, v55
	v_lshl_add_u32 v2, v2, 23, v49
	v_or3_b32 v40, v55, v2, v36
.LBB2_2835:                             ;   in Loop: Header=BB2_2671 Depth=3
	s_or_b64 exec, exec, s[36:37]
.LBB2_2836:                             ;   in Loop: Header=BB2_2671 Depth=3
	s_or_b64 exec, exec, s[34:35]
.LBB2_2837:                             ;   in Loop: Header=BB2_2671 Depth=3
	s_or_b64 exec, exec, s[28:29]
	v_and_b32_e32 v2, 0xff, v48
	v_cmp_ne_u16_e32 vcc, 0, v2
	s_and_saveexec_b64 s[28:29], vcc
	s_cbranch_execz .LBB2_2843
; %bb.2838:                             ;   in Loop: Header=BB2_2671 Depth=3
	v_cmp_ne_u16_e32 vcc, s70, v2
	v_bfrev_b32_e32 v25, 1
	s_and_saveexec_b64 s[34:35], vcc
	s_cbranch_execz .LBB2_2842
; %bb.2839:                             ;   in Loop: Header=BB2_2671 Depth=3
	v_and_b32_e32 v36, 0x7f, v48
	v_cmp_ne_u32_e32 vcc, s71, v36
	v_mov_b32_e32 v25, 0x7f800001
	s_and_saveexec_b64 s[36:37], vcc
	s_cbranch_execz .LBB2_2841
; %bb.2840:                             ;   in Loop: Header=BB2_2671 Depth=3
	v_and_b32_e32 v25, 7, v2
	v_lshrrev_b32_e32 v55, 3, v36
	v_cmp_gt_u32_e32 vcc, 8, v36
	v_ffbh_u32_e32 v36, v25
	v_min_u32_e32 v36, 32, v36
	v_subrev_u32_e32 v44, 28, v36
	v_lshlrev_b64 v[44:45], v44, v[2:3]
	v_sub_u32_e32 v2, 29, v36
	v_and_b32_e32 v36, 7, v44
	v_cndmask_b32_e32 v2, v55, v2, vcc
	v_cndmask_b32_e32 v25, v25, v36, vcc
	v_lshlrev_b32_e32 v36, 24, v48
	v_lshlrev_b32_e32 v25, 20, v25
	v_and_b32_e32 v36, 0x80000000, v36
	v_lshl_add_u32 v2, v2, 23, v49
	v_or3_b32 v25, v36, v2, v25
.LBB2_2841:                             ;   in Loop: Header=BB2_2671 Depth=3
	s_or_b64 exec, exec, s[36:37]
.LBB2_2842:                             ;   in Loop: Header=BB2_2671 Depth=3
	s_or_b64 exec, exec, s[34:35]
.LBB2_2843:                             ;   in Loop: Header=BB2_2671 Depth=3
	s_or_b64 exec, exec, s[28:29]
	v_mul_f32_e32 v36, v40, v25
	v_and_b32_e32 v2, 0x7f800000, v36
	v_cmp_ne_u64_e32 vcc, s[62:63], v[2:3]
                                        ; implicit-def: $vgpr25
	s_and_saveexec_b64 s[28:29], vcc
	s_xor_b64 s[34:35], exec, s[28:29]
	s_cbranch_execz .LBB2_2861
; %bb.2844:                             ;   in Loop: Header=BB2_2671 Depth=3
	v_and_b32_e32 v2, 0x7fffffff, v36
	v_cmp_gt_u64_e32 vcc, s[72:73], v[2:3]
	v_and_b32_sdwa v48, v36, s70 dst_sel:DWORD dst_unused:UNUSED_PAD src0_sel:BYTE_3 src1_sel:DWORD
                                        ; implicit-def: $vgpr25
	s_and_saveexec_b64 s[28:29], vcc
	s_xor_b64 s[36:37], exec, s[28:29]
	s_cbranch_execz .LBB2_2858
; %bb.2845:                             ;   in Loop: Header=BB2_2671 Depth=3
	v_cmp_ne_u32_e32 vcc, 0, v36
	v_mov_b32_e32 v25, 0
	s_and_saveexec_b64 s[38:39], vcc
	s_cbranch_execz .LBB2_2857
; %bb.2846:                             ;   in Loop: Header=BB2_2671 Depth=3
	v_bfe_u32 v25, v36, 23, 8
	v_and_b32_e32 v2, 0x7fffff, v36
	v_cmp_gt_u32_e64 s[28:29], s80, v25
	v_sub_u32_e32 v36, 0x79, v25
	v_cmp_eq_u32_e32 vcc, 0, v25
	v_cndmask_b32_e64 v36, 0, v36, s[28:29]
	v_or_b32_e32 v55, 0x800000, v2
	v_cndmask_b32_e32 v36, v36, v1, vcc
	v_cndmask_b32_e32 v2, v55, v2, vcc
	v_add_u32_e32 v55, 20, v36
	v_lshlrev_b64 v[44:45], v55, -1
	v_add_u32_e32 v55, 19, v36
	v_lshlrev_b64 v[46:47], v55, 1
	v_bfi_b32 v45, v45, 0, 0
	v_bfi_b32 v44, v44, 0, v2
	v_cmp_eq_u64_e64 s[28:29], v[44:45], v[46:47]
	v_lshrrev_b64 v[44:45], v36, v[2:3]
	v_mov_b32_e32 v46, v45
	v_mov_b32_e32 v45, v44
	s_and_saveexec_b64 s[48:49], s[28:29]
; %bb.2847:                             ;   in Loop: Header=BB2_2671 Depth=3
	v_bfe_u32 v2, v44, 20, 1
	v_add_co_u32_e64 v2, s[28:29], v44, v2
	v_add_co_u32_e64 v45, s[28:29], -1, v2
; %bb.2848:                             ;   in Loop: Header=BB2_2671 Depth=3
	s_or_b64 exec, exec, s[48:49]
	v_add_u32_e32 v2, 0xffffff81, v25
	v_cndmask_b32_e32 v2, v2, v0, vcc
	v_lshrrev_b32_e32 v25, 23, v44
	v_add3_u32 v55, v36, v2, v25
	v_add_u32_e32 v25, 6, v55
	v_and_b32_e32 v2, 0xfffff, v45
	v_add_u32_e32 v2, v2, v44
	v_cmp_ne_u32_e32 vcc, 0, v25
                                        ; implicit-def: $vgpr44_vgpr45
                                        ; implicit-def: $vgpr36
	s_and_saveexec_b64 s[28:29], vcc
	s_xor_b64 s[28:29], exec, s[28:29]
; %bb.2849:                             ;   in Loop: Header=BB2_2671 Depth=3
	v_cmp_lt_u64_e32 vcc, s[88:89], v[2:3]
	v_add_u32_e32 v36, 7, v55
	v_cndmask_b32_e32 v36, v25, v36, vcc
	v_cndmask_b32_e64 v25, 0, 1, vcc
	v_lshrrev_b64 v[44:45], v25, v[2:3]
; %bb.2850:                             ;   in Loop: Header=BB2_2671 Depth=3
	s_andn2_saveexec_b64 s[28:29], s[28:29]
; %bb.2851:                             ;   in Loop: Header=BB2_2671 Depth=3
	v_mov_b32_e32 v45, v3
	v_bfe_u32 v36, v2, 23, 1
	v_mov_b32_e32 v44, v2
; %bb.2852:                             ;   in Loop: Header=BB2_2671 Depth=3
	s_or_b64 exec, exec, s[28:29]
	v_lshrrev_b64 v[44:45], 20, v[44:45]
	v_cmp_gt_i32_e32 vcc, 16, v36
	v_cndmask_b32_e32 v45, 0, v45, vcc
	v_cndmask_b32_e32 v44, 7, v44, vcc
	v_cmp_ne_u64_e32 vcc, 0, v[44:45]
	v_cmp_ne_u32_e64 s[28:29], 0, v36
	s_or_b64 s[28:29], s[28:29], vcc
                                        ; implicit-def: $vgpr25
	s_and_saveexec_b64 s[44:45], s[28:29]
	s_xor_b64 s[28:29], exec, s[44:45]
; %bb.2853:                             ;   in Loop: Header=BB2_2671 Depth=3
	v_min_i32_e32 v2, 15, v36
	v_lshl_or_b32 v2, v2, 3, v48
	v_and_or_b32 v25, v44, 7, v2
                                        ; implicit-def: $vgpr48
; %bb.2854:                             ;   in Loop: Header=BB2_2671 Depth=3
	s_andn2_saveexec_b64 s[28:29], s[28:29]
; %bb.2855:                             ;   in Loop: Header=BB2_2671 Depth=3
	v_mov_b32_e32 v25, v48
; %bb.2856:                             ;   in Loop: Header=BB2_2671 Depth=3
	s_or_b64 exec, exec, s[28:29]
.LBB2_2857:                             ;   in Loop: Header=BB2_2671 Depth=3
	s_or_b64 exec, exec, s[38:39]
                                        ; implicit-def: $vgpr48
.LBB2_2858:                             ;   in Loop: Header=BB2_2671 Depth=3
	s_andn2_saveexec_b64 s[28:29], s[36:37]
; %bb.2859:                             ;   in Loop: Header=BB2_2671 Depth=3
	v_or_b32_e32 v25, 0x7e, v48
; %bb.2860:                             ;   in Loop: Header=BB2_2671 Depth=3
	s_or_b64 exec, exec, s[28:29]
                                        ; implicit-def: $vgpr36
.LBB2_2861:                             ;   in Loop: Header=BB2_2671 Depth=3
	s_andn2_saveexec_b64 s[28:29], s[34:35]
; %bb.2862:                             ;   in Loop: Header=BB2_2671 Depth=3
	v_or_b32_sdwa v25, v36, s71 dst_sel:DWORD dst_unused:UNUSED_PAD src0_sel:BYTE_3 src1_sel:DWORD
; %bb.2863:                             ;   in Loop: Header=BB2_2671 Depth=3
	s_or_b64 exec, exec, s[28:29]
	v_and_b32_e32 v2, 0xff, v52
	v_cmp_ne_u16_e32 vcc, 0, v2
	v_mov_b32_e32 v48, 0
	v_mov_b32_e32 v55, 0
	s_and_saveexec_b64 s[28:29], vcc
	s_cbranch_execz .LBB2_2869
; %bb.2864:                             ;   in Loop: Header=BB2_2671 Depth=3
	v_cmp_ne_u16_e32 vcc, s70, v2
	v_bfrev_b32_e32 v55, 1
	s_and_saveexec_b64 s[34:35], vcc
	s_cbranch_execz .LBB2_2868
; %bb.2865:                             ;   in Loop: Header=BB2_2671 Depth=3
	v_and_b32_e32 v36, 0x7f, v52
	v_cmp_ne_u32_e32 vcc, s71, v36
	v_mov_b32_e32 v55, 0x7f800001
	s_and_saveexec_b64 s[36:37], vcc
	s_cbranch_execz .LBB2_2867
; %bb.2866:                             ;   in Loop: Header=BB2_2671 Depth=3
	v_and_b32_e32 v55, 7, v2
	v_lshrrev_b32_e32 v40, 3, v36
	v_cmp_gt_u32_e32 vcc, 8, v36
	v_ffbh_u32_e32 v36, v55
	v_min_u32_e32 v36, 32, v36
	v_subrev_u32_e32 v44, 28, v36
	v_lshlrev_b64 v[44:45], v44, v[2:3]
	v_sub_u32_e32 v2, 29, v36
	v_and_b32_e32 v36, 7, v44
	v_cndmask_b32_e32 v2, v40, v2, vcc
	v_cndmask_b32_e32 v36, v55, v36, vcc
	v_lshlrev_b32_e32 v52, 24, v52
	v_lshlrev_b32_e32 v36, 20, v36
	v_and_b32_e32 v52, 0x80000000, v52
	v_lshl_add_u32 v2, v2, 23, v49
	v_or3_b32 v55, v52, v2, v36
.LBB2_2867:                             ;   in Loop: Header=BB2_2671 Depth=3
	s_or_b64 exec, exec, s[36:37]
.LBB2_2868:                             ;   in Loop: Header=BB2_2671 Depth=3
	s_or_b64 exec, exec, s[34:35]
.LBB2_2869:                             ;   in Loop: Header=BB2_2671 Depth=3
	s_or_b64 exec, exec, s[28:29]
	v_and_b32_e32 v2, 0xff, v16
	v_cmp_ne_u16_e32 vcc, 0, v2
	s_and_saveexec_b64 s[28:29], vcc
	s_cbranch_execz .LBB2_2875
; %bb.2870:                             ;   in Loop: Header=BB2_2671 Depth=3
	v_cmp_ne_u16_e32 vcc, s70, v2
	v_bfrev_b32_e32 v48, 1
	s_and_saveexec_b64 s[34:35], vcc
	s_cbranch_execz .LBB2_2874
; %bb.2871:                             ;   in Loop: Header=BB2_2671 Depth=3
	v_and_b32_e32 v36, 0x7f, v16
	v_cmp_ne_u32_e32 vcc, s71, v36
	v_mov_b32_e32 v48, 0x7f800001
	s_and_saveexec_b64 s[36:37], vcc
	s_cbranch_execz .LBB2_2873
; %bb.2872:                             ;   in Loop: Header=BB2_2671 Depth=3
	v_and_b32_e32 v48, 7, v2
	v_lshrrev_b32_e32 v52, 3, v36
	v_cmp_gt_u32_e32 vcc, 8, v36
	v_ffbh_u32_e32 v36, v48
	v_min_u32_e32 v36, 32, v36
	v_subrev_u32_e32 v40, 28, v36
	v_lshlrev_b64 v[44:45], v40, v[2:3]
	v_sub_u32_e32 v2, 29, v36
	v_and_b32_e32 v36, 7, v44
	v_cndmask_b32_e32 v2, v52, v2, vcc
	v_cndmask_b32_e32 v36, v48, v36, vcc
	v_lshlrev_b32_e32 v16, 24, v16
	v_lshlrev_b32_e32 v36, 20, v36
	v_and_b32_e32 v16, 0x80000000, v16
	v_lshl_add_u32 v2, v2, 23, v49
	v_or3_b32 v48, v16, v2, v36
.LBB2_2873:                             ;   in Loop: Header=BB2_2671 Depth=3
	s_or_b64 exec, exec, s[36:37]
.LBB2_2874:                             ;   in Loop: Header=BB2_2671 Depth=3
	s_or_b64 exec, exec, s[34:35]
.LBB2_2875:                             ;   in Loop: Header=BB2_2671 Depth=3
	s_or_b64 exec, exec, s[28:29]
	v_mul_f32_e32 v36, v55, v48
	v_and_b32_e32 v2, 0x7f800000, v36
	v_cmp_ne_u64_e32 vcc, s[62:63], v[2:3]
                                        ; implicit-def: $vgpr16
	s_and_saveexec_b64 s[28:29], vcc
	s_xor_b64 s[34:35], exec, s[28:29]
	s_cbranch_execz .LBB2_2893
; %bb.2876:                             ;   in Loop: Header=BB2_2671 Depth=3
	v_and_b32_e32 v2, 0x7fffffff, v36
	v_cmp_gt_u64_e32 vcc, s[72:73], v[2:3]
	v_and_b32_sdwa v48, v36, s70 dst_sel:DWORD dst_unused:UNUSED_PAD src0_sel:BYTE_3 src1_sel:DWORD
                                        ; implicit-def: $vgpr16
	s_and_saveexec_b64 s[28:29], vcc
	s_xor_b64 s[36:37], exec, s[28:29]
	s_cbranch_execz .LBB2_2890
; %bb.2877:                             ;   in Loop: Header=BB2_2671 Depth=3
	v_cmp_ne_u32_e32 vcc, 0, v36
	v_mov_b32_e32 v16, 0
	s_and_saveexec_b64 s[38:39], vcc
	s_cbranch_execz .LBB2_2889
; %bb.2878:                             ;   in Loop: Header=BB2_2671 Depth=3
	v_bfe_u32 v16, v36, 23, 8
	v_and_b32_e32 v2, 0x7fffff, v36
	v_cmp_gt_u32_e64 s[28:29], s80, v16
	v_sub_u32_e32 v36, 0x79, v16
	v_cmp_eq_u32_e32 vcc, 0, v16
	v_cndmask_b32_e64 v36, 0, v36, s[28:29]
	v_or_b32_e32 v52, 0x800000, v2
	v_cndmask_b32_e32 v36, v36, v1, vcc
	v_cndmask_b32_e32 v2, v52, v2, vcc
	v_add_u32_e32 v52, 20, v36
	v_lshlrev_b64 v[44:45], v52, -1
	v_add_u32_e32 v52, 19, v36
	v_lshlrev_b64 v[46:47], v52, 1
	v_bfi_b32 v45, v45, 0, 0
	v_bfi_b32 v44, v44, 0, v2
	v_cmp_eq_u64_e64 s[28:29], v[44:45], v[46:47]
	v_lshrrev_b64 v[44:45], v36, v[2:3]
	v_mov_b32_e32 v46, v45
	v_mov_b32_e32 v45, v44
	s_and_saveexec_b64 s[48:49], s[28:29]
; %bb.2879:                             ;   in Loop: Header=BB2_2671 Depth=3
	v_bfe_u32 v2, v44, 20, 1
	v_add_co_u32_e64 v2, s[28:29], v44, v2
	v_add_co_u32_e64 v45, s[28:29], -1, v2
; %bb.2880:                             ;   in Loop: Header=BB2_2671 Depth=3
	s_or_b64 exec, exec, s[48:49]
	v_add_u32_e32 v2, 0xffffff81, v16
	v_cndmask_b32_e32 v2, v2, v0, vcc
	v_lshrrev_b32_e32 v16, 23, v44
	v_add3_u32 v52, v36, v2, v16
	v_add_u32_e32 v16, 6, v52
	v_and_b32_e32 v2, 0xfffff, v45
	v_add_u32_e32 v2, v2, v44
	v_cmp_ne_u32_e32 vcc, 0, v16
                                        ; implicit-def: $vgpr44_vgpr45
                                        ; implicit-def: $vgpr36
	s_and_saveexec_b64 s[28:29], vcc
	s_xor_b64 s[28:29], exec, s[28:29]
; %bb.2881:                             ;   in Loop: Header=BB2_2671 Depth=3
	v_cmp_lt_u64_e32 vcc, s[88:89], v[2:3]
	v_add_u32_e32 v36, 7, v52
	v_cndmask_b32_e32 v36, v16, v36, vcc
	v_cndmask_b32_e64 v16, 0, 1, vcc
	v_lshrrev_b64 v[44:45], v16, v[2:3]
; %bb.2882:                             ;   in Loop: Header=BB2_2671 Depth=3
	s_andn2_saveexec_b64 s[28:29], s[28:29]
; %bb.2883:                             ;   in Loop: Header=BB2_2671 Depth=3
	v_mov_b32_e32 v45, v3
	v_bfe_u32 v36, v2, 23, 1
	v_mov_b32_e32 v44, v2
; %bb.2884:                             ;   in Loop: Header=BB2_2671 Depth=3
	s_or_b64 exec, exec, s[28:29]
	v_lshrrev_b64 v[44:45], 20, v[44:45]
	v_cmp_gt_i32_e32 vcc, 16, v36
	v_cndmask_b32_e32 v45, 0, v45, vcc
	v_cndmask_b32_e32 v44, 7, v44, vcc
	v_cmp_ne_u64_e32 vcc, 0, v[44:45]
	v_cmp_ne_u32_e64 s[28:29], 0, v36
	s_or_b64 s[28:29], s[28:29], vcc
                                        ; implicit-def: $vgpr16
	s_and_saveexec_b64 s[44:45], s[28:29]
	s_xor_b64 s[28:29], exec, s[44:45]
; %bb.2885:                             ;   in Loop: Header=BB2_2671 Depth=3
	v_min_i32_e32 v2, 15, v36
	v_lshl_or_b32 v2, v2, 3, v48
	v_and_or_b32 v16, v44, 7, v2
                                        ; implicit-def: $vgpr48
; %bb.2886:                             ;   in Loop: Header=BB2_2671 Depth=3
	s_andn2_saveexec_b64 s[28:29], s[28:29]
; %bb.2887:                             ;   in Loop: Header=BB2_2671 Depth=3
	v_mov_b32_e32 v16, v48
; %bb.2888:                             ;   in Loop: Header=BB2_2671 Depth=3
	s_or_b64 exec, exec, s[28:29]
.LBB2_2889:                             ;   in Loop: Header=BB2_2671 Depth=3
	s_or_b64 exec, exec, s[38:39]
                                        ; implicit-def: $vgpr48
.LBB2_2890:                             ;   in Loop: Header=BB2_2671 Depth=3
	s_andn2_saveexec_b64 s[28:29], s[36:37]
; %bb.2891:                             ;   in Loop: Header=BB2_2671 Depth=3
	v_or_b32_e32 v16, 0x7e, v48
; %bb.2892:                             ;   in Loop: Header=BB2_2671 Depth=3
	s_or_b64 exec, exec, s[28:29]
                                        ; implicit-def: $vgpr36
.LBB2_2893:                             ;   in Loop: Header=BB2_2671 Depth=3
	s_andn2_saveexec_b64 s[28:29], s[34:35]
; %bb.2894:                             ;   in Loop: Header=BB2_2671 Depth=3
	v_or_b32_sdwa v16, v36, s71 dst_sel:DWORD dst_unused:UNUSED_PAD src0_sel:BYTE_3 src1_sel:DWORD
; %bb.2895:                             ;   in Loop: Header=BB2_2671 Depth=3
	s_or_b64 exec, exec, s[28:29]
	v_and_b32_e32 v2, 0xff, v34
	v_cmp_ne_u16_e32 vcc, 0, v2
	v_mov_b32_e32 v48, 0
	v_mov_b32_e32 v52, 0
	s_and_saveexec_b64 s[28:29], vcc
	s_cbranch_execz .LBB2_2901
; %bb.2896:                             ;   in Loop: Header=BB2_2671 Depth=3
	v_cmp_ne_u16_e32 vcc, s70, v2
	v_bfrev_b32_e32 v52, 1
	s_and_saveexec_b64 s[34:35], vcc
	s_cbranch_execz .LBB2_2900
; %bb.2897:                             ;   in Loop: Header=BB2_2671 Depth=3
	v_and_b32_e32 v36, 0x7f, v34
	v_cmp_ne_u32_e32 vcc, s71, v36
	v_mov_b32_e32 v52, 0x7f800001
	s_and_saveexec_b64 s[36:37], vcc
	s_cbranch_execz .LBB2_2899
; %bb.2898:                             ;   in Loop: Header=BB2_2671 Depth=3
	v_and_b32_e32 v52, 7, v2
	v_lshrrev_b32_e32 v55, 3, v36
	v_cmp_gt_u32_e32 vcc, 8, v36
	v_ffbh_u32_e32 v36, v52
	v_min_u32_e32 v36, 32, v36
	v_subrev_u32_e32 v40, 28, v36
	v_lshlrev_b64 v[44:45], v40, v[2:3]
	v_sub_u32_e32 v2, 29, v36
	v_and_b32_e32 v36, 7, v44
	v_cndmask_b32_e32 v2, v55, v2, vcc
	v_cndmask_b32_e32 v36, v52, v36, vcc
	v_lshlrev_b32_e32 v34, 24, v34
	v_lshlrev_b32_e32 v36, 20, v36
	v_and_b32_e32 v34, 0x80000000, v34
	v_lshl_add_u32 v2, v2, 23, v49
	v_or3_b32 v52, v34, v2, v36
.LBB2_2899:                             ;   in Loop: Header=BB2_2671 Depth=3
	s_or_b64 exec, exec, s[36:37]
.LBB2_2900:                             ;   in Loop: Header=BB2_2671 Depth=3
	s_or_b64 exec, exec, s[34:35]
.LBB2_2901:                             ;   in Loop: Header=BB2_2671 Depth=3
	s_or_b64 exec, exec, s[28:29]
	v_and_b32_e32 v2, 0xff, v30
	v_cmp_ne_u16_e32 vcc, 0, v2
	s_and_saveexec_b64 s[28:29], vcc
	s_cbranch_execz .LBB2_2907
; %bb.2902:                             ;   in Loop: Header=BB2_2671 Depth=3
	v_cmp_ne_u16_e32 vcc, s70, v2
	v_bfrev_b32_e32 v48, 1
	s_and_saveexec_b64 s[34:35], vcc
	s_cbranch_execz .LBB2_2906
; %bb.2903:                             ;   in Loop: Header=BB2_2671 Depth=3
	v_and_b32_e32 v34, 0x7f, v30
	v_cmp_ne_u32_e32 vcc, s71, v34
	v_mov_b32_e32 v48, 0x7f800001
	s_and_saveexec_b64 s[36:37], vcc
	s_cbranch_execz .LBB2_2905
; %bb.2904:                             ;   in Loop: Header=BB2_2671 Depth=3
	v_and_b32_e32 v36, 7, v2
	v_lshrrev_b32_e32 v48, 3, v34
	v_cmp_gt_u32_e32 vcc, 8, v34
	v_ffbh_u32_e32 v34, v36
	v_min_u32_e32 v34, 32, v34
	v_subrev_u32_e32 v55, 28, v34
	v_lshlrev_b64 v[44:45], v55, v[2:3]
	v_sub_u32_e32 v2, 29, v34
	v_and_b32_e32 v34, 7, v44
	v_cndmask_b32_e32 v2, v48, v2, vcc
	v_cndmask_b32_e32 v34, v36, v34, vcc
	v_lshlrev_b32_e32 v30, 24, v30
	v_lshlrev_b32_e32 v34, 20, v34
	v_and_b32_e32 v30, 0x80000000, v30
	v_lshl_add_u32 v2, v2, 23, v49
	v_or3_b32 v48, v30, v2, v34
.LBB2_2905:                             ;   in Loop: Header=BB2_2671 Depth=3
	s_or_b64 exec, exec, s[36:37]
.LBB2_2906:                             ;   in Loop: Header=BB2_2671 Depth=3
	s_or_b64 exec, exec, s[34:35]
.LBB2_2907:                             ;   in Loop: Header=BB2_2671 Depth=3
	s_or_b64 exec, exec, s[28:29]
	v_mul_f32_e32 v34, v52, v48
	v_and_b32_e32 v2, 0x7f800000, v34
	v_cmp_ne_u64_e32 vcc, s[62:63], v[2:3]
                                        ; implicit-def: $vgpr2
	s_and_saveexec_b64 s[28:29], vcc
	s_xor_b64 s[34:35], exec, s[28:29]
	s_cbranch_execz .LBB2_2925
; %bb.2908:                             ;   in Loop: Header=BB2_2671 Depth=3
	v_and_b32_e32 v2, 0x7fffffff, v34
	v_cmp_gt_u64_e32 vcc, s[72:73], v[2:3]
	v_and_b32_sdwa v30, v34, s70 dst_sel:DWORD dst_unused:UNUSED_PAD src0_sel:BYTE_3 src1_sel:DWORD
                                        ; implicit-def: $vgpr2
	s_and_saveexec_b64 s[28:29], vcc
	s_xor_b64 s[36:37], exec, s[28:29]
	s_cbranch_execz .LBB2_2922
; %bb.2909:                             ;   in Loop: Header=BB2_2671 Depth=3
	v_cmp_ne_u32_e32 vcc, 0, v34
	v_mov_b32_e32 v2, 0
	s_and_saveexec_b64 s[38:39], vcc
	s_cbranch_execz .LBB2_2921
; %bb.2910:                             ;   in Loop: Header=BB2_2671 Depth=3
	v_and_b32_e32 v2, 0x7fffff, v34
	v_bfe_u32 v34, v34, 23, 8
	v_cmp_gt_u32_e64 s[28:29], s80, v34
	v_sub_u32_e32 v36, 0x79, v34
	v_cmp_eq_u32_e32 vcc, 0, v34
	v_cndmask_b32_e64 v36, 0, v36, s[28:29]
	v_or_b32_e32 v48, 0x800000, v2
	v_cndmask_b32_e32 v36, v36, v1, vcc
	v_cndmask_b32_e32 v2, v48, v2, vcc
	v_add_u32_e32 v48, 20, v36
	v_lshlrev_b64 v[44:45], v48, -1
	v_add_u32_e32 v48, 19, v36
	v_lshlrev_b64 v[46:47], v48, 1
	v_bfi_b32 v45, v45, 0, 0
	v_bfi_b32 v44, v44, 0, v2
	v_cmp_eq_u64_e64 s[28:29], v[44:45], v[46:47]
	v_lshrrev_b64 v[44:45], v36, v[2:3]
	v_mov_b32_e32 v46, v45
	v_mov_b32_e32 v45, v44
	s_and_saveexec_b64 s[48:49], s[28:29]
; %bb.2911:                             ;   in Loop: Header=BB2_2671 Depth=3
	v_bfe_u32 v2, v44, 20, 1
	v_add_co_u32_e64 v2, s[28:29], v44, v2
	v_add_co_u32_e64 v45, s[28:29], -1, v2
; %bb.2912:                             ;   in Loop: Header=BB2_2671 Depth=3
	s_or_b64 exec, exec, s[48:49]
	v_add_u32_e32 v2, 0xffffff81, v34
	v_cndmask_b32_e32 v2, v2, v0, vcc
	v_lshrrev_b32_e32 v34, 23, v44
	v_add3_u32 v48, v36, v2, v34
	v_add_u32_e32 v36, 6, v48
	v_and_b32_e32 v2, 0xfffff, v45
	v_add_u32_e32 v2, v2, v44
	v_cmp_ne_u32_e32 vcc, 0, v36
                                        ; implicit-def: $vgpr44_vgpr45
                                        ; implicit-def: $vgpr34
	s_and_saveexec_b64 s[28:29], vcc
	s_xor_b64 s[28:29], exec, s[28:29]
; %bb.2913:                             ;   in Loop: Header=BB2_2671 Depth=3
	v_cmp_lt_u64_e32 vcc, s[88:89], v[2:3]
	v_add_u32_e32 v34, 7, v48
	v_cndmask_b32_e32 v34, v36, v34, vcc
	v_cndmask_b32_e64 v36, 0, 1, vcc
	v_lshrrev_b64 v[44:45], v36, v[2:3]
; %bb.2914:                             ;   in Loop: Header=BB2_2671 Depth=3
	s_andn2_saveexec_b64 s[28:29], s[28:29]
; %bb.2915:                             ;   in Loop: Header=BB2_2671 Depth=3
	v_mov_b32_e32 v45, v3
	v_bfe_u32 v34, v2, 23, 1
	v_mov_b32_e32 v44, v2
; %bb.2916:                             ;   in Loop: Header=BB2_2671 Depth=3
	s_or_b64 exec, exec, s[28:29]
	v_lshrrev_b64 v[44:45], 20, v[44:45]
	v_cmp_gt_i32_e32 vcc, 16, v34
	v_cndmask_b32_e32 v45, 0, v45, vcc
	v_cndmask_b32_e32 v44, 7, v44, vcc
	v_cmp_ne_u64_e32 vcc, 0, v[44:45]
	v_cmp_ne_u32_e64 s[28:29], 0, v34
	s_or_b64 s[28:29], s[28:29], vcc
                                        ; implicit-def: $vgpr2
	s_and_saveexec_b64 s[44:45], s[28:29]
	s_xor_b64 s[28:29], exec, s[44:45]
; %bb.2917:                             ;   in Loop: Header=BB2_2671 Depth=3
	v_min_i32_e32 v2, 15, v34
	v_lshl_or_b32 v2, v2, 3, v30
	v_and_or_b32 v2, v44, 7, v2
                                        ; implicit-def: $vgpr30
; %bb.2918:                             ;   in Loop: Header=BB2_2671 Depth=3
	s_andn2_saveexec_b64 s[28:29], s[28:29]
; %bb.2919:                             ;   in Loop: Header=BB2_2671 Depth=3
	v_mov_b32_e32 v2, v30
; %bb.2920:                             ;   in Loop: Header=BB2_2671 Depth=3
	s_or_b64 exec, exec, s[28:29]
.LBB2_2921:                             ;   in Loop: Header=BB2_2671 Depth=3
	s_or_b64 exec, exec, s[38:39]
                                        ; implicit-def: $vgpr30
.LBB2_2922:                             ;   in Loop: Header=BB2_2671 Depth=3
	s_andn2_saveexec_b64 s[28:29], s[36:37]
; %bb.2923:                             ;   in Loop: Header=BB2_2671 Depth=3
	v_or_b32_e32 v2, 0x7e, v30
; %bb.2924:                             ;   in Loop: Header=BB2_2671 Depth=3
	s_or_b64 exec, exec, s[28:29]
                                        ; implicit-def: $vgpr34
.LBB2_2925:                             ;   in Loop: Header=BB2_2671 Depth=3
	s_andn2_saveexec_b64 s[28:29], s[34:35]
	s_cbranch_execz .LBB2_2670
; %bb.2926:                             ;   in Loop: Header=BB2_2671 Depth=3
	v_or_b32_sdwa v2, v34, s71 dst_sel:DWORD dst_unused:UNUSED_PAD src0_sel:BYTE_3 src1_sel:DWORD
	s_branch .LBB2_2670
.LBB2_2927:                             ;   in Loop: Header=BB2_1679 Depth=2
	s_or_b64 exec, exec, s[30:31]
	buffer_load_dword v56, off, s[0:3], s33 offset:148 ; 4-byte Folded Reload
	buffer_load_dword v47, off, s[0:3], s33 offset:144 ; 4-byte Folded Reload
	v_mov_b32_e32 v30, v60
.LBB2_2928:                             ;   in Loop: Header=BB2_1679 Depth=2
	s_or_b64 exec, exec, s[40:41]
	v_lshlrev_b32_e32 v2, 9, v27
	v_cmp_ne_u32_e32 vcc, v6, v2
	s_and_b64 exec, exec, vcc
	s_cbranch_execz .LBB2_2966
; %bb.2929:                             ;   in Loop: Header=BB2_1679 Depth=2
	v_add_u32_e32 v8, v7, v26
	v_and_b32_e32 v8, 0xffffffc0, v8
	v_sub_u32_e32 v7, v7, v8
	v_lshlrev_b32_e32 v8, 6, v21
	v_sub_u32_e32 v7, v7, v8
	v_add_u32_e32 v2, v2, v7
	v_sub_u32_e32 v6, v6, v2
	v_cmp_lt_i32_e32 vcc, 0, v6
	s_and_b64 exec, exec, vcc
	s_cbranch_execz .LBB2_2966
; %bb.2930:                             ;   in Loop: Header=BB2_1679 Depth=2
	s_trap 2
	ds_read_b128 v[8:11], v0
	v_add_u32_e32 v2, v2, v4
	v_ashrrev_i32_e32 v4, 31, v2
	s_mov_b64 s[30:31], 0
	s_waitcnt lgkmcnt(0)
	v_add_co_u32_e32 v8, vcc, v8, v2
	v_addc_co_u32_e32 v9, vcc, v9, v4, vcc
	v_add_co_u32_e32 v10, vcc, v10, v2
	v_addc_co_u32_e32 v11, vcc, v11, v4, vcc
	v_mov_b32_e32 v13, v9
	v_mov_b32_e32 v15, v11
	;; [unrolled: 1-line block ×4, first 2 shown]
.LBB2_2931:                             ;   Parent Loop BB2_47 Depth=1
                                        ;     Parent Loop BB2_1679 Depth=2
                                        ; =>    This Loop Header: Depth=3
                                        ;         Child Loop BB2_2964 Depth 4
	flat_load_ubyte v21, v[12:13] glc slc
	flat_load_ubyte v7, v[14:15] glc slc
	v_mov_b32_e32 v4, 0
	v_mov_b32_e32 v16, 0
	s_waitcnt vmcnt(0) lgkmcnt(0)
	v_cmp_ne_u16_e32 vcc, 0, v21
	s_and_saveexec_b64 s[28:29], vcc
	s_cbranch_execz .LBB2_2937
; %bb.2932:                             ;   in Loop: Header=BB2_2931 Depth=3
	v_cmp_ne_u16_e32 vcc, s70, v21
	v_bfrev_b32_e32 v16, 1
	s_and_saveexec_b64 s[40:41], vcc
	s_cbranch_execz .LBB2_2936
; %bb.2933:                             ;   in Loop: Header=BB2_2931 Depth=3
	v_and_b32_e32 v2, 0xffff, v21
	v_and_b32_e32 v24, 0x7f, v2
	v_cmp_ne_u32_e32 vcc, s71, v24
	v_mov_b32_e32 v16, 0x7f800001
	s_and_saveexec_b64 s[34:35], vcc
	s_cbranch_execz .LBB2_2935
; %bb.2934:                             ;   in Loop: Header=BB2_2931 Depth=3
	v_and_b32_e32 v16, 7, v2
	v_lshrrev_b32_e32 v26, 3, v24
	v_cmp_gt_u32_e32 vcc, 8, v24
	v_ffbh_u32_e32 v24, v16
	v_min_u32_e32 v27, 32, v24
	v_subrev_u32_e32 v24, 28, v27
	v_lshlrev_b64 v[24:25], v24, v[2:3]
	v_sub_u32_e32 v2, 29, v27
	v_and_b32_e32 v24, 7, v24
	v_cndmask_b32_e32 v2, v26, v2, vcc
	v_cndmask_b32_e32 v16, v16, v24, vcc
	v_lshlrev_b32_e32 v21, 24, v21
	v_lshlrev_b32_e32 v16, 20, v16
	v_and_b32_e32 v21, 0x80000000, v21
	v_lshl_add_u32 v2, v2, 23, v49
	v_or3_b32 v16, v21, v2, v16
.LBB2_2935:                             ;   in Loop: Header=BB2_2931 Depth=3
	s_or_b64 exec, exec, s[34:35]
.LBB2_2936:                             ;   in Loop: Header=BB2_2931 Depth=3
	s_or_b64 exec, exec, s[40:41]
.LBB2_2937:                             ;   in Loop: Header=BB2_2931 Depth=3
	s_or_b64 exec, exec, s[28:29]
	v_and_b32_e32 v2, 0xff, v7
	v_cmp_ne_u16_e32 vcc, 0, v2
	s_and_saveexec_b64 s[28:29], vcc
	s_cbranch_execz .LBB2_2943
; %bb.2938:                             ;   in Loop: Header=BB2_2931 Depth=3
	v_cmp_ne_u16_e32 vcc, s70, v2
	v_bfrev_b32_e32 v4, 1
	s_and_saveexec_b64 s[40:41], vcc
	s_cbranch_execz .LBB2_2942
; %bb.2939:                             ;   in Loop: Header=BB2_2931 Depth=3
	v_and_b32_e32 v21, 0x7f, v7
	v_cmp_ne_u32_e32 vcc, s71, v21
	v_mov_b32_e32 v4, 0x7f800001
	s_and_saveexec_b64 s[34:35], vcc
	s_cbranch_execz .LBB2_2941
; %bb.2940:                             ;   in Loop: Header=BB2_2931 Depth=3
	v_and_b32_e32 v4, 7, v2
	v_lshrrev_b32_e32 v26, 3, v21
	v_cmp_gt_u32_e32 vcc, 8, v21
	v_ffbh_u32_e32 v21, v4
	v_min_u32_e32 v21, 32, v21
	v_subrev_u32_e32 v24, 28, v21
	v_lshlrev_b64 v[24:25], v24, v[2:3]
	v_sub_u32_e32 v2, 29, v21
	v_and_b32_e32 v21, 7, v24
	v_lshlrev_b32_e32 v7, 24, v7
	v_cndmask_b32_e32 v2, v26, v2, vcc
	v_cndmask_b32_e32 v4, v4, v21, vcc
	v_and_b32_e32 v7, 0x80000000, v7
	v_lshlrev_b32_e32 v4, 20, v4
	v_lshl_add_u32 v2, v2, 23, v49
	v_or3_b32 v4, v7, v2, v4
.LBB2_2941:                             ;   in Loop: Header=BB2_2931 Depth=3
	s_or_b64 exec, exec, s[34:35]
.LBB2_2942:                             ;   in Loop: Header=BB2_2931 Depth=3
	s_or_b64 exec, exec, s[40:41]
.LBB2_2943:                             ;   in Loop: Header=BB2_2931 Depth=3
	s_or_b64 exec, exec, s[28:29]
	v_mul_f32_e32 v7, v16, v4
	v_and_b32_e32 v2, 0x7f800000, v7
	v_cmp_ne_u64_e32 vcc, s[62:63], v[2:3]
                                        ; implicit-def: $vgpr2
	s_and_saveexec_b64 s[28:29], vcc
	s_xor_b64 s[40:41], exec, s[28:29]
	s_cbranch_execz .LBB2_2961
; %bb.2944:                             ;   in Loop: Header=BB2_2931 Depth=3
	v_and_b32_e32 v2, 0x7fffffff, v7
	v_cmp_gt_u64_e32 vcc, s[72:73], v[2:3]
	v_and_b32_sdwa v4, v7, s70 dst_sel:DWORD dst_unused:UNUSED_PAD src0_sel:BYTE_3 src1_sel:DWORD
                                        ; implicit-def: $vgpr2
	s_and_saveexec_b64 s[28:29], vcc
	s_xor_b64 s[34:35], exec, s[28:29]
	s_cbranch_execz .LBB2_2958
; %bb.2945:                             ;   in Loop: Header=BB2_2931 Depth=3
	v_cmp_ne_u32_e32 vcc, 0, v7
	v_mov_b32_e32 v2, 0
	s_and_saveexec_b64 s[36:37], vcc
	s_cbranch_execz .LBB2_2957
; %bb.2946:                             ;   in Loop: Header=BB2_2931 Depth=3
	v_and_b32_e32 v2, 0x7fffff, v7
	v_bfe_u32 v7, v7, 23, 8
	v_cmp_gt_u32_e64 s[28:29], s80, v7
	v_sub_u32_e32 v16, 0x79, v7
	v_cmp_eq_u32_e32 vcc, 0, v7
	v_cndmask_b32_e64 v16, 0, v16, s[28:29]
	v_or_b32_e32 v21, 0x800000, v2
	v_cndmask_b32_e32 v16, v16, v1, vcc
	v_cndmask_b32_e32 v2, v21, v2, vcc
	v_add_u32_e32 v21, 20, v16
	v_lshlrev_b64 v[24:25], v21, -1
	v_add_u32_e32 v21, 19, v16
	v_lshlrev_b64 v[26:27], v21, 1
	v_lshrrev_b64 v[44:45], v16, v[2:3]
	v_bfi_b32 v25, v25, 0, 0
	v_bfi_b32 v24, v24, 0, v2
	v_cmp_eq_u64_e64 s[28:29], v[24:25], v[26:27]
	v_mov_b32_e32 v46, v45
	v_mov_b32_e32 v45, v44
	s_and_saveexec_b64 s[38:39], s[28:29]
; %bb.2947:                             ;   in Loop: Header=BB2_2931 Depth=3
	v_bfe_u32 v2, v44, 20, 1
	v_add_co_u32_e64 v2, s[28:29], v44, v2
	v_add_co_u32_e64 v45, s[28:29], -1, v2
; %bb.2948:                             ;   in Loop: Header=BB2_2931 Depth=3
	s_or_b64 exec, exec, s[38:39]
	v_add_u32_e32 v2, 0xffffff81, v7
	v_cndmask_b32_e32 v2, v2, v0, vcc
	v_lshrrev_b32_e32 v7, 23, v44
	v_add3_u32 v21, v16, v2, v7
	v_add_u32_e32 v16, 6, v21
	v_and_b32_e32 v2, 0xfffff, v45
	v_add_u32_e32 v2, v2, v44
	v_cmp_ne_u32_e32 vcc, 0, v16
                                        ; implicit-def: $vgpr44_vgpr45
                                        ; implicit-def: $vgpr7
	s_and_saveexec_b64 s[28:29], vcc
	s_xor_b64 s[28:29], exec, s[28:29]
; %bb.2949:                             ;   in Loop: Header=BB2_2931 Depth=3
	v_cmp_lt_u64_e32 vcc, s[88:89], v[2:3]
	v_add_u32_e32 v7, 7, v21
	v_cndmask_b32_e32 v7, v16, v7, vcc
	v_cndmask_b32_e64 v16, 0, 1, vcc
	v_lshrrev_b64 v[44:45], v16, v[2:3]
; %bb.2950:                             ;   in Loop: Header=BB2_2931 Depth=3
	s_andn2_saveexec_b64 s[28:29], s[28:29]
; %bb.2951:                             ;   in Loop: Header=BB2_2931 Depth=3
	v_mov_b32_e32 v45, v3
	v_bfe_u32 v7, v2, 23, 1
	v_mov_b32_e32 v44, v2
; %bb.2952:                             ;   in Loop: Header=BB2_2931 Depth=3
	s_or_b64 exec, exec, s[28:29]
	v_lshrrev_b64 v[24:25], 20, v[44:45]
	v_cmp_gt_i32_e32 vcc, 16, v7
	v_cndmask_b32_e32 v45, 0, v25, vcc
	v_cndmask_b32_e32 v44, 7, v24, vcc
	v_cmp_ne_u64_e32 vcc, 0, v[44:45]
	v_cmp_ne_u32_e64 s[28:29], 0, v7
	s_or_b64 s[28:29], s[28:29], vcc
                                        ; implicit-def: $vgpr2
	s_and_saveexec_b64 s[44:45], s[28:29]
	s_xor_b64 s[28:29], exec, s[44:45]
; %bb.2953:                             ;   in Loop: Header=BB2_2931 Depth=3
	v_min_i32_e32 v2, 15, v7
	v_lshl_or_b32 v2, v2, 3, v4
	v_and_or_b32 v2, v44, 7, v2
                                        ; implicit-def: $vgpr4
; %bb.2954:                             ;   in Loop: Header=BB2_2931 Depth=3
	s_andn2_saveexec_b64 s[28:29], s[28:29]
; %bb.2955:                             ;   in Loop: Header=BB2_2931 Depth=3
	v_mov_b32_e32 v2, v4
; %bb.2956:                             ;   in Loop: Header=BB2_2931 Depth=3
	s_or_b64 exec, exec, s[28:29]
.LBB2_2957:                             ;   in Loop: Header=BB2_2931 Depth=3
	s_or_b64 exec, exec, s[36:37]
                                        ; implicit-def: $vgpr4
.LBB2_2958:                             ;   in Loop: Header=BB2_2931 Depth=3
	s_andn2_saveexec_b64 s[28:29], s[34:35]
; %bb.2959:                             ;   in Loop: Header=BB2_2931 Depth=3
	v_or_b32_e32 v2, 0x7e, v4
; %bb.2960:                             ;   in Loop: Header=BB2_2931 Depth=3
	s_or_b64 exec, exec, s[28:29]
                                        ; implicit-def: $vgpr7
.LBB2_2961:                             ;   in Loop: Header=BB2_2931 Depth=3
	s_andn2_saveexec_b64 s[28:29], s[40:41]
; %bb.2962:                             ;   in Loop: Header=BB2_2931 Depth=3
	v_or_b32_sdwa v2, v7, s71 dst_sel:DWORD dst_unused:UNUSED_PAD src0_sel:BYTE_3 src1_sel:DWORD
; %bb.2963:                             ;   in Loop: Header=BB2_2931 Depth=3
	s_or_b64 exec, exec, s[28:29]
	s_mov_b64 s[36:37], 0
	s_mov_b64 s[34:35], -1
.LBB2_2964:                             ;   Parent Loop BB2_47 Depth=1
                                        ;     Parent Loop BB2_1679 Depth=2
                                        ;       Parent Loop BB2_2931 Depth=3
                                        ; =>      This Inner Loop Header: Depth=4
	s_cmp_eq_u32 s36, 1
	s_cselect_b64 vcc, -1, 0
	v_cndmask_b32_e32 v24, v8, v10, vcc
	v_cndmask_b32_e32 v25, v9, v11, vcc
	v_add_co_u32_e64 v4, s[28:29], 64, v24
	s_cmp_eq_u32 s36, 0
	v_addc_co_u32_e64 v7, s[28:29], 0, v25, s[28:29]
	s_cselect_b64 s[28:29], -1, 0
	s_and_b64 s[40:41], exec, s[34:35]
	s_mov_b64 s[36:37], 1
	s_mov_b64 s[34:35], 0
	v_cndmask_b32_e32 v11, v11, v7, vcc
	v_cndmask_b32_e32 v10, v10, v4, vcc
	v_cndmask_b32_e64 v9, v9, v7, s[28:29]
	v_cndmask_b32_e64 v8, v8, v4, s[28:29]
	s_mov_b64 vcc, s[40:41]
	flat_store_byte v[24:25], v2 glc slc
	s_cbranch_vccnz .LBB2_2964
; %bb.2965:                             ;   in Loop: Header=BB2_2931 Depth=3
	buffer_load_dword v2, off, s[0:3], s33 offset:96 ; 4-byte Folded Reload
	buffer_load_dword v4, off, s[0:3], s33 offset:100 ; 4-byte Folded Reload
	;; [unrolled: 1-line block ×3, first 2 shown]
	s_waitcnt vmcnt(0)
	v_add_co_u32_e32 v12, vcc, v12, v2
	v_addc_co_u32_e32 v13, vcc, v13, v4, vcc
	v_add_co_u32_e32 v14, vcc, v14, v2
	v_addc_co_u32_e32 v15, vcc, v15, v4, vcc
	buffer_load_dword v4, off, s[0:3], s33 offset:88 ; 4-byte Folded Reload
	buffer_load_dword v2, off, s[0:3], s33 offset:56 ; 4-byte Folded Reload
	s_waitcnt vmcnt(0)
	v_add_co_u32_e32 v8, vcc, v8, v4
	v_addc_co_u32_e32 v9, vcc, v9, v7, vcc
	v_sub_u32_e32 v6, v6, v2
	v_cmp_gt_i32_e32 vcc, 1, v6
	s_or_b64 s[30:31], vcc, s[30:31]
	v_add_co_u32_e32 v10, vcc, v10, v4
	v_addc_co_u32_e32 v11, vcc, v11, v7, vcc
	s_andn2_b64 exec, exec, s[30:31]
	s_cbranch_execnz .LBB2_2931
.LBB2_2966:                             ;   in Loop: Header=BB2_1679 Depth=2
	s_or_b64 exec, exec, s[42:43]
	buffer_load_dword v24, off, s[0:3], s33 offset:112 ; 4-byte Folded Reload
	buffer_load_dword v25, off, s[0:3], s33 offset:116 ; 4-byte Folded Reload
	;; [unrolled: 1-line block ×4, first 2 shown]
	s_mov_b64 s[28:29], 0
.LBB2_2967:                             ;   in Loop: Header=BB2_1679 Depth=2
	s_and_b64 vcc, exec, s[28:29]
	s_cbranch_vccz .LBB2_4180
; %bb.2968:                             ;   in Loop: Header=BB2_1679 Depth=2
	s_mov_b64 s[28:29], -1
	s_and_saveexec_b64 s[40:41], s[22:23]
	s_cbranch_execz .LBB2_2970
; %bb.2969:                             ;   in Loop: Header=BB2_1679 Depth=2
	s_waitcnt vmcnt(0)
	ds_read_b32 v2, v0 offset:720
	s_waitcnt lgkmcnt(0)
	v_and_b32_e32 v2, 15, v2
	v_cmp_eq_u32_e32 vcc, 0, v2
	s_orn2_b64 s[28:29], vcc, exec
.LBB2_2970:                             ;   in Loop: Header=BB2_1679 Depth=2
	s_or_b64 exec, exec, s[40:41]
	s_and_saveexec_b64 s[40:41], s[18:19]
	s_cbranch_execz .LBB2_2972
; %bb.2971:                             ;   in Loop: Header=BB2_1679 Depth=2
	s_waitcnt vmcnt(0)
	ds_read_b32 v2, v0 offset:784
	s_waitcnt lgkmcnt(0)
	v_and_b32_e32 v2, 15, v2
	v_cmp_eq_u32_e32 vcc, 0, v2
	s_and_b64 s[42:43], s[28:29], vcc
	s_andn2_b64 s[28:29], s[28:29], exec
	s_and_b64 s[42:43], s[42:43], exec
	s_or_b64 s[28:29], s[28:29], s[42:43]
.LBB2_2972:                             ;   in Loop: Header=BB2_1679 Depth=2
	s_or_b64 exec, exec, s[40:41]
	s_xor_b64 s[28:29], s[28:29], -1
	s_waitcnt vmcnt(0)
	v_cndmask_b32_e64 v2, 0, 1, s[28:29]
	v_cmp_ne_u32_e32 vcc, 0, v2
	buffer_load_dword v2, off, s[0:3], s33 offset:108 ; 4-byte Folded Reload
	s_mov_b64 s[30:31], -1
	v_mov_b32_e32 v6, 0
	v_mov_b32_e32 v7, v30
	;; [unrolled: 1-line block ×3, first 2 shown]
	s_cbranch_vccz .LBB2_2974
; %bb.2973:                             ;   in Loop: Header=BB2_1679 Depth=2
	s_and_saveexec_b64 s[40:41], s[30:31]
	s_cbranch_execnz .LBB2_3883
	s_branch .LBB2_4179
.LBB2_2974:                             ;   in Loop: Header=BB2_1679 Depth=2
	buffer_load_dword v2, off, s[0:3], s33 offset:136 ; 4-byte Folded Reload
	s_waitcnt vmcnt(0)
	v_sub_u32_e32 v6, v30, v2
	v_ashrrev_i32_e32 v2, 31, v30
	v_lshrrev_b32_e32 v2, 22, v2
	v_add_u32_e32 v2, v30, v2
	v_ashrrev_i32_e32 v7, 10, v2
	v_and_b32_e32 v4, 0xfffffc00, v2
	buffer_load_dword v2, off, s[0:3], s33 offset:140 ; 4-byte Folded Reload
	v_sub_u32_e32 v27, v30, v4
	v_cmp_lt_i32_e32 vcc, 15, v27
	s_waitcnt vmcnt(0)
	v_addc_co_u32_e64 v26, s[28:29], v7, v2, vcc
	v_cmp_lt_i32_e64 s[28:29], 15, v6
	s_and_saveexec_b64 s[42:43], s[28:29]
	s_cbranch_execz .LBB2_3426
; %bb.2975:                             ;   in Loop: Header=BB2_1679 Depth=2
	s_trap 2
	buffer_load_dword v2, off, s[0:3], s33 offset:136 ; 4-byte Folded Reload
	buffer_load_dword v9, off, s[0:3], s33 offset:192 ; 4-byte Folded Reload
	ds_read_b64 v[7:8], v0
	v_mov_b32_e32 v61, v30
	s_mov_b64 s[30:31], 0
	s_waitcnt vmcnt(0)
	v_add_co_u32_e64 v44, s[28:29], v42, v2
	v_addc_co_u32_e64 v45, s[28:29], v43, v9, s[28:29]
	s_waitcnt lgkmcnt(0)
	v_add_co_u32_e64 v46, s[28:29], v7, v2
	v_addc_co_u32_e64 v47, s[28:29], v8, v9, s[28:29]
	buffer_load_dword v7, off, s[0:3], s33 offset:156 ; 4-byte Folded Reload
	buffer_load_dword v8, off, s[0:3], s33 offset:160 ; 4-byte Folded Reload
	s_waitcnt vmcnt(1)
	v_add_co_u32_e64 v55, s[28:29], v7, v2
	s_waitcnt vmcnt(0)
	v_addc_co_u32_e64 v56, s[28:29], v8, v9, s[28:29]
	s_branch .LBB2_2977
.LBB2_2976:                             ;   in Loop: Header=BB2_2977 Depth=3
	s_or_b64 exec, exec, s[28:29]
	v_lshl_or_b32 v8, v30, 8, v37
	v_lshlrev_b32_e32 v9, 16, v52
	v_lshlrev_b32_e32 v10, 24, v53
	v_or3_b32 v8, v8, v9, v10
	v_lshl_or_b32 v7, v31, 8, v7
	v_lshlrev_b32_e32 v9, 16, v21
	v_lshlrev_b32_e32 v10, 24, v34
	v_add_co_u32_e64 v44, s[28:29], v44, v38
	v_or3_b32 v7, v7, v9, v10
	v_lshl_or_b32 v9, v16, 8, v40
	v_lshlrev_b32_e32 v10, 16, v48
	v_lshlrev_b32_e32 v11, 24, v41
	v_addc_co_u32_e64 v45, s[28:29], 0, v45, s[28:29]
	v_or3_b32 v9, v9, v10, v11
	v_lshlrev_b32_e32 v2, 24, v2
	v_lshlrev_b32_e32 v10, 16, v12
	v_lshl_or_b32 v11, v25, 8, v24
	v_add_co_u32_e64 v46, s[28:29], v46, v38
	v_or3_b32 v10, v11, v10, v2
	v_addc_co_u32_e64 v47, s[28:29], 0, v47, s[28:29]
	global_store_dwordx4 v[55:56], v[7:10], off glc slc
	v_add_co_u32_e64 v55, s[28:29], v55, v38
	v_addc_co_u32_e64 v56, s[28:29], 0, v56, s[28:29]
	v_sub_u32_e32 v6, v6, v38
	v_cmp_gt_i32_e64 s[28:29], 16, v6
	s_or_b64 s[30:31], s[28:29], s[30:31]
	v_sub_u32_e32 v26, v26, v17
	s_andn2_b64 exec, exec, s[30:31]
	s_cbranch_execz .LBB2_3425
.LBB2_2977:                             ;   Parent Loop BB2_47 Depth=1
                                        ;     Parent Loop BB2_1679 Depth=2
                                        ; =>    This Inner Loop Header: Depth=3
	global_load_dwordx4 v[12:15], v[44:45], off glc slc
	global_load_dwordx4 v[8:11], v[46:47], off glc slc
	v_mov_b32_e32 v2, 0
	s_waitcnt vmcnt(1)
	v_cmp_ne_u16_sdwa s[28:29], v12, v3 src0_sel:BYTE_0 src1_sel:DWORD
	s_and_saveexec_b64 s[40:41], s[28:29]
	s_cbranch_execz .LBB2_2983
; %bb.2978:                             ;   in Loop: Header=BB2_2977 Depth=3
	v_cmp_ne_u16_sdwa s[28:29], v12, s70 src0_sel:BYTE_0 src1_sel:DWORD
	v_bfrev_b32_e32 v2, 1
	s_and_saveexec_b64 s[34:35], s[28:29]
	s_cbranch_execz .LBB2_2982
; %bb.2979:                             ;   in Loop: Header=BB2_2977 Depth=3
	v_and_b32_e32 v7, 0x7f, v12
	v_cmp_ne_u32_e64 s[28:29], s71, v7
	v_mov_b32_e32 v2, 0x7f800001
	s_and_saveexec_b64 s[36:37], s[28:29]
	s_cbranch_execz .LBB2_2981
; %bb.2980:                             ;   in Loop: Header=BB2_2977 Depth=3
	v_and_b32_e32 v2, 7, v12
	v_ffbh_u32_e32 v2, v2
	v_min_u32_e32 v2, 32, v2
	v_lshrrev_b32_e32 v16, 3, v7
	v_cmp_gt_u32_e64 s[28:29], 8, v7
	v_subrev_u32_e32 v7, 28, v2
	v_cndmask_b32_e64 v7, 0, v7, s[28:29]
	v_lshlrev_b64 v[24:25], v7, v[12:13]
	v_sub_u32_e32 v2, 29, v2
	v_cndmask_b32_e64 v2, v16, v2, s[28:29]
	v_lshlrev_b32_e32 v7, 20, v24
	v_lshlrev_b32_e32 v16, 24, v12
	v_and_b32_e32 v7, 0x700000, v7
	v_and_b32_e32 v16, 0x80000000, v16
	v_lshl_add_u32 v2, v2, 23, v49
	v_or3_b32 v2, v16, v2, v7
.LBB2_2981:                             ;   in Loop: Header=BB2_2977 Depth=3
	s_or_b64 exec, exec, s[36:37]
.LBB2_2982:                             ;   in Loop: Header=BB2_2977 Depth=3
	s_or_b64 exec, exec, s[34:35]
.LBB2_2983:                             ;   in Loop: Header=BB2_2977 Depth=3
	s_or_b64 exec, exec, s[40:41]
	s_waitcnt vmcnt(0)
	v_cmp_gt_i16_sdwa s[40:41], v8, s71 src0_sel:BYTE_0 src1_sel:DWORD
	s_mov_b64 s[28:29], 0
	s_and_saveexec_b64 s[44:45], s[40:41]
	s_xor_b64 s[40:41], exec, s[44:45]
	s_cbranch_execz .LBB2_3405
; %bb.2984:                             ;   in Loop: Header=BB2_2977 Depth=3
	v_cmp_eq_u16_sdwa s[44:45], v8, s70 src0_sel:BYTE_0 src1_sel:DWORD
	s_mov_b64 s[28:29], -1
	s_and_saveexec_b64 s[34:35], s[44:45]
; %bb.2985:                             ;   in Loop: Header=BB2_2977 Depth=3
	s_xor_b64 s[28:29], exec, -1
; %bb.2986:                             ;   in Loop: Header=BB2_2977 Depth=3
	s_or_b64 exec, exec, s[34:35]
	s_and_b64 s[28:29], s[28:29], exec
	s_or_saveexec_b64 s[40:41], s[40:41]
	v_bfrev_b32_e32 v7, 1
	s_xor_b64 exec, exec, s[40:41]
	s_cbranch_execnz .LBB2_3406
.LBB2_2987:                             ;   in Loop: Header=BB2_2977 Depth=3
	s_or_b64 exec, exec, s[40:41]
	s_and_saveexec_b64 s[40:41], s[28:29]
	s_cbranch_execz .LBB2_2989
.LBB2_2988:                             ;   in Loop: Header=BB2_2977 Depth=3
	v_and_b32_e32 v7, 7, v8
	v_ffbh_u32_e32 v7, v7
	v_and_b32_e32 v16, 0x7f, v8
	v_min_u32_e32 v7, 32, v7
	v_bfe_u32 v21, v8, 3, 4
	v_subrev_u32_e32 v24, 28, v7
	v_sub_u32_e32 v7, 29, v7
	v_cmp_gt_u32_e64 s[28:29], 8, v16
	v_cndmask_b32_e64 v7, v21, v7, s[28:29]
	v_cndmask_b32_e64 v21, 0, v24, s[28:29]
	v_lshlrev_b64 v[24:25], v21, v[8:9]
	v_lshl_add_u32 v7, v7, 23, v49
	v_lshlrev_b32_e32 v21, 20, v24
	v_lshlrev_b32_e32 v24, 24, v8
	v_and_b32_e32 v21, 0x700000, v21
	v_and_b32_e32 v24, 0x80000000, v24
	v_or3_b32 v7, v24, v7, v21
	v_cmp_ne_u32_e64 s[28:29], s71, v16
	v_cndmask_b32_e64 v7, v5, v7, s[28:29]
.LBB2_2989:                             ;   in Loop: Header=BB2_2977 Depth=3
	s_or_b64 exec, exec, s[40:41]
	v_mul_f32_e32 v21, v2, v7
	v_and_b32_e32 v2, 0x7f800000, v21
	v_cmp_ne_u64_e64 s[28:29], s[62:63], v[2:3]
                                        ; implicit-def: $vgpr7
	s_and_saveexec_b64 s[40:41], s[28:29]
	s_xor_b64 s[34:35], exec, s[40:41]
	s_cbranch_execz .LBB2_3003
; %bb.2990:                             ;   in Loop: Header=BB2_2977 Depth=3
	v_and_b32_e32 v2, 0x7fffffff, v21
	v_cmp_gt_u64_e64 s[28:29], s[72:73], v[2:3]
	v_and_b32_sdwa v16, v21, s70 dst_sel:DWORD dst_unused:UNUSED_PAD src0_sel:BYTE_3 src1_sel:DWORD
                                        ; implicit-def: $vgpr7
	s_and_saveexec_b64 s[40:41], s[28:29]
	s_xor_b64 s[36:37], exec, s[40:41]
	s_cbranch_execz .LBB2_3000
; %bb.2991:                             ;   in Loop: Header=BB2_2977 Depth=3
	v_mov_b32_e32 v7, 0
	v_cmp_ne_u32_e64 s[28:29], 0, v21
	s_and_saveexec_b64 s[38:39], s[28:29]
	s_cbranch_execz .LBB2_2999
; %bb.2992:                             ;   in Loop: Header=BB2_2977 Depth=3
	v_bfe_u32 v7, v21, 23, 8
	v_and_b32_e32 v2, 0x7fffff, v21
	v_cmp_gt_u32_e64 s[40:41], s80, v7
	v_sub_u32_e32 v21, 0x79, v7
	v_cmp_eq_u32_e64 s[28:29], 0, v7
	v_cndmask_b32_e64 v21, 0, v21, s[40:41]
	v_or_b32_e32 v24, 0x800000, v2
	v_cndmask_b32_e64 v21, v21, v1, s[28:29]
	v_cndmask_b32_e64 v2, v24, v2, s[28:29]
	v_add_u32_e32 v24, 20, v21
	v_lshlrev_b64 v[24:25], v24, -1
	v_add_u32_e32 v30, 19, v21
	v_lshlrev_b64 v[30:31], v30, 1
	v_lshrrev_b64 v[57:58], v21, v[2:3]
	v_bfi_b32 v25, v25, 0, 0
	v_bfi_b32 v24, v24, 0, v2
	v_cmp_eq_u64_e64 s[40:41], v[24:25], v[30:31]
	v_mov_b32_e32 v59, v58
	v_mov_b32_e32 v58, v57
	s_and_saveexec_b64 s[48:49], s[40:41]
; %bb.2993:                             ;   in Loop: Header=BB2_2977 Depth=3
	v_bfe_u32 v2, v57, 20, 1
	v_add_co_u32_e64 v2, s[40:41], v57, v2
	v_add_co_u32_e64 v58, s[40:41], -1, v2
; %bb.2994:                             ;   in Loop: Header=BB2_2977 Depth=3
	s_or_b64 exec, exec, s[48:49]
	v_add_u32_e32 v2, 0xffffff81, v7
	v_cndmask_b32_e64 v2, v2, v0, s[28:29]
	v_lshrrev_b32_e32 v7, 23, v57
	v_add3_u32 v24, v21, v2, v7
	v_add_u32_e32 v21, 6, v24
	v_and_b32_e32 v2, 0xfffff, v58
	v_add_u32_e32 v2, v2, v57
	v_cmp_ne_u32_e64 s[28:29], 0, v21
                                        ; implicit-def: $vgpr57_vgpr58
                                        ; implicit-def: $vgpr7
	s_and_saveexec_b64 s[40:41], s[28:29]
	s_xor_b64 s[40:41], exec, s[40:41]
; %bb.2995:                             ;   in Loop: Header=BB2_2977 Depth=3
	v_cmp_lt_u64_e64 s[28:29], s[88:89], v[2:3]
	v_add_u32_e32 v7, 7, v24
	v_cndmask_b32_e64 v7, v21, v7, s[28:29]
	v_cndmask_b32_e64 v21, 0, 1, s[28:29]
	v_lshrrev_b64 v[57:58], v21, v[2:3]
; %bb.2996:                             ;   in Loop: Header=BB2_2977 Depth=3
	s_andn2_saveexec_b64 s[28:29], s[40:41]
; %bb.2997:                             ;   in Loop: Header=BB2_2977 Depth=3
	v_mov_b32_e32 v58, v3
	v_bfe_u32 v7, v2, 23, 1
	v_mov_b32_e32 v57, v2
; %bb.2998:                             ;   in Loop: Header=BB2_2977 Depth=3
	s_or_b64 exec, exec, s[28:29]
	v_lshrrev_b64 v[24:25], 20, v[57:58]
	v_cmp_gt_i32_e64 s[28:29], 16, v7
	v_cndmask_b32_e64 v25, 0, v25, s[28:29]
	v_cndmask_b32_e64 v24, 7, v24, s[28:29]
	v_min_i32_e32 v2, 15, v7
	v_cmp_eq_u64_e64 s[40:41], 0, v[24:25]
	v_lshlrev_b32_e32 v2, 3, v2
	v_cmp_eq_u32_e64 s[28:29], 0, v7
	v_and_b32_e32 v2, 0xf8, v2
	v_and_or_b32 v2, v24, 7, v2
	s_and_b64 s[28:29], s[28:29], s[40:41]
	v_cndmask_b32_e64 v2, v2, 0, s[28:29]
	v_or_b32_e32 v7, v2, v16
.LBB2_2999:                             ;   in Loop: Header=BB2_2977 Depth=3
	s_or_b64 exec, exec, s[38:39]
                                        ; implicit-def: $vgpr16
.LBB2_3000:                             ;   in Loop: Header=BB2_2977 Depth=3
	s_andn2_saveexec_b64 s[28:29], s[36:37]
; %bb.3001:                             ;   in Loop: Header=BB2_2977 Depth=3
	v_or_b32_e32 v7, 0x7e, v16
; %bb.3002:                             ;   in Loop: Header=BB2_2977 Depth=3
	s_or_b64 exec, exec, s[28:29]
                                        ; implicit-def: $vgpr21
.LBB2_3003:                             ;   in Loop: Header=BB2_2977 Depth=3
	s_andn2_saveexec_b64 s[28:29], s[34:35]
; %bb.3004:                             ;   in Loop: Header=BB2_2977 Depth=3
	v_or_b32_sdwa v7, v21, s71 dst_sel:DWORD dst_unused:UNUSED_PAD src0_sel:BYTE_3 src1_sel:DWORD
; %bb.3005:                             ;   in Loop: Header=BB2_2977 Depth=3
	s_or_b64 exec, exec, s[28:29]
	v_lshrrev_b16_e32 v2, 8, v12
	v_cmp_ne_u16_e64 s[28:29], 0, v2
	v_mov_b32_e32 v16, 0
	s_and_saveexec_b64 s[40:41], s[28:29]
	s_cbranch_execz .LBB2_3011
; %bb.3006:                             ;   in Loop: Header=BB2_2977 Depth=3
	v_cmp_ne_u16_e64 s[28:29], s70, v2
	v_bfrev_b32_e32 v16, 1
	s_and_saveexec_b64 s[34:35], s[28:29]
	s_cbranch_execz .LBB2_3010
; %bb.3007:                             ;   in Loop: Header=BB2_2977 Depth=3
	v_and_b32_e32 v21, 0x7f, v2
	v_cmp_ne_u32_e64 s[28:29], s71, v21
	v_mov_b32_e32 v16, 0x7f800001
	s_and_saveexec_b64 s[36:37], s[28:29]
	s_cbranch_execz .LBB2_3009
; %bb.3008:                             ;   in Loop: Header=BB2_2977 Depth=3
	v_and_b32_e32 v16, 7, v2
	v_lshrrev_b32_e32 v30, 3, v21
	v_cmp_gt_u32_e64 s[28:29], 8, v21
	v_ffbh_u32_e32 v21, v16
	v_min_u32_e32 v21, 32, v21
	v_subrev_u32_e32 v24, 28, v21
	v_lshlrev_b64 v[24:25], v24, v[2:3]
	v_sub_u32_e32 v2, 29, v21
	v_and_b32_e32 v21, 7, v24
	v_cndmask_b32_e64 v2, v30, v2, s[28:29]
	v_cndmask_b32_e64 v16, v16, v21, s[28:29]
	v_lshlrev_b32_e32 v21, 16, v12
	v_lshlrev_b32_e32 v16, 20, v16
	v_and_b32_e32 v21, 0x80000000, v21
	v_lshl_add_u32 v2, v2, 23, v49
	v_or3_b32 v16, v21, v2, v16
.LBB2_3009:                             ;   in Loop: Header=BB2_2977 Depth=3
	s_or_b64 exec, exec, s[36:37]
.LBB2_3010:                             ;   in Loop: Header=BB2_2977 Depth=3
	s_or_b64 exec, exec, s[34:35]
.LBB2_3011:                             ;   in Loop: Header=BB2_2977 Depth=3
	s_or_b64 exec, exec, s[40:41]
	v_lshrrev_b16_e32 v2, 8, v8
	v_cmp_lt_i16_e64 s[28:29], s71, v2
	s_mov_b64 s[40:41], 0
	s_and_saveexec_b64 s[44:45], s[28:29]
	s_xor_b64 s[34:35], exec, s[44:45]
	s_cbranch_execz .LBB2_3407
; %bb.3012:                             ;   in Loop: Header=BB2_2977 Depth=3
	v_cmp_eq_u16_e64 s[28:29], s70, v2
	s_mov_b64 s[40:41], -1
	s_and_saveexec_b64 s[36:37], s[28:29]
; %bb.3013:                             ;   in Loop: Header=BB2_2977 Depth=3
	s_xor_b64 s[40:41], exec, -1
; %bb.3014:                             ;   in Loop: Header=BB2_2977 Depth=3
	s_or_b64 exec, exec, s[36:37]
	s_and_b64 s[40:41], s[40:41], exec
	s_or_saveexec_b64 s[34:35], s[34:35]
	v_bfrev_b32_e32 v21, 1
	s_xor_b64 exec, exec, s[34:35]
	s_cbranch_execnz .LBB2_3408
.LBB2_3015:                             ;   in Loop: Header=BB2_2977 Depth=3
	s_or_b64 exec, exec, s[34:35]
	s_and_saveexec_b64 s[34:35], s[40:41]
	s_cbranch_execz .LBB2_3017
.LBB2_3016:                             ;   in Loop: Header=BB2_2977 Depth=3
	v_and_b32_e32 v21, 7, v2
	v_ffbh_u32_e32 v24, v21
	v_min_u32_e32 v34, 32, v24
	v_subrev_u32_e32 v24, 28, v34
	v_lshlrev_b64 v[24:25], v24, v[2:3]
	v_and_b32_e32 v30, 0x7f, v2
	v_bfe_u32 v31, v2, 3, 4
	v_sub_u32_e32 v25, 29, v34
	v_and_b32_e32 v24, 7, v24
	v_cmp_gt_u32_e64 s[28:29], 8, v30
	v_cndmask_b32_e64 v25, v31, v25, s[28:29]
	v_cndmask_b32_e64 v21, v21, v24, s[28:29]
	v_lshlrev_b32_e32 v2, 24, v2
	v_lshlrev_b32_e32 v21, 20, v21
	v_and_b32_e32 v2, 0x80000000, v2
	v_lshl_add_u32 v24, v25, 23, v49
	v_or3_b32 v2, v2, v24, v21
	v_cmp_ne_u32_e64 s[28:29], s71, v30
	v_cndmask_b32_e64 v21, v5, v2, s[28:29]
.LBB2_3017:                             ;   in Loop: Header=BB2_2977 Depth=3
	s_or_b64 exec, exec, s[34:35]
	v_mul_f32_e32 v21, v16, v21
	v_and_b32_e32 v2, 0x7f800000, v21
	v_cmp_ne_u64_e64 s[28:29], s[62:63], v[2:3]
                                        ; implicit-def: $vgpr31
	s_and_saveexec_b64 s[40:41], s[28:29]
	s_xor_b64 s[34:35], exec, s[40:41]
	s_cbranch_execz .LBB2_3031
; %bb.3018:                             ;   in Loop: Header=BB2_2977 Depth=3
	v_and_b32_e32 v2, 0x7fffffff, v21
	v_cmp_gt_u64_e64 s[28:29], s[72:73], v[2:3]
	v_and_b32_sdwa v16, v21, s70 dst_sel:DWORD dst_unused:UNUSED_PAD src0_sel:BYTE_3 src1_sel:DWORD
                                        ; implicit-def: $vgpr31
	s_and_saveexec_b64 s[40:41], s[28:29]
	s_xor_b64 s[36:37], exec, s[40:41]
	s_cbranch_execz .LBB2_3028
; %bb.3019:                             ;   in Loop: Header=BB2_2977 Depth=3
	v_mov_b32_e32 v31, 0
	v_cmp_ne_u32_e64 s[28:29], 0, v21
	s_and_saveexec_b64 s[38:39], s[28:29]
	s_cbranch_execz .LBB2_3027
; %bb.3020:                             ;   in Loop: Header=BB2_2977 Depth=3
	v_and_b32_e32 v2, 0x7fffff, v21
	v_bfe_u32 v21, v21, 23, 8
	v_cmp_gt_u32_e64 s[40:41], s80, v21
	v_sub_u32_e32 v24, 0x79, v21
	v_cmp_eq_u32_e64 s[28:29], 0, v21
	v_cndmask_b32_e64 v24, 0, v24, s[40:41]
	v_or_b32_e32 v25, 0x800000, v2
	v_cndmask_b32_e64 v24, v24, v1, s[28:29]
	v_cndmask_b32_e64 v2, v25, v2, s[28:29]
	v_add_u32_e32 v25, 20, v24
	v_lshlrev_b64 v[30:31], v25, -1
	v_add_u32_e32 v25, 19, v24
	v_lshlrev_b64 v[36:37], v25, 1
	v_lshrrev_b64 v[57:58], v24, v[2:3]
	v_bfi_b32 v31, v31, 0, 0
	v_bfi_b32 v30, v30, 0, v2
	v_cmp_eq_u64_e64 s[40:41], v[30:31], v[36:37]
	v_mov_b32_e32 v59, v58
	v_mov_b32_e32 v58, v57
	s_and_saveexec_b64 s[48:49], s[40:41]
; %bb.3021:                             ;   in Loop: Header=BB2_2977 Depth=3
	v_bfe_u32 v2, v57, 20, 1
	v_add_co_u32_e64 v2, s[40:41], v57, v2
	v_add_co_u32_e64 v58, s[40:41], -1, v2
; %bb.3022:                             ;   in Loop: Header=BB2_2977 Depth=3
	s_or_b64 exec, exec, s[48:49]
	v_add_u32_e32 v2, 0xffffff81, v21
	v_cndmask_b32_e64 v2, v2, v0, s[28:29]
	v_lshrrev_b32_e32 v21, 23, v57
	v_add3_u32 v25, v24, v2, v21
	v_add_u32_e32 v24, 6, v25
	v_and_b32_e32 v2, 0xfffff, v58
	v_add_u32_e32 v2, v2, v57
	v_cmp_ne_u32_e64 s[28:29], 0, v24
                                        ; implicit-def: $vgpr57_vgpr58
                                        ; implicit-def: $vgpr21
	s_and_saveexec_b64 s[40:41], s[28:29]
	s_xor_b64 s[40:41], exec, s[40:41]
; %bb.3023:                             ;   in Loop: Header=BB2_2977 Depth=3
	v_cmp_lt_u64_e64 s[28:29], s[88:89], v[2:3]
	v_add_u32_e32 v21, 7, v25
	v_cndmask_b32_e64 v21, v24, v21, s[28:29]
	v_cndmask_b32_e64 v24, 0, 1, s[28:29]
	v_lshrrev_b64 v[57:58], v24, v[2:3]
; %bb.3024:                             ;   in Loop: Header=BB2_2977 Depth=3
	s_andn2_saveexec_b64 s[28:29], s[40:41]
; %bb.3025:                             ;   in Loop: Header=BB2_2977 Depth=3
	v_mov_b32_e32 v58, v3
	v_bfe_u32 v21, v2, 23, 1
	v_mov_b32_e32 v57, v2
; %bb.3026:                             ;   in Loop: Header=BB2_2977 Depth=3
	s_or_b64 exec, exec, s[28:29]
	v_lshrrev_b64 v[24:25], 20, v[57:58]
	v_cmp_gt_i32_e64 s[28:29], 16, v21
	v_cndmask_b32_e64 v25, 0, v25, s[28:29]
	v_cndmask_b32_e64 v24, 7, v24, s[28:29]
	v_min_i32_e32 v2, 15, v21
	v_cmp_eq_u64_e64 s[40:41], 0, v[24:25]
	v_lshlrev_b32_e32 v2, 3, v2
	v_cmp_eq_u32_e64 s[28:29], 0, v21
	v_and_b32_e32 v2, 0xf8, v2
	v_and_or_b32 v2, v24, 7, v2
	s_and_b64 s[28:29], s[28:29], s[40:41]
	v_cndmask_b32_e64 v2, v2, 0, s[28:29]
	v_or_b32_e32 v31, v2, v16
.LBB2_3027:                             ;   in Loop: Header=BB2_2977 Depth=3
	s_or_b64 exec, exec, s[38:39]
                                        ; implicit-def: $vgpr16
.LBB2_3028:                             ;   in Loop: Header=BB2_2977 Depth=3
	s_andn2_saveexec_b64 s[28:29], s[36:37]
; %bb.3029:                             ;   in Loop: Header=BB2_2977 Depth=3
	v_or_b32_e32 v31, 0x7e, v16
; %bb.3030:                             ;   in Loop: Header=BB2_2977 Depth=3
	s_or_b64 exec, exec, s[28:29]
                                        ; implicit-def: $vgpr21
.LBB2_3031:                             ;   in Loop: Header=BB2_2977 Depth=3
	s_andn2_saveexec_b64 s[28:29], s[34:35]
; %bb.3032:                             ;   in Loop: Header=BB2_2977 Depth=3
	v_or_b32_sdwa v31, v21, s71 dst_sel:DWORD dst_unused:UNUSED_PAD src0_sel:BYTE_3 src1_sel:DWORD
; %bb.3033:                             ;   in Loop: Header=BB2_2977 Depth=3
	s_or_b64 exec, exec, s[28:29]
	v_lshrrev_b32_e32 v2, 16, v12
	v_cmp_ne_u16_sdwa s[28:29], v2, v3 src0_sel:BYTE_0 src1_sel:DWORD
	v_mov_b32_e32 v16, 0
	s_and_saveexec_b64 s[40:41], s[28:29]
	s_cbranch_execz .LBB2_3039
; %bb.3034:                             ;   in Loop: Header=BB2_2977 Depth=3
	v_cmp_ne_u16_sdwa s[28:29], v2, s70 src0_sel:BYTE_0 src1_sel:DWORD
	v_bfrev_b32_e32 v16, 1
	s_and_saveexec_b64 s[34:35], s[28:29]
	s_cbranch_execz .LBB2_3038
; %bb.3035:                             ;   in Loop: Header=BB2_2977 Depth=3
	v_bfe_u32 v21, v12, 16, 7
	v_cmp_ne_u32_e64 s[28:29], s71, v21
	v_mov_b32_e32 v16, 0x7f800001
	s_and_saveexec_b64 s[36:37], s[28:29]
	s_cbranch_execz .LBB2_3037
; %bb.3036:                             ;   in Loop: Header=BB2_2977 Depth=3
	v_and_b32_e32 v16, 7, v2
	v_lshrrev_b32_e32 v30, 3, v21
	v_cmp_gt_u32_e64 s[28:29], 8, v21
	v_ffbh_u32_e32 v21, v16
	v_min_u32_e32 v21, 32, v21
	v_subrev_u32_e32 v24, 28, v21
	v_lshlrev_b64 v[24:25], v24, v[2:3]
	v_sub_u32_e32 v21, 29, v21
	v_and_b32_e32 v24, 7, v24
	v_cndmask_b32_e64 v21, v30, v21, s[28:29]
	v_cndmask_b32_e64 v16, v16, v24, s[28:29]
	v_lshlrev_b32_e32 v2, 24, v2
	v_lshlrev_b32_e32 v16, 20, v16
	v_and_b32_e32 v2, 0x80000000, v2
	v_lshl_add_u32 v21, v21, 23, v49
	v_or3_b32 v16, v2, v21, v16
.LBB2_3037:                             ;   in Loop: Header=BB2_2977 Depth=3
	s_or_b64 exec, exec, s[36:37]
.LBB2_3038:                             ;   in Loop: Header=BB2_2977 Depth=3
	s_or_b64 exec, exec, s[34:35]
.LBB2_3039:                             ;   in Loop: Header=BB2_2977 Depth=3
	s_or_b64 exec, exec, s[40:41]
	v_lshrrev_b32_e32 v2, 16, v8
	v_cmp_gt_i16_sdwa s[40:41], v2, s71 src0_sel:BYTE_0 src1_sel:DWORD
	s_mov_b64 s[28:29], 0
	s_and_saveexec_b64 s[44:45], s[40:41]
	s_xor_b64 s[40:41], exec, s[44:45]
	s_cbranch_execz .LBB2_3409
; %bb.3040:                             ;   in Loop: Header=BB2_2977 Depth=3
	v_cmp_eq_u16_sdwa s[44:45], v2, s70 src0_sel:BYTE_0 src1_sel:DWORD
	s_mov_b64 s[28:29], -1
	s_and_saveexec_b64 s[34:35], s[44:45]
; %bb.3041:                             ;   in Loop: Header=BB2_2977 Depth=3
	s_xor_b64 s[28:29], exec, -1
; %bb.3042:                             ;   in Loop: Header=BB2_2977 Depth=3
	s_or_b64 exec, exec, s[34:35]
	s_and_b64 s[28:29], s[28:29], exec
	s_or_saveexec_b64 s[40:41], s[40:41]
	v_bfrev_b32_e32 v21, 1
	s_xor_b64 exec, exec, s[40:41]
	s_cbranch_execnz .LBB2_3410
.LBB2_3043:                             ;   in Loop: Header=BB2_2977 Depth=3
	s_or_b64 exec, exec, s[40:41]
	s_and_saveexec_b64 s[40:41], s[28:29]
	s_cbranch_execz .LBB2_3045
.LBB2_3044:                             ;   in Loop: Header=BB2_2977 Depth=3
	v_and_b32_e32 v21, 7, v2
	v_ffbh_u32_e32 v24, v21
	v_min_u32_e32 v36, 32, v24
	v_subrev_u32_e32 v24, 28, v36
	v_lshlrev_b64 v[24:25], v24, v[2:3]
	v_and_b32_e32 v30, 0x7f, v2
	v_bfe_u32 v34, v2, 3, 4
	v_sub_u32_e32 v25, 29, v36
	v_and_b32_e32 v24, 7, v24
	v_cmp_gt_u32_e64 s[28:29], 8, v30
	v_cndmask_b32_e64 v25, v34, v25, s[28:29]
	v_cndmask_b32_e64 v21, v21, v24, s[28:29]
	v_lshlrev_b32_e32 v2, 24, v2
	v_lshlrev_b32_e32 v21, 20, v21
	v_and_b32_e32 v2, 0x80000000, v2
	v_lshl_add_u32 v24, v25, 23, v49
	v_or3_b32 v2, v2, v24, v21
	v_cmp_ne_u32_e64 s[28:29], s71, v30
	v_cndmask_b32_e64 v21, v5, v2, s[28:29]
.LBB2_3045:                             ;   in Loop: Header=BB2_2977 Depth=3
	s_or_b64 exec, exec, s[40:41]
	v_mul_f32_e32 v24, v16, v21
	v_and_b32_e32 v2, 0x7f800000, v24
	v_cmp_ne_u64_e64 s[28:29], s[62:63], v[2:3]
                                        ; implicit-def: $vgpr21
	s_and_saveexec_b64 s[40:41], s[28:29]
	s_xor_b64 s[34:35], exec, s[40:41]
	s_cbranch_execz .LBB2_3059
; %bb.3046:                             ;   in Loop: Header=BB2_2977 Depth=3
	v_and_b32_e32 v2, 0x7fffffff, v24
	v_cmp_gt_u64_e64 s[28:29], s[72:73], v[2:3]
	v_and_b32_sdwa v16, v24, s70 dst_sel:DWORD dst_unused:UNUSED_PAD src0_sel:BYTE_3 src1_sel:DWORD
                                        ; implicit-def: $vgpr21
	s_and_saveexec_b64 s[40:41], s[28:29]
	s_xor_b64 s[36:37], exec, s[40:41]
	s_cbranch_execz .LBB2_3056
; %bb.3047:                             ;   in Loop: Header=BB2_2977 Depth=3
	v_mov_b32_e32 v21, 0
	v_cmp_ne_u32_e64 s[28:29], 0, v24
	s_and_saveexec_b64 s[38:39], s[28:29]
	s_cbranch_execz .LBB2_3055
; %bb.3048:                             ;   in Loop: Header=BB2_2977 Depth=3
	v_bfe_u32 v21, v24, 23, 8
	v_and_b32_e32 v2, 0x7fffff, v24
	v_cmp_gt_u32_e64 s[40:41], s80, v21
	v_sub_u32_e32 v24, 0x79, v21
	v_cmp_eq_u32_e64 s[28:29], 0, v21
	v_cndmask_b32_e64 v24, 0, v24, s[40:41]
	v_or_b32_e32 v25, 0x800000, v2
	v_cndmask_b32_e64 v24, v24, v1, s[28:29]
	v_cndmask_b32_e64 v2, v25, v2, s[28:29]
	v_add_u32_e32 v25, 20, v24
	v_lshlrev_b64 v[36:37], v25, -1
	v_add_u32_e32 v25, 19, v24
	v_lshlrev_b64 v[52:53], v25, 1
	v_lshrrev_b64 v[57:58], v24, v[2:3]
	v_bfi_b32 v37, v37, 0, 0
	v_bfi_b32 v36, v36, 0, v2
	v_cmp_eq_u64_e64 s[40:41], v[36:37], v[52:53]
	v_mov_b32_e32 v59, v58
	v_mov_b32_e32 v58, v57
	s_and_saveexec_b64 s[48:49], s[40:41]
; %bb.3049:                             ;   in Loop: Header=BB2_2977 Depth=3
	v_bfe_u32 v2, v57, 20, 1
	v_add_co_u32_e64 v2, s[40:41], v57, v2
	v_add_co_u32_e64 v58, s[40:41], -1, v2
; %bb.3050:                             ;   in Loop: Header=BB2_2977 Depth=3
	s_or_b64 exec, exec, s[48:49]
	v_add_u32_e32 v2, 0xffffff81, v21
	v_cndmask_b32_e64 v2, v2, v0, s[28:29]
	v_lshrrev_b32_e32 v21, 23, v57
	v_add3_u32 v25, v24, v2, v21
	v_add_u32_e32 v24, 6, v25
	v_and_b32_e32 v2, 0xfffff, v58
	v_add_u32_e32 v2, v2, v57
	v_cmp_ne_u32_e64 s[28:29], 0, v24
                                        ; implicit-def: $vgpr57_vgpr58
                                        ; implicit-def: $vgpr21
	s_and_saveexec_b64 s[40:41], s[28:29]
	s_xor_b64 s[40:41], exec, s[40:41]
; %bb.3051:                             ;   in Loop: Header=BB2_2977 Depth=3
	v_cmp_lt_u64_e64 s[28:29], s[88:89], v[2:3]
	v_add_u32_e32 v21, 7, v25
	v_cndmask_b32_e64 v21, v24, v21, s[28:29]
	v_cndmask_b32_e64 v24, 0, 1, s[28:29]
	v_lshrrev_b64 v[57:58], v24, v[2:3]
; %bb.3052:                             ;   in Loop: Header=BB2_2977 Depth=3
	s_andn2_saveexec_b64 s[28:29], s[40:41]
; %bb.3053:                             ;   in Loop: Header=BB2_2977 Depth=3
	v_mov_b32_e32 v58, v3
	v_bfe_u32 v21, v2, 23, 1
	v_mov_b32_e32 v57, v2
; %bb.3054:                             ;   in Loop: Header=BB2_2977 Depth=3
	s_or_b64 exec, exec, s[28:29]
	v_lshrrev_b64 v[24:25], 20, v[57:58]
	v_cmp_gt_i32_e64 s[28:29], 16, v21
	v_cndmask_b32_e64 v25, 0, v25, s[28:29]
	v_cndmask_b32_e64 v24, 7, v24, s[28:29]
	v_min_i32_e32 v2, 15, v21
	v_cmp_eq_u64_e64 s[40:41], 0, v[24:25]
	v_lshlrev_b32_e32 v2, 3, v2
	v_cmp_eq_u32_e64 s[28:29], 0, v21
	v_and_b32_e32 v2, 0xf8, v2
	v_and_or_b32 v2, v24, 7, v2
	s_and_b64 s[28:29], s[28:29], s[40:41]
	v_cndmask_b32_e64 v2, v2, 0, s[28:29]
	v_or_b32_e32 v21, v2, v16
.LBB2_3055:                             ;   in Loop: Header=BB2_2977 Depth=3
	s_or_b64 exec, exec, s[38:39]
                                        ; implicit-def: $vgpr16
.LBB2_3056:                             ;   in Loop: Header=BB2_2977 Depth=3
	s_andn2_saveexec_b64 s[28:29], s[36:37]
; %bb.3057:                             ;   in Loop: Header=BB2_2977 Depth=3
	v_or_b32_e32 v21, 0x7e, v16
; %bb.3058:                             ;   in Loop: Header=BB2_2977 Depth=3
	s_or_b64 exec, exec, s[28:29]
                                        ; implicit-def: $vgpr24
.LBB2_3059:                             ;   in Loop: Header=BB2_2977 Depth=3
	s_andn2_saveexec_b64 s[28:29], s[34:35]
; %bb.3060:                             ;   in Loop: Header=BB2_2977 Depth=3
	v_or_b32_sdwa v21, v24, s71 dst_sel:DWORD dst_unused:UNUSED_PAD src0_sel:BYTE_3 src1_sel:DWORD
; %bb.3061:                             ;   in Loop: Header=BB2_2977 Depth=3
	s_or_b64 exec, exec, s[28:29]
	v_cmp_lt_u32_e64 s[28:29], s57, v12
	v_mov_b32_e32 v16, 0
	s_and_saveexec_b64 s[40:41], s[28:29]
	s_cbranch_execz .LBB2_3067
; %bb.3062:                             ;   in Loop: Header=BB2_2977 Depth=3
	v_lshrrev_b32_e32 v2, 24, v12
	v_cmp_ne_u32_e64 s[28:29], s70, v2
	v_bfrev_b32_e32 v16, 1
	s_and_saveexec_b64 s[34:35], s[28:29]
	s_cbranch_execz .LBB2_3066
; %bb.3063:                             ;   in Loop: Header=BB2_2977 Depth=3
	v_bfe_u32 v24, v12, 24, 7
	v_cmp_ne_u32_e64 s[28:29], s71, v24
	v_mov_b32_e32 v16, 0x7f800001
	s_and_saveexec_b64 s[36:37], s[28:29]
	s_cbranch_execz .LBB2_3065
; %bb.3064:                             ;   in Loop: Header=BB2_2977 Depth=3
	v_and_b32_e32 v16, 7, v2
	v_lshrrev_b32_e32 v30, 3, v24
	v_cmp_gt_u32_e64 s[28:29], 8, v24
	v_ffbh_u32_e32 v24, v16
	v_min_u32_e32 v34, 32, v24
	v_subrev_u32_e32 v24, 28, v34
	v_lshlrev_b64 v[24:25], v24, v[2:3]
	v_sub_u32_e32 v25, 29, v34
	v_and_b32_e32 v24, 7, v24
	v_cndmask_b32_e64 v25, v30, v25, s[28:29]
	v_cndmask_b32_e64 v16, v16, v24, s[28:29]
	v_lshlrev_b32_e32 v2, 24, v2
	v_lshlrev_b32_e32 v16, 20, v16
	v_and_b32_e32 v2, 0x80000000, v2
	v_lshl_add_u32 v24, v25, 23, v49
	v_or3_b32 v16, v2, v24, v16
.LBB2_3065:                             ;   in Loop: Header=BB2_2977 Depth=3
	s_or_b64 exec, exec, s[36:37]
.LBB2_3066:                             ;   in Loop: Header=BB2_2977 Depth=3
	s_or_b64 exec, exec, s[34:35]
.LBB2_3067:                             ;   in Loop: Header=BB2_2977 Depth=3
	s_or_b64 exec, exec, s[40:41]
	v_bfe_u32 v30, v8, 24, 3
	v_ffbh_u32_e32 v24, v30
	v_min_u32_e32 v37, 32, v24
	v_lshrrev_b32_e32 v2, 24, v8
	v_subrev_u32_e32 v24, 28, v37
	v_lshlrev_b64 v[24:25], v24, v[2:3]
	v_bfe_u32 v34, v8, 24, 7
	v_bfe_u32 v36, v2, 3, 4
	v_sub_u32_e32 v25, 29, v37
	v_and_b32_e32 v24, 7, v24
	v_cmp_gt_u32_e64 s[28:29], 8, v34
	v_cndmask_b32_e64 v25, v36, v25, s[28:29]
	v_cndmask_b32_e64 v24, v30, v24, s[28:29]
	v_lshlrev_b32_e32 v24, 20, v24
	v_and_b32_e32 v30, 0x80000000, v8
	v_lshl_add_u32 v25, v25, 23, v49
	v_or3_b32 v24, v30, v25, v24
	v_cmp_ne_u32_e64 s[28:29], s71, v34
	v_cndmask_b32_e64 v24, v5, v24, s[28:29]
	v_cmp_ne_u32_e64 s[28:29], s70, v2
	v_cndmask_b32_e64 v2, v35, v24, s[28:29]
	v_cmp_lt_u32_e64 s[28:29], s57, v8
	v_cndmask_b32_e64 v2, 0, v2, s[28:29]
	v_mul_f32_e32 v24, v2, v16
	v_and_b32_e32 v2, 0x7f800000, v24
	v_cmp_ne_u64_e64 s[28:29], s[62:63], v[2:3]
                                        ; implicit-def: $vgpr34
	s_and_saveexec_b64 s[40:41], s[28:29]
	s_xor_b64 s[34:35], exec, s[40:41]
	s_cbranch_execz .LBB2_3081
; %bb.3068:                             ;   in Loop: Header=BB2_2977 Depth=3
	v_and_b32_e32 v2, 0x7fffffff, v24
	v_cmp_gt_u64_e64 s[28:29], s[72:73], v[2:3]
	v_and_b32_sdwa v16, v24, s70 dst_sel:DWORD dst_unused:UNUSED_PAD src0_sel:BYTE_3 src1_sel:DWORD
                                        ; implicit-def: $vgpr34
	s_and_saveexec_b64 s[40:41], s[28:29]
	s_xor_b64 s[36:37], exec, s[40:41]
	s_cbranch_execz .LBB2_3078
; %bb.3069:                             ;   in Loop: Header=BB2_2977 Depth=3
	v_mov_b32_e32 v34, 0
	v_cmp_ne_u32_e64 s[28:29], 0, v24
	s_and_saveexec_b64 s[38:39], s[28:29]
	s_cbranch_execz .LBB2_3077
; %bb.3070:                             ;   in Loop: Header=BB2_2977 Depth=3
	v_and_b32_e32 v2, 0x7fffff, v24
	v_bfe_u32 v24, v24, 23, 8
	v_cmp_gt_u32_e64 s[40:41], s80, v24
	v_sub_u32_e32 v25, 0x79, v24
	v_cmp_eq_u32_e64 s[28:29], 0, v24
	v_cndmask_b32_e64 v25, 0, v25, s[40:41]
	v_or_b32_e32 v30, 0x800000, v2
	v_cndmask_b32_e64 v25, v25, v1, s[28:29]
	v_cndmask_b32_e64 v2, v30, v2, s[28:29]
	v_add_u32_e32 v30, 20, v25
	v_lshlrev_b64 v[36:37], v30, -1
	v_add_u32_e32 v30, 19, v25
	v_lshlrev_b64 v[52:53], v30, 1
	v_lshrrev_b64 v[57:58], v25, v[2:3]
	v_bfi_b32 v37, v37, 0, 0
	v_bfi_b32 v36, v36, 0, v2
	v_cmp_eq_u64_e64 s[40:41], v[36:37], v[52:53]
	v_mov_b32_e32 v59, v58
	v_mov_b32_e32 v58, v57
	s_and_saveexec_b64 s[48:49], s[40:41]
; %bb.3071:                             ;   in Loop: Header=BB2_2977 Depth=3
	v_bfe_u32 v2, v57, 20, 1
	v_add_co_u32_e64 v2, s[40:41], v57, v2
	v_add_co_u32_e64 v58, s[40:41], -1, v2
; %bb.3072:                             ;   in Loop: Header=BB2_2977 Depth=3
	s_or_b64 exec, exec, s[48:49]
	v_add_u32_e32 v2, 0xffffff81, v24
	v_cndmask_b32_e64 v2, v2, v0, s[28:29]
	v_lshrrev_b32_e32 v24, 23, v57
	v_add3_u32 v30, v25, v2, v24
	v_add_u32_e32 v25, 6, v30
	v_and_b32_e32 v2, 0xfffff, v58
	v_add_u32_e32 v2, v2, v57
	v_cmp_ne_u32_e64 s[28:29], 0, v25
                                        ; implicit-def: $vgpr57_vgpr58
                                        ; implicit-def: $vgpr24
	s_and_saveexec_b64 s[40:41], s[28:29]
	s_xor_b64 s[40:41], exec, s[40:41]
; %bb.3073:                             ;   in Loop: Header=BB2_2977 Depth=3
	v_cmp_lt_u64_e64 s[28:29], s[88:89], v[2:3]
	v_add_u32_e32 v24, 7, v30
	v_cndmask_b32_e64 v24, v25, v24, s[28:29]
	v_cndmask_b32_e64 v25, 0, 1, s[28:29]
	v_lshrrev_b64 v[57:58], v25, v[2:3]
; %bb.3074:                             ;   in Loop: Header=BB2_2977 Depth=3
	s_andn2_saveexec_b64 s[28:29], s[40:41]
; %bb.3075:                             ;   in Loop: Header=BB2_2977 Depth=3
	v_mov_b32_e32 v58, v3
	v_bfe_u32 v24, v2, 23, 1
	v_mov_b32_e32 v57, v2
; %bb.3076:                             ;   in Loop: Header=BB2_2977 Depth=3
	s_or_b64 exec, exec, s[28:29]
	v_lshrrev_b64 v[36:37], 20, v[57:58]
	v_cmp_gt_i32_e64 s[28:29], 16, v24
	v_cndmask_b32_e64 v37, 0, v37, s[28:29]
	v_cndmask_b32_e64 v36, 7, v36, s[28:29]
	v_min_i32_e32 v2, 15, v24
	v_cmp_eq_u64_e64 s[40:41], 0, v[36:37]
	v_lshlrev_b32_e32 v2, 3, v2
	v_cmp_eq_u32_e64 s[28:29], 0, v24
	v_and_b32_e32 v2, 0xf8, v2
	v_and_or_b32 v2, v36, 7, v2
	s_and_b64 s[28:29], s[28:29], s[40:41]
	v_cndmask_b32_e64 v2, v2, 0, s[28:29]
	v_or_b32_e32 v34, v2, v16
.LBB2_3077:                             ;   in Loop: Header=BB2_2977 Depth=3
	s_or_b64 exec, exec, s[38:39]
                                        ; implicit-def: $vgpr16
.LBB2_3078:                             ;   in Loop: Header=BB2_2977 Depth=3
	s_andn2_saveexec_b64 s[28:29], s[36:37]
; %bb.3079:                             ;   in Loop: Header=BB2_2977 Depth=3
	v_or_b32_e32 v34, 0x7e, v16
; %bb.3080:                             ;   in Loop: Header=BB2_2977 Depth=3
	s_or_b64 exec, exec, s[28:29]
                                        ; implicit-def: $vgpr24
.LBB2_3081:                             ;   in Loop: Header=BB2_2977 Depth=3
	s_andn2_saveexec_b64 s[28:29], s[34:35]
; %bb.3082:                             ;   in Loop: Header=BB2_2977 Depth=3
	v_or_b32_sdwa v34, v24, s71 dst_sel:DWORD dst_unused:UNUSED_PAD src0_sel:BYTE_3 src1_sel:DWORD
; %bb.3083:                             ;   in Loop: Header=BB2_2977 Depth=3
	s_or_b64 exec, exec, s[28:29]
	v_mov_b32_e32 v2, v13
	v_cmp_ne_u16_sdwa s[28:29], v13, v3 src0_sel:BYTE_0 src1_sel:DWORD
	v_mov_b32_e32 v16, 0
	s_and_saveexec_b64 s[40:41], s[28:29]
	s_cbranch_execz .LBB2_3089
; %bb.3084:                             ;   in Loop: Header=BB2_2977 Depth=3
	v_cmp_ne_u16_sdwa s[28:29], v13, s70 src0_sel:BYTE_0 src1_sel:DWORD
	v_bfrev_b32_e32 v16, 1
	s_and_saveexec_b64 s[34:35], s[28:29]
	s_cbranch_execz .LBB2_3088
; %bb.3085:                             ;   in Loop: Header=BB2_2977 Depth=3
	v_and_b32_e32 v24, 0x7f, v13
	v_cmp_ne_u32_e64 s[28:29], s71, v24
	v_mov_b32_e32 v16, 0x7f800001
	s_and_saveexec_b64 s[36:37], s[28:29]
	s_cbranch_execz .LBB2_3087
; %bb.3086:                             ;   in Loop: Header=BB2_2977 Depth=3
	v_and_b32_e32 v16, 7, v13
	v_ffbh_u32_e32 v16, v16
	v_min_u32_e32 v16, 32, v16
	v_lshrrev_b32_e32 v25, 3, v24
	v_cmp_gt_u32_e64 s[28:29], 8, v24
	v_subrev_u32_e32 v24, 28, v16
	v_sub_u32_e32 v16, 29, v16
	v_cndmask_b32_e64 v24, 0, v24, s[28:29]
	v_cndmask_b32_e64 v16, v25, v16, s[28:29]
	v_lshlrev_b64 v[24:25], v24, v[2:3]
	v_lshlrev_b32_e32 v25, 24, v2
	v_lshlrev_b32_e32 v24, 20, v24
	v_and_b32_e32 v24, 0x700000, v24
	v_and_b32_e32 v25, 0x80000000, v25
	v_lshl_add_u32 v16, v16, 23, v49
	v_or3_b32 v16, v25, v16, v24
.LBB2_3087:                             ;   in Loop: Header=BB2_2977 Depth=3
	s_or_b64 exec, exec, s[36:37]
.LBB2_3088:                             ;   in Loop: Header=BB2_2977 Depth=3
	s_or_b64 exec, exec, s[34:35]
.LBB2_3089:                             ;   in Loop: Header=BB2_2977 Depth=3
	s_or_b64 exec, exec, s[40:41]
	v_cmp_gt_i16_sdwa s[40:41], v9, s71 src0_sel:BYTE_0 src1_sel:DWORD
	s_mov_b64 s[28:29], 0
	s_and_saveexec_b64 s[44:45], s[40:41]
	s_xor_b64 s[40:41], exec, s[44:45]
	s_cbranch_execz .LBB2_3093
; %bb.3090:                             ;   in Loop: Header=BB2_2977 Depth=3
	v_cmp_eq_u16_sdwa s[44:45], v9, s70 src0_sel:BYTE_0 src1_sel:DWORD
	s_mov_b64 s[28:29], -1
	s_and_saveexec_b64 s[34:35], s[44:45]
; %bb.3091:                             ;   in Loop: Header=BB2_2977 Depth=3
	s_xor_b64 s[28:29], exec, -1
; %bb.3092:                             ;   in Loop: Header=BB2_2977 Depth=3
	s_or_b64 exec, exec, s[34:35]
	s_and_b64 s[28:29], s[28:29], exec
.LBB2_3093:                             ;   in Loop: Header=BB2_2977 Depth=3
	s_or_saveexec_b64 s[40:41], s[40:41]
	v_bfrev_b32_e32 v24, 1
	s_xor_b64 exec, exec, s[40:41]
; %bb.3094:                             ;   in Loop: Header=BB2_2977 Depth=3
	v_cmp_ne_u16_sdwa s[44:45], v9, v3 src0_sel:BYTE_0 src1_sel:DWORD
	s_andn2_b64 s[28:29], s[28:29], exec
	s_and_b64 s[44:45], s[44:45], exec
	v_mov_b32_e32 v24, 0
	s_or_b64 s[28:29], s[28:29], s[44:45]
; %bb.3095:                             ;   in Loop: Header=BB2_2977 Depth=3
	s_or_b64 exec, exec, s[40:41]
	v_mov_b32_e32 v57, v9
	v_mov_b32_e32 v58, v3
	s_and_saveexec_b64 s[40:41], s[28:29]
	s_cbranch_execz .LBB2_3097
; %bb.3096:                             ;   in Loop: Header=BB2_2977 Depth=3
	v_and_b32_e32 v24, 7, v9
	v_ffbh_u32_e32 v24, v24
	v_and_b32_e32 v30, 0x7f, v9
	v_min_u32_e32 v24, 32, v24
	v_bfe_u32 v25, v9, 3, 4
	v_subrev_u32_e32 v36, 28, v24
	v_sub_u32_e32 v24, 29, v24
	v_cmp_gt_u32_e64 s[28:29], 8, v30
	v_cndmask_b32_e64 v37, v25, v24, s[28:29]
	v_cndmask_b32_e64 v24, 0, v36, s[28:29]
	v_lshlrev_b64 v[24:25], v24, v[57:58]
	v_lshlrev_b32_e32 v25, 24, v57
	v_lshlrev_b32_e32 v24, 20, v24
	v_and_b32_e32 v24, 0x700000, v24
	v_and_b32_e32 v25, 0x80000000, v25
	v_lshl_add_u32 v36, v37, 23, v49
	v_or3_b32 v24, v25, v36, v24
	v_cmp_ne_u32_e64 s[28:29], s71, v30
	v_cndmask_b32_e64 v24, v5, v24, s[28:29]
.LBB2_3097:                             ;   in Loop: Header=BB2_2977 Depth=3
	s_or_b64 exec, exec, s[40:41]
	v_mul_f32_e32 v24, v16, v24
	v_and_b32_e32 v36, 0x7f800000, v24
	v_mov_b32_e32 v37, v3
	v_cmp_ne_u64_e64 s[28:29], s[62:63], v[36:37]
                                        ; implicit-def: $vgpr37
	s_and_saveexec_b64 s[40:41], s[28:29]
	s_xor_b64 s[34:35], exec, s[40:41]
	s_cbranch_execz .LBB2_3111
; %bb.3098:                             ;   in Loop: Header=BB2_2977 Depth=3
	v_and_b32_e32 v36, 0x7fffffff, v24
	v_mov_b32_e32 v37, v3
	v_cmp_gt_u64_e64 s[28:29], s[72:73], v[36:37]
	v_and_b32_sdwa v16, v24, s70 dst_sel:DWORD dst_unused:UNUSED_PAD src0_sel:BYTE_3 src1_sel:DWORD
                                        ; implicit-def: $vgpr37
	s_and_saveexec_b64 s[40:41], s[28:29]
	s_xor_b64 s[36:37], exec, s[40:41]
	s_cbranch_execz .LBB2_3108
; %bb.3099:                             ;   in Loop: Header=BB2_2977 Depth=3
	v_mov_b32_e32 v37, 0
	v_cmp_ne_u32_e64 s[28:29], 0, v24
	s_and_saveexec_b64 s[38:39], s[28:29]
	s_cbranch_execz .LBB2_3107
; %bb.3100:                             ;   in Loop: Header=BB2_2977 Depth=3
	v_and_b32_e32 v30, 0x7fffff, v24
	v_bfe_u32 v24, v24, 23, 8
	v_cmp_gt_u32_e64 s[40:41], s80, v24
	v_sub_u32_e32 v25, 0x79, v24
	v_cmp_eq_u32_e64 s[28:29], 0, v24
	v_cndmask_b32_e64 v25, 0, v25, s[40:41]
	v_or_b32_e32 v36, 0x800000, v30
	v_cndmask_b32_e64 v25, v25, v1, s[28:29]
	v_cndmask_b32_e64 v36, v36, v30, s[28:29]
	v_add_u32_e32 v30, 20, v25
	v_mov_b32_e32 v37, v3
	v_lshlrev_b64 v[52:53], v30, -1
	v_add_u32_e32 v30, 19, v25
	v_lshlrev_b64 v[40:41], v30, 1
	v_lshrrev_b64 v[58:59], v25, v[36:37]
	v_bfi_b32 v53, v53, 0, 0
	v_bfi_b32 v52, v52, 0, v36
	v_cmp_eq_u64_e64 s[40:41], v[52:53], v[40:41]
	v_mov_b32_e32 v60, v59
	v_mov_b32_e32 v59, v58
	s_and_saveexec_b64 s[48:49], s[40:41]
; %bb.3101:                             ;   in Loop: Header=BB2_2977 Depth=3
	v_bfe_u32 v30, v58, 20, 1
	v_add_co_u32_e64 v30, s[40:41], v58, v30
	v_add_co_u32_e64 v59, s[40:41], -1, v30
; %bb.3102:                             ;   in Loop: Header=BB2_2977 Depth=3
	s_or_b64 exec, exec, s[48:49]
	v_add_u32_e32 v24, 0xffffff81, v24
	v_cndmask_b32_e64 v24, v24, v0, s[28:29]
	v_lshrrev_b32_e32 v30, 23, v58
	v_add3_u32 v30, v25, v24, v30
	v_add_u32_e32 v25, 6, v30
	v_and_b32_e32 v24, 0xfffff, v59
	v_add_u32_e32 v58, v24, v58
	v_mov_b32_e32 v59, v3
	v_cmp_ne_u32_e64 s[28:29], 0, v25
                                        ; implicit-def: $vgpr24
	s_and_saveexec_b64 s[40:41], s[28:29]
	s_xor_b64 s[40:41], exec, s[40:41]
; %bb.3103:                             ;   in Loop: Header=BB2_2977 Depth=3
	v_cmp_lt_u64_e64 s[28:29], s[88:89], v[58:59]
	v_add_u32_e32 v24, 7, v30
	v_cndmask_b32_e64 v24, v25, v24, s[28:29]
	v_cndmask_b32_e64 v25, 0, 1, s[28:29]
	v_lshrrev_b64 v[58:59], v25, v[58:59]
; %bb.3104:                             ;   in Loop: Header=BB2_2977 Depth=3
	s_andn2_saveexec_b64 s[28:29], s[40:41]
; %bb.3105:                             ;   in Loop: Header=BB2_2977 Depth=3
	v_bfe_u32 v24, v58, 23, 1
; %bb.3106:                             ;   in Loop: Header=BB2_2977 Depth=3
	s_or_b64 exec, exec, s[28:29]
	v_lshrrev_b64 v[36:37], 20, v[58:59]
	v_cmp_gt_i32_e64 s[28:29], 16, v24
	v_cndmask_b32_e64 v37, 0, v37, s[28:29]
	v_cndmask_b32_e64 v36, 7, v36, s[28:29]
	v_cmp_eq_u32_e64 s[28:29], 0, v24
	v_min_i32_e32 v24, 15, v24
	v_cmp_eq_u64_e64 s[40:41], 0, v[36:37]
	v_lshlrev_b32_e32 v24, 3, v24
	v_and_b32_e32 v24, 0xf8, v24
	v_and_or_b32 v24, v36, 7, v24
	s_and_b64 s[28:29], s[28:29], s[40:41]
	v_cndmask_b32_e64 v24, v24, 0, s[28:29]
	v_or_b32_e32 v37, v24, v16
.LBB2_3107:                             ;   in Loop: Header=BB2_2977 Depth=3
	s_or_b64 exec, exec, s[38:39]
                                        ; implicit-def: $vgpr16
.LBB2_3108:                             ;   in Loop: Header=BB2_2977 Depth=3
	s_andn2_saveexec_b64 s[28:29], s[36:37]
; %bb.3109:                             ;   in Loop: Header=BB2_2977 Depth=3
	v_or_b32_e32 v37, 0x7e, v16
; %bb.3110:                             ;   in Loop: Header=BB2_2977 Depth=3
	s_or_b64 exec, exec, s[28:29]
                                        ; implicit-def: $vgpr24
.LBB2_3111:                             ;   in Loop: Header=BB2_2977 Depth=3
	s_andn2_saveexec_b64 s[28:29], s[34:35]
; %bb.3112:                             ;   in Loop: Header=BB2_2977 Depth=3
	v_or_b32_sdwa v37, v24, s71 dst_sel:DWORD dst_unused:UNUSED_PAD src0_sel:BYTE_3 src1_sel:DWORD
; %bb.3113:                             ;   in Loop: Header=BB2_2977 Depth=3
	s_or_b64 exec, exec, s[28:29]
	v_lshrrev_b16_e32 v30, 8, v2
	v_cmp_ne_u16_e64 s[28:29], 0, v30
	v_mov_b32_e32 v16, 0
	s_and_saveexec_b64 s[40:41], s[28:29]
	s_cbranch_execz .LBB2_3119
; %bb.3114:                             ;   in Loop: Header=BB2_2977 Depth=3
	v_cmp_ne_u16_e64 s[28:29], s70, v30
	v_bfrev_b32_e32 v16, 1
	s_and_saveexec_b64 s[34:35], s[28:29]
	s_cbranch_execz .LBB2_3118
; %bb.3115:                             ;   in Loop: Header=BB2_2977 Depth=3
	v_and_b32_e32 v24, 0x7f, v30
	v_cmp_ne_u32_e64 s[28:29], s71, v24
	v_mov_b32_e32 v16, 0x7f800001
	s_and_saveexec_b64 s[36:37], s[28:29]
	s_cbranch_execz .LBB2_3117
; %bb.3116:                             ;   in Loop: Header=BB2_2977 Depth=3
	v_and_b32_e32 v16, 7, v30
	v_lshrrev_b32_e32 v36, 3, v24
	v_cmp_gt_u32_e64 s[28:29], 8, v24
	v_ffbh_u32_e32 v24, v16
	v_min_u32_e32 v48, 32, v24
	v_subrev_u32_e32 v24, 28, v48
	v_lshlrev_b64 v[24:25], v24, v[30:31]
	v_sub_u32_e32 v25, 29, v48
	v_and_b32_e32 v24, 7, v24
	v_cndmask_b32_e64 v25, v36, v25, s[28:29]
	v_cndmask_b32_e64 v16, v16, v24, s[28:29]
	v_lshlrev_b32_e32 v2, 16, v2
	v_lshlrev_b32_e32 v16, 20, v16
	v_and_b32_e32 v2, 0x80000000, v2
	v_lshl_add_u32 v24, v25, 23, v49
	v_or3_b32 v16, v2, v24, v16
.LBB2_3117:                             ;   in Loop: Header=BB2_2977 Depth=3
	s_or_b64 exec, exec, s[36:37]
.LBB2_3118:                             ;   in Loop: Header=BB2_2977 Depth=3
	s_or_b64 exec, exec, s[34:35]
.LBB2_3119:                             ;   in Loop: Header=BB2_2977 Depth=3
	s_or_b64 exec, exec, s[40:41]
	v_lshrrev_b16_e32 v2, 8, v57
	v_cmp_lt_i16_e64 s[28:29], s71, v2
	s_mov_b64 s[40:41], 0
	s_and_saveexec_b64 s[44:45], s[28:29]
	s_xor_b64 s[34:35], exec, s[44:45]
	s_cbranch_execz .LBB2_3411
; %bb.3120:                             ;   in Loop: Header=BB2_2977 Depth=3
	v_cmp_eq_u16_e64 s[28:29], s70, v2
	s_mov_b64 s[40:41], -1
	s_and_saveexec_b64 s[36:37], s[28:29]
; %bb.3121:                             ;   in Loop: Header=BB2_2977 Depth=3
	s_xor_b64 s[40:41], exec, -1
; %bb.3122:                             ;   in Loop: Header=BB2_2977 Depth=3
	s_or_b64 exec, exec, s[36:37]
	s_and_b64 s[40:41], s[40:41], exec
	s_or_saveexec_b64 s[34:35], s[34:35]
	v_bfrev_b32_e32 v24, 1
	s_xor_b64 exec, exec, s[34:35]
	s_cbranch_execnz .LBB2_3412
.LBB2_3123:                             ;   in Loop: Header=BB2_2977 Depth=3
	s_or_b64 exec, exec, s[34:35]
	s_and_saveexec_b64 s[34:35], s[40:41]
	s_cbranch_execz .LBB2_3125
.LBB2_3124:                             ;   in Loop: Header=BB2_2977 Depth=3
	v_and_b32_e32 v30, 7, v2
	v_ffbh_u32_e32 v24, v30
	v_min_u32_e32 v52, 32, v24
	v_subrev_u32_e32 v24, 28, v52
	v_lshlrev_b64 v[24:25], v24, v[2:3]
	v_and_b32_e32 v36, 0x7f, v2
	v_bfe_u32 v48, v2, 3, 4
	v_sub_u32_e32 v25, 29, v52
	v_and_b32_e32 v24, 7, v24
	v_cmp_gt_u32_e64 s[28:29], 8, v36
	v_cndmask_b32_e64 v25, v48, v25, s[28:29]
	v_cndmask_b32_e64 v24, v30, v24, s[28:29]
	v_lshlrev_b32_e32 v2, 24, v2
	v_lshlrev_b32_e32 v24, 20, v24
	v_and_b32_e32 v2, 0x80000000, v2
	v_lshl_add_u32 v25, v25, 23, v49
	v_or3_b32 v2, v2, v25, v24
	v_cmp_ne_u32_e64 s[28:29], s71, v36
	v_cndmask_b32_e64 v24, v5, v2, s[28:29]
.LBB2_3125:                             ;   in Loop: Header=BB2_2977 Depth=3
	s_or_b64 exec, exec, s[34:35]
	v_mul_f32_e32 v24, v16, v24
	v_and_b32_e32 v2, 0x7f800000, v24
	v_cmp_ne_u64_e64 s[28:29], s[62:63], v[2:3]
                                        ; implicit-def: $vgpr30
	s_and_saveexec_b64 s[40:41], s[28:29]
	s_xor_b64 s[34:35], exec, s[40:41]
	s_cbranch_execz .LBB2_3139
; %bb.3126:                             ;   in Loop: Header=BB2_2977 Depth=3
	v_and_b32_e32 v2, 0x7fffffff, v24
	v_cmp_gt_u64_e64 s[28:29], s[72:73], v[2:3]
	v_and_b32_sdwa v16, v24, s70 dst_sel:DWORD dst_unused:UNUSED_PAD src0_sel:BYTE_3 src1_sel:DWORD
                                        ; implicit-def: $vgpr30
	s_and_saveexec_b64 s[40:41], s[28:29]
	s_xor_b64 s[36:37], exec, s[40:41]
	s_cbranch_execz .LBB2_3136
; %bb.3127:                             ;   in Loop: Header=BB2_2977 Depth=3
	v_mov_b32_e32 v30, 0
	v_cmp_ne_u32_e64 s[28:29], 0, v24
	s_and_saveexec_b64 s[38:39], s[28:29]
	s_cbranch_execz .LBB2_3135
; %bb.3128:                             ;   in Loop: Header=BB2_2977 Depth=3
	v_and_b32_e32 v2, 0x7fffff, v24
	v_bfe_u32 v24, v24, 23, 8
	v_cmp_gt_u32_e64 s[40:41], s80, v24
	v_sub_u32_e32 v25, 0x79, v24
	v_cmp_eq_u32_e64 s[28:29], 0, v24
	v_cndmask_b32_e64 v25, 0, v25, s[40:41]
	v_or_b32_e32 v30, 0x800000, v2
	v_cndmask_b32_e64 v25, v25, v1, s[28:29]
	v_cndmask_b32_e64 v2, v30, v2, s[28:29]
	v_add_u32_e32 v30, 20, v25
	v_lshlrev_b64 v[52:53], v30, -1
	v_add_u32_e32 v30, 19, v25
	v_lshlrev_b64 v[40:41], v30, 1
	v_lshrrev_b64 v[57:58], v25, v[2:3]
	v_bfi_b32 v53, v53, 0, 0
	v_bfi_b32 v52, v52, 0, v2
	v_cmp_eq_u64_e64 s[40:41], v[52:53], v[40:41]
	v_mov_b32_e32 v59, v58
	v_mov_b32_e32 v58, v57
	s_and_saveexec_b64 s[48:49], s[40:41]
; %bb.3129:                             ;   in Loop: Header=BB2_2977 Depth=3
	v_bfe_u32 v2, v57, 20, 1
	v_add_co_u32_e64 v2, s[40:41], v57, v2
	v_add_co_u32_e64 v58, s[40:41], -1, v2
; %bb.3130:                             ;   in Loop: Header=BB2_2977 Depth=3
	s_or_b64 exec, exec, s[48:49]
	v_add_u32_e32 v2, 0xffffff81, v24
	v_cndmask_b32_e64 v2, v2, v0, s[28:29]
	v_lshrrev_b32_e32 v24, 23, v57
	v_add3_u32 v30, v25, v2, v24
	v_add_u32_e32 v25, 6, v30
	v_and_b32_e32 v2, 0xfffff, v58
	v_add_u32_e32 v2, v2, v57
	v_cmp_ne_u32_e64 s[28:29], 0, v25
                                        ; implicit-def: $vgpr57_vgpr58
                                        ; implicit-def: $vgpr24
	s_and_saveexec_b64 s[40:41], s[28:29]
	s_xor_b64 s[40:41], exec, s[40:41]
; %bb.3131:                             ;   in Loop: Header=BB2_2977 Depth=3
	v_cmp_lt_u64_e64 s[28:29], s[88:89], v[2:3]
	v_add_u32_e32 v24, 7, v30
	v_cndmask_b32_e64 v24, v25, v24, s[28:29]
	v_cndmask_b32_e64 v25, 0, 1, s[28:29]
	v_lshrrev_b64 v[57:58], v25, v[2:3]
; %bb.3132:                             ;   in Loop: Header=BB2_2977 Depth=3
	s_andn2_saveexec_b64 s[28:29], s[40:41]
; %bb.3133:                             ;   in Loop: Header=BB2_2977 Depth=3
	v_mov_b32_e32 v58, v3
	v_bfe_u32 v24, v2, 23, 1
	v_mov_b32_e32 v57, v2
; %bb.3134:                             ;   in Loop: Header=BB2_2977 Depth=3
	s_or_b64 exec, exec, s[28:29]
	v_lshrrev_b64 v[52:53], 20, v[57:58]
	v_cmp_gt_i32_e64 s[28:29], 16, v24
	v_cndmask_b32_e64 v53, 0, v53, s[28:29]
	v_cndmask_b32_e64 v52, 7, v52, s[28:29]
	v_min_i32_e32 v2, 15, v24
	v_cmp_eq_u64_e64 s[40:41], 0, v[52:53]
	v_lshlrev_b32_e32 v2, 3, v2
	v_cmp_eq_u32_e64 s[28:29], 0, v24
	v_and_b32_e32 v2, 0xf8, v2
	v_and_or_b32 v2, v52, 7, v2
	s_and_b64 s[28:29], s[28:29], s[40:41]
	v_cndmask_b32_e64 v2, v2, 0, s[28:29]
	v_or_b32_e32 v30, v2, v16
.LBB2_3135:                             ;   in Loop: Header=BB2_2977 Depth=3
	s_or_b64 exec, exec, s[38:39]
                                        ; implicit-def: $vgpr16
.LBB2_3136:                             ;   in Loop: Header=BB2_2977 Depth=3
	s_andn2_saveexec_b64 s[28:29], s[36:37]
; %bb.3137:                             ;   in Loop: Header=BB2_2977 Depth=3
	v_or_b32_e32 v30, 0x7e, v16
; %bb.3138:                             ;   in Loop: Header=BB2_2977 Depth=3
	s_or_b64 exec, exec, s[28:29]
                                        ; implicit-def: $vgpr24
.LBB2_3139:                             ;   in Loop: Header=BB2_2977 Depth=3
	s_andn2_saveexec_b64 s[28:29], s[34:35]
; %bb.3140:                             ;   in Loop: Header=BB2_2977 Depth=3
	v_or_b32_sdwa v30, v24, s71 dst_sel:DWORD dst_unused:UNUSED_PAD src0_sel:BYTE_3 src1_sel:DWORD
; %bb.3141:                             ;   in Loop: Header=BB2_2977 Depth=3
	s_or_b64 exec, exec, s[28:29]
	v_lshrrev_b32_e32 v2, 16, v13
	v_cmp_ne_u16_sdwa s[28:29], v2, v3 src0_sel:BYTE_0 src1_sel:DWORD
	v_mov_b32_e32 v16, 0
	s_and_saveexec_b64 s[40:41], s[28:29]
	s_cbranch_execz .LBB2_3147
; %bb.3142:                             ;   in Loop: Header=BB2_2977 Depth=3
	v_cmp_ne_u16_sdwa s[28:29], v2, s70 src0_sel:BYTE_0 src1_sel:DWORD
	v_bfrev_b32_e32 v16, 1
	s_and_saveexec_b64 s[34:35], s[28:29]
	s_cbranch_execz .LBB2_3146
; %bb.3143:                             ;   in Loop: Header=BB2_2977 Depth=3
	v_bfe_u32 v24, v13, 16, 7
	v_cmp_ne_u32_e64 s[28:29], s71, v24
	v_mov_b32_e32 v16, 0x7f800001
	s_and_saveexec_b64 s[36:37], s[28:29]
	s_cbranch_execz .LBB2_3145
; %bb.3144:                             ;   in Loop: Header=BB2_2977 Depth=3
	v_and_b32_e32 v16, 7, v2
	v_lshrrev_b32_e32 v36, 3, v24
	v_cmp_gt_u32_e64 s[28:29], 8, v24
	v_ffbh_u32_e32 v24, v16
	v_min_u32_e32 v48, 32, v24
	v_subrev_u32_e32 v24, 28, v48
	v_lshlrev_b64 v[24:25], v24, v[2:3]
	v_sub_u32_e32 v25, 29, v48
	v_and_b32_e32 v24, 7, v24
	v_cndmask_b32_e64 v25, v36, v25, s[28:29]
	v_cndmask_b32_e64 v16, v16, v24, s[28:29]
	v_lshlrev_b32_e32 v2, 24, v2
	v_lshlrev_b32_e32 v16, 20, v16
	v_and_b32_e32 v2, 0x80000000, v2
	v_lshl_add_u32 v24, v25, 23, v49
	v_or3_b32 v16, v2, v24, v16
.LBB2_3145:                             ;   in Loop: Header=BB2_2977 Depth=3
	s_or_b64 exec, exec, s[36:37]
.LBB2_3146:                             ;   in Loop: Header=BB2_2977 Depth=3
	s_or_b64 exec, exec, s[34:35]
.LBB2_3147:                             ;   in Loop: Header=BB2_2977 Depth=3
	s_or_b64 exec, exec, s[40:41]
	v_lshrrev_b32_e32 v2, 16, v9
	v_cmp_gt_i16_sdwa s[40:41], v2, s71 src0_sel:BYTE_0 src1_sel:DWORD
	s_mov_b64 s[28:29], 0
	s_and_saveexec_b64 s[44:45], s[40:41]
	s_xor_b64 s[40:41], exec, s[44:45]
	s_cbranch_execz .LBB2_3413
; %bb.3148:                             ;   in Loop: Header=BB2_2977 Depth=3
	v_cmp_eq_u16_sdwa s[44:45], v2, s70 src0_sel:BYTE_0 src1_sel:DWORD
	s_mov_b64 s[28:29], -1
	s_and_saveexec_b64 s[34:35], s[44:45]
; %bb.3149:                             ;   in Loop: Header=BB2_2977 Depth=3
	s_xor_b64 s[28:29], exec, -1
; %bb.3150:                             ;   in Loop: Header=BB2_2977 Depth=3
	s_or_b64 exec, exec, s[34:35]
	s_and_b64 s[28:29], s[28:29], exec
	s_or_saveexec_b64 s[40:41], s[40:41]
	v_bfrev_b32_e32 v24, 1
	s_xor_b64 exec, exec, s[40:41]
	s_cbranch_execnz .LBB2_3414
.LBB2_3151:                             ;   in Loop: Header=BB2_2977 Depth=3
	s_or_b64 exec, exec, s[40:41]
	s_and_saveexec_b64 s[40:41], s[28:29]
	s_cbranch_execz .LBB2_3153
.LBB2_3152:                             ;   in Loop: Header=BB2_2977 Depth=3
	v_and_b32_e32 v36, 7, v2
	v_ffbh_u32_e32 v24, v36
	v_min_u32_e32 v53, 32, v24
	v_subrev_u32_e32 v24, 28, v53
	v_lshlrev_b64 v[24:25], v24, v[2:3]
	v_and_b32_e32 v48, 0x7f, v2
	v_bfe_u32 v52, v2, 3, 4
	v_sub_u32_e32 v25, 29, v53
	v_and_b32_e32 v24, 7, v24
	v_cmp_gt_u32_e64 s[28:29], 8, v48
	v_cndmask_b32_e64 v25, v52, v25, s[28:29]
	v_cndmask_b32_e64 v24, v36, v24, s[28:29]
	v_lshlrev_b32_e32 v2, 24, v2
	v_lshlrev_b32_e32 v24, 20, v24
	v_and_b32_e32 v2, 0x80000000, v2
	v_lshl_add_u32 v25, v25, 23, v49
	v_or3_b32 v2, v2, v25, v24
	v_cmp_ne_u32_e64 s[28:29], s71, v48
	v_cndmask_b32_e64 v24, v5, v2, s[28:29]
.LBB2_3153:                             ;   in Loop: Header=BB2_2977 Depth=3
	s_or_b64 exec, exec, s[40:41]
	v_mul_f32_e32 v24, v16, v24
	v_and_b32_e32 v2, 0x7f800000, v24
	v_cmp_ne_u64_e64 s[28:29], s[62:63], v[2:3]
                                        ; implicit-def: $vgpr52
	s_and_saveexec_b64 s[40:41], s[28:29]
	s_xor_b64 s[34:35], exec, s[40:41]
	s_cbranch_execz .LBB2_3167
; %bb.3154:                             ;   in Loop: Header=BB2_2977 Depth=3
	v_and_b32_e32 v2, 0x7fffffff, v24
	v_cmp_gt_u64_e64 s[28:29], s[72:73], v[2:3]
	v_and_b32_sdwa v16, v24, s70 dst_sel:DWORD dst_unused:UNUSED_PAD src0_sel:BYTE_3 src1_sel:DWORD
                                        ; implicit-def: $vgpr52
	s_and_saveexec_b64 s[40:41], s[28:29]
	s_xor_b64 s[36:37], exec, s[40:41]
	s_cbranch_execz .LBB2_3164
; %bb.3155:                             ;   in Loop: Header=BB2_2977 Depth=3
	v_mov_b32_e32 v52, 0
	v_cmp_ne_u32_e64 s[28:29], 0, v24
	s_and_saveexec_b64 s[38:39], s[28:29]
	s_cbranch_execz .LBB2_3163
; %bb.3156:                             ;   in Loop: Header=BB2_2977 Depth=3
	v_and_b32_e32 v2, 0x7fffff, v24
	v_bfe_u32 v24, v24, 23, 8
	v_cmp_gt_u32_e64 s[40:41], s80, v24
	v_sub_u32_e32 v25, 0x79, v24
	v_cmp_eq_u32_e64 s[28:29], 0, v24
	v_cndmask_b32_e64 v25, 0, v25, s[40:41]
	v_or_b32_e32 v36, 0x800000, v2
	v_cndmask_b32_e64 v25, v25, v1, s[28:29]
	v_cndmask_b32_e64 v2, v36, v2, s[28:29]
	v_add_u32_e32 v36, 20, v25
	v_lshlrev_b64 v[52:53], v36, -1
	v_add_u32_e32 v36, 19, v25
	v_lshlrev_b64 v[40:41], v36, 1
	v_lshrrev_b64 v[57:58], v25, v[2:3]
	v_bfi_b32 v53, v53, 0, 0
	v_bfi_b32 v52, v52, 0, v2
	v_cmp_eq_u64_e64 s[40:41], v[52:53], v[40:41]
	v_mov_b32_e32 v59, v58
	v_mov_b32_e32 v58, v57
	s_and_saveexec_b64 s[48:49], s[40:41]
; %bb.3157:                             ;   in Loop: Header=BB2_2977 Depth=3
	v_bfe_u32 v2, v57, 20, 1
	v_add_co_u32_e64 v2, s[40:41], v57, v2
	v_add_co_u32_e64 v58, s[40:41], -1, v2
; %bb.3158:                             ;   in Loop: Header=BB2_2977 Depth=3
	s_or_b64 exec, exec, s[48:49]
	v_add_u32_e32 v2, 0xffffff81, v24
	v_cndmask_b32_e64 v2, v2, v0, s[28:29]
	v_lshrrev_b32_e32 v24, 23, v57
	v_add3_u32 v36, v25, v2, v24
	v_add_u32_e32 v25, 6, v36
	v_and_b32_e32 v2, 0xfffff, v58
	v_add_u32_e32 v2, v2, v57
	v_cmp_ne_u32_e64 s[28:29], 0, v25
                                        ; implicit-def: $vgpr57_vgpr58
                                        ; implicit-def: $vgpr24
	s_and_saveexec_b64 s[40:41], s[28:29]
	s_xor_b64 s[40:41], exec, s[40:41]
; %bb.3159:                             ;   in Loop: Header=BB2_2977 Depth=3
	v_cmp_lt_u64_e64 s[28:29], s[88:89], v[2:3]
	v_add_u32_e32 v24, 7, v36
	v_cndmask_b32_e64 v24, v25, v24, s[28:29]
	v_cndmask_b32_e64 v25, 0, 1, s[28:29]
	v_lshrrev_b64 v[57:58], v25, v[2:3]
; %bb.3160:                             ;   in Loop: Header=BB2_2977 Depth=3
	s_andn2_saveexec_b64 s[28:29], s[40:41]
; %bb.3161:                             ;   in Loop: Header=BB2_2977 Depth=3
	v_mov_b32_e32 v58, v3
	v_bfe_u32 v24, v2, 23, 1
	v_mov_b32_e32 v57, v2
; %bb.3162:                             ;   in Loop: Header=BB2_2977 Depth=3
	s_or_b64 exec, exec, s[28:29]
	v_lshrrev_b64 v[52:53], 20, v[57:58]
	v_cmp_gt_i32_e64 s[28:29], 16, v24
	v_cndmask_b32_e64 v53, 0, v53, s[28:29]
	v_cndmask_b32_e64 v52, 7, v52, s[28:29]
	v_min_i32_e32 v2, 15, v24
	v_cmp_eq_u64_e64 s[40:41], 0, v[52:53]
	v_lshlrev_b32_e32 v2, 3, v2
	v_cmp_eq_u32_e64 s[28:29], 0, v24
	v_and_b32_e32 v2, 0xf8, v2
	v_and_or_b32 v2, v52, 7, v2
	s_and_b64 s[28:29], s[28:29], s[40:41]
	v_cndmask_b32_e64 v2, v2, 0, s[28:29]
	v_or_b32_e32 v52, v2, v16
.LBB2_3163:                             ;   in Loop: Header=BB2_2977 Depth=3
	s_or_b64 exec, exec, s[38:39]
                                        ; implicit-def: $vgpr16
.LBB2_3164:                             ;   in Loop: Header=BB2_2977 Depth=3
	s_andn2_saveexec_b64 s[28:29], s[36:37]
; %bb.3165:                             ;   in Loop: Header=BB2_2977 Depth=3
	v_or_b32_e32 v52, 0x7e, v16
; %bb.3166:                             ;   in Loop: Header=BB2_2977 Depth=3
	s_or_b64 exec, exec, s[28:29]
                                        ; implicit-def: $vgpr24
.LBB2_3167:                             ;   in Loop: Header=BB2_2977 Depth=3
	s_andn2_saveexec_b64 s[28:29], s[34:35]
; %bb.3168:                             ;   in Loop: Header=BB2_2977 Depth=3
	v_or_b32_sdwa v52, v24, s71 dst_sel:DWORD dst_unused:UNUSED_PAD src0_sel:BYTE_3 src1_sel:DWORD
; %bb.3169:                             ;   in Loop: Header=BB2_2977 Depth=3
	s_or_b64 exec, exec, s[28:29]
	v_cmp_lt_u64_e64 s[28:29], s[56:57], v[12:13]
	v_mov_b32_e32 v12, 0
	s_and_saveexec_b64 s[40:41], s[28:29]
	s_cbranch_execz .LBB2_3175
; %bb.3170:                             ;   in Loop: Header=BB2_2977 Depth=3
	v_lshrrev_b32_e32 v2, 24, v13
	v_cmp_ne_u32_e64 s[28:29], s70, v2
	v_bfrev_b32_e32 v12, 1
	s_and_saveexec_b64 s[34:35], s[28:29]
	s_cbranch_execz .LBB2_3174
; %bb.3171:                             ;   in Loop: Header=BB2_2977 Depth=3
	v_bfe_u32 v13, v13, 24, 7
	v_cmp_ne_u32_e64 s[28:29], s71, v13
	v_mov_b32_e32 v12, 0x7f800001
	s_and_saveexec_b64 s[36:37], s[28:29]
	s_cbranch_execz .LBB2_3173
; %bb.3172:                             ;   in Loop: Header=BB2_2977 Depth=3
	v_and_b32_e32 v16, 7, v2
	v_ffbh_u32_e32 v12, v16
	v_min_u32_e32 v25, 32, v12
	v_subrev_u32_e32 v12, 28, v25
	v_lshrrev_b32_e32 v24, 3, v13
	v_cmp_gt_u32_e64 s[28:29], 8, v13
	v_lshlrev_b64 v[12:13], v12, v[2:3]
	v_sub_u32_e32 v13, 29, v25
	v_and_b32_e32 v12, 7, v12
	v_cndmask_b32_e64 v13, v24, v13, s[28:29]
	v_cndmask_b32_e64 v12, v16, v12, s[28:29]
	v_lshlrev_b32_e32 v2, 24, v2
	v_lshlrev_b32_e32 v12, 20, v12
	v_and_b32_e32 v2, 0x80000000, v2
	v_lshl_add_u32 v13, v13, 23, v49
	v_or3_b32 v12, v2, v13, v12
.LBB2_3173:                             ;   in Loop: Header=BB2_2977 Depth=3
	s_or_b64 exec, exec, s[36:37]
.LBB2_3174:                             ;   in Loop: Header=BB2_2977 Depth=3
	s_or_b64 exec, exec, s[34:35]
.LBB2_3175:                             ;   in Loop: Header=BB2_2977 Depth=3
	s_or_b64 exec, exec, s[40:41]
	v_bfe_u32 v13, v9, 24, 3
	v_ffbh_u32_e32 v24, v13
	v_min_u32_e32 v48, 32, v24
	v_lshrrev_b32_e32 v2, 24, v9
	v_subrev_u32_e32 v24, 28, v48
	v_lshlrev_b64 v[24:25], v24, v[2:3]
	v_bfe_u32 v16, v9, 24, 7
	v_bfe_u32 v36, v2, 3, 4
	v_sub_u32_e32 v25, 29, v48
	v_and_b32_e32 v24, 7, v24
	v_cmp_gt_u32_e64 s[28:29], 8, v16
	v_cndmask_b32_e64 v25, v36, v25, s[28:29]
	v_cndmask_b32_e64 v13, v13, v24, s[28:29]
	v_lshlrev_b32_e32 v13, 20, v13
	v_and_b32_e32 v24, 0x80000000, v9
	v_lshl_add_u32 v25, v25, 23, v49
	v_or3_b32 v13, v24, v25, v13
	v_cmp_ne_u32_e64 s[28:29], s71, v16
	v_cndmask_b32_e64 v13, v5, v13, s[28:29]
	v_cmp_ne_u32_e64 s[28:29], s70, v2
	v_cndmask_b32_e64 v2, v35, v13, s[28:29]
	v_cmp_lt_u64_e64 s[28:29], s[56:57], v[8:9]
                                        ; implicit-def: $vgpr53
	v_cndmask_b32_e64 v2, 0, v2, s[28:29]
	v_mul_f32_e32 v8, v2, v12
	v_and_b32_e32 v2, 0x7f800000, v8
	v_cmp_ne_u64_e64 s[28:29], s[62:63], v[2:3]
	s_and_saveexec_b64 s[40:41], s[28:29]
	s_xor_b64 s[34:35], exec, s[40:41]
	s_cbranch_execz .LBB2_3189
; %bb.3176:                             ;   in Loop: Header=BB2_2977 Depth=3
	v_and_b32_e32 v2, 0x7fffffff, v8
	v_cmp_gt_u64_e64 s[28:29], s[72:73], v[2:3]
	v_and_b32_sdwa v16, v8, s70 dst_sel:DWORD dst_unused:UNUSED_PAD src0_sel:BYTE_3 src1_sel:DWORD
                                        ; implicit-def: $vgpr53
	s_and_saveexec_b64 s[40:41], s[28:29]
	s_xor_b64 s[36:37], exec, s[40:41]
	s_cbranch_execz .LBB2_3186
; %bb.3177:                             ;   in Loop: Header=BB2_2977 Depth=3
	v_mov_b32_e32 v53, 0
	v_cmp_ne_u32_e64 s[28:29], 0, v8
	s_and_saveexec_b64 s[38:39], s[28:29]
	s_cbranch_execz .LBB2_3185
; %bb.3178:                             ;   in Loop: Header=BB2_2977 Depth=3
	v_bfe_u32 v24, v8, 23, 8
	v_and_b32_e32 v2, 0x7fffff, v8
	v_cmp_gt_u32_e64 s[40:41], s80, v24
	v_sub_u32_e32 v8, 0x79, v24
	v_cmp_eq_u32_e64 s[28:29], 0, v24
	v_cndmask_b32_e64 v8, 0, v8, s[40:41]
	v_cndmask_b32_e64 v25, v8, v1, s[28:29]
	v_or_b32_e32 v9, 0x800000, v2
	v_add_u32_e32 v8, 20, v25
	v_cndmask_b32_e64 v2, v9, v2, s[28:29]
	v_lshlrev_b64 v[8:9], v8, -1
	v_add_u32_e32 v12, 19, v25
	v_lshlrev_b64 v[12:13], v12, 1
	v_bfi_b32 v9, v9, 0, 0
	v_bfi_b32 v8, v8, 0, v2
	v_cmp_eq_u64_e64 s[40:41], v[8:9], v[12:13]
	v_lshrrev_b64 v[8:9], v25, v[2:3]
	v_mov_b32_e32 v13, v9
	v_mov_b32_e32 v12, v8
	s_and_saveexec_b64 s[48:49], s[40:41]
; %bb.3179:                             ;   in Loop: Header=BB2_2977 Depth=3
	v_bfe_u32 v2, v8, 20, 1
	v_add_co_u32_e64 v2, s[40:41], v8, v2
	v_add_co_u32_e64 v12, s[40:41], -1, v2
; %bb.3180:                             ;   in Loop: Header=BB2_2977 Depth=3
	s_or_b64 exec, exec, s[48:49]
	v_add_u32_e32 v2, 0xffffff81, v24
	v_cndmask_b32_e64 v2, v2, v0, s[28:29]
	v_lshrrev_b32_e32 v9, 23, v8
	v_add3_u32 v24, v25, v2, v9
	v_add_u32_e32 v13, 6, v24
	v_and_b32_e32 v2, 0xfffff, v12
	v_add_u32_e32 v2, v2, v8
	v_cmp_ne_u32_e64 s[28:29], 0, v13
                                        ; implicit-def: $vgpr8_vgpr9
                                        ; implicit-def: $vgpr12
	s_and_saveexec_b64 s[40:41], s[28:29]
	s_xor_b64 s[40:41], exec, s[40:41]
; %bb.3181:                             ;   in Loop: Header=BB2_2977 Depth=3
	v_cmp_lt_u64_e64 s[28:29], s[88:89], v[2:3]
	v_add_u32_e32 v8, 7, v24
	v_cndmask_b32_e64 v12, v13, v8, s[28:29]
	v_cndmask_b32_e64 v8, 0, 1, s[28:29]
	v_lshrrev_b64 v[8:9], v8, v[2:3]
; %bb.3182:                             ;   in Loop: Header=BB2_2977 Depth=3
	s_andn2_saveexec_b64 s[28:29], s[40:41]
; %bb.3183:                             ;   in Loop: Header=BB2_2977 Depth=3
	v_mov_b32_e32 v9, v3
	v_bfe_u32 v12, v2, 23, 1
	v_mov_b32_e32 v8, v2
; %bb.3184:                             ;   in Loop: Header=BB2_2977 Depth=3
	s_or_b64 exec, exec, s[28:29]
	v_lshrrev_b64 v[8:9], 20, v[8:9]
	v_cmp_gt_i32_e64 s[28:29], 16, v12
	v_cndmask_b32_e64 v9, 0, v9, s[28:29]
	v_cndmask_b32_e64 v8, 7, v8, s[28:29]
	v_min_i32_e32 v2, 15, v12
	v_cmp_eq_u64_e64 s[40:41], 0, v[8:9]
	v_lshlrev_b32_e32 v2, 3, v2
	v_cmp_eq_u32_e64 s[28:29], 0, v12
	v_and_b32_e32 v2, 0xf8, v2
	v_and_or_b32 v2, v8, 7, v2
	s_and_b64 s[28:29], s[28:29], s[40:41]
	v_cndmask_b32_e64 v2, v2, 0, s[28:29]
	v_or_b32_e32 v53, v2, v16
.LBB2_3185:                             ;   in Loop: Header=BB2_2977 Depth=3
	s_or_b64 exec, exec, s[38:39]
                                        ; implicit-def: $vgpr16
.LBB2_3186:                             ;   in Loop: Header=BB2_2977 Depth=3
	s_andn2_saveexec_b64 s[28:29], s[36:37]
; %bb.3187:                             ;   in Loop: Header=BB2_2977 Depth=3
	v_or_b32_e32 v53, 0x7e, v16
; %bb.3188:                             ;   in Loop: Header=BB2_2977 Depth=3
	s_or_b64 exec, exec, s[28:29]
                                        ; implicit-def: $vgpr8
.LBB2_3189:                             ;   in Loop: Header=BB2_2977 Depth=3
	s_andn2_saveexec_b64 s[28:29], s[34:35]
; %bb.3190:                             ;   in Loop: Header=BB2_2977 Depth=3
	v_or_b32_sdwa v53, v8, s71 dst_sel:DWORD dst_unused:UNUSED_PAD src0_sel:BYTE_3 src1_sel:DWORD
; %bb.3191:                             ;   in Loop: Header=BB2_2977 Depth=3
	s_or_b64 exec, exec, s[28:29]
	v_cmp_ne_u16_sdwa s[28:29], v14, v3 src0_sel:BYTE_0 src1_sel:DWORD
	v_mov_b32_e32 v2, 0
	s_and_saveexec_b64 s[40:41], s[28:29]
	s_cbranch_execz .LBB2_3197
; %bb.3192:                             ;   in Loop: Header=BB2_2977 Depth=3
	v_cmp_ne_u16_sdwa s[28:29], v14, s70 src0_sel:BYTE_0 src1_sel:DWORD
	v_bfrev_b32_e32 v2, 1
	s_and_saveexec_b64 s[34:35], s[28:29]
	s_cbranch_execz .LBB2_3196
; %bb.3193:                             ;   in Loop: Header=BB2_2977 Depth=3
	v_and_b32_e32 v8, 0x7f, v14
	v_cmp_ne_u32_e64 s[28:29], s71, v8
	v_mov_b32_e32 v2, 0x7f800001
	s_and_saveexec_b64 s[36:37], s[28:29]
	s_cbranch_execz .LBB2_3195
; %bb.3194:                             ;   in Loop: Header=BB2_2977 Depth=3
	v_and_b32_e32 v2, 7, v14
	v_ffbh_u32_e32 v2, v2
	v_min_u32_e32 v2, 32, v2
	v_lshrrev_b32_e32 v9, 3, v8
	v_cmp_gt_u32_e64 s[28:29], 8, v8
	v_subrev_u32_e32 v8, 28, v2
	v_sub_u32_e32 v2, 29, v2
	v_cndmask_b32_e64 v8, 0, v8, s[28:29]
	v_cndmask_b32_e64 v2, v9, v2, s[28:29]
	v_lshlrev_b64 v[8:9], v8, v[14:15]
	v_lshlrev_b32_e32 v9, 24, v14
	v_lshlrev_b32_e32 v8, 20, v8
	v_and_b32_e32 v8, 0x700000, v8
	v_and_b32_e32 v9, 0x80000000, v9
	v_lshl_add_u32 v2, v2, 23, v49
	v_or3_b32 v2, v9, v2, v8
.LBB2_3195:                             ;   in Loop: Header=BB2_2977 Depth=3
	s_or_b64 exec, exec, s[36:37]
.LBB2_3196:                             ;   in Loop: Header=BB2_2977 Depth=3
	s_or_b64 exec, exec, s[34:35]
.LBB2_3197:                             ;   in Loop: Header=BB2_2977 Depth=3
	s_or_b64 exec, exec, s[40:41]
	v_cmp_gt_i16_sdwa s[40:41], v10, s71 src0_sel:BYTE_0 src1_sel:DWORD
	s_mov_b64 s[28:29], 0
	s_and_saveexec_b64 s[44:45], s[40:41]
	s_xor_b64 s[40:41], exec, s[44:45]
	s_cbranch_execz .LBB2_3415
; %bb.3198:                             ;   in Loop: Header=BB2_2977 Depth=3
	v_cmp_eq_u16_sdwa s[44:45], v10, s70 src0_sel:BYTE_0 src1_sel:DWORD
	s_mov_b64 s[28:29], -1
	s_and_saveexec_b64 s[34:35], s[44:45]
; %bb.3199:                             ;   in Loop: Header=BB2_2977 Depth=3
	s_xor_b64 s[28:29], exec, -1
; %bb.3200:                             ;   in Loop: Header=BB2_2977 Depth=3
	s_or_b64 exec, exec, s[34:35]
	s_and_b64 s[28:29], s[28:29], exec
	s_or_saveexec_b64 s[40:41], s[40:41]
	v_bfrev_b32_e32 v8, 1
	s_xor_b64 exec, exec, s[40:41]
	s_cbranch_execnz .LBB2_3416
.LBB2_3201:                             ;   in Loop: Header=BB2_2977 Depth=3
	s_or_b64 exec, exec, s[40:41]
	s_and_saveexec_b64 s[40:41], s[28:29]
	s_cbranch_execz .LBB2_3203
.LBB2_3202:                             ;   in Loop: Header=BB2_2977 Depth=3
	v_and_b32_e32 v8, 7, v10
	v_ffbh_u32_e32 v8, v8
	v_and_b32_e32 v12, 0x7f, v10
	v_min_u32_e32 v8, 32, v8
	v_bfe_u32 v9, v10, 3, 4
	v_subrev_u32_e32 v13, 28, v8
	v_sub_u32_e32 v8, 29, v8
	v_cmp_gt_u32_e64 s[28:29], 8, v12
	v_cndmask_b32_e64 v16, v9, v8, s[28:29]
	v_cndmask_b32_e64 v8, 0, v13, s[28:29]
	v_lshlrev_b64 v[8:9], v8, v[10:11]
	v_lshlrev_b32_e32 v9, 24, v10
	v_lshlrev_b32_e32 v8, 20, v8
	v_and_b32_e32 v8, 0x700000, v8
	v_and_b32_e32 v9, 0x80000000, v9
	v_lshl_add_u32 v13, v16, 23, v49
	v_or3_b32 v8, v9, v13, v8
	v_cmp_ne_u32_e64 s[28:29], s71, v12
	v_cndmask_b32_e64 v8, v5, v8, s[28:29]
.LBB2_3203:                             ;   in Loop: Header=BB2_2977 Depth=3
	s_or_b64 exec, exec, s[40:41]
	v_mul_f32_e32 v8, v2, v8
	v_and_b32_e32 v2, 0x7f800000, v8
	v_cmp_ne_u64_e64 s[28:29], s[62:63], v[2:3]
                                        ; implicit-def: $vgpr40
	s_and_saveexec_b64 s[40:41], s[28:29]
	s_xor_b64 s[34:35], exec, s[40:41]
	s_cbranch_execz .LBB2_3217
; %bb.3204:                             ;   in Loop: Header=BB2_2977 Depth=3
	v_and_b32_e32 v2, 0x7fffffff, v8
	v_cmp_gt_u64_e64 s[28:29], s[72:73], v[2:3]
	v_and_b32_sdwa v16, v8, s70 dst_sel:DWORD dst_unused:UNUSED_PAD src0_sel:BYTE_3 src1_sel:DWORD
                                        ; implicit-def: $vgpr40
	s_and_saveexec_b64 s[40:41], s[28:29]
	s_xor_b64 s[36:37], exec, s[40:41]
	s_cbranch_execz .LBB2_3214
; %bb.3205:                             ;   in Loop: Header=BB2_2977 Depth=3
	v_mov_b32_e32 v40, 0
	v_cmp_ne_u32_e64 s[28:29], 0, v8
	s_and_saveexec_b64 s[38:39], s[28:29]
	s_cbranch_execz .LBB2_3213
; %bb.3206:                             ;   in Loop: Header=BB2_2977 Depth=3
	v_bfe_u32 v24, v8, 23, 8
	v_and_b32_e32 v2, 0x7fffff, v8
	v_cmp_gt_u32_e64 s[40:41], s80, v24
	v_sub_u32_e32 v8, 0x79, v24
	v_cmp_eq_u32_e64 s[28:29], 0, v24
	v_cndmask_b32_e64 v8, 0, v8, s[40:41]
	v_cndmask_b32_e64 v25, v8, v1, s[28:29]
	v_or_b32_e32 v9, 0x800000, v2
	v_add_u32_e32 v8, 20, v25
	v_cndmask_b32_e64 v2, v9, v2, s[28:29]
	v_lshlrev_b64 v[8:9], v8, -1
	v_add_u32_e32 v12, 19, v25
	v_lshlrev_b64 v[12:13], v12, 1
	v_bfi_b32 v9, v9, 0, 0
	v_bfi_b32 v8, v8, 0, v2
	v_cmp_eq_u64_e64 s[40:41], v[8:9], v[12:13]
	v_lshrrev_b64 v[8:9], v25, v[2:3]
	v_mov_b32_e32 v13, v9
	v_mov_b32_e32 v12, v8
	s_and_saveexec_b64 s[48:49], s[40:41]
; %bb.3207:                             ;   in Loop: Header=BB2_2977 Depth=3
	v_bfe_u32 v2, v8, 20, 1
	v_add_co_u32_e64 v2, s[40:41], v8, v2
	v_add_co_u32_e64 v12, s[40:41], -1, v2
; %bb.3208:                             ;   in Loop: Header=BB2_2977 Depth=3
	s_or_b64 exec, exec, s[48:49]
	v_add_u32_e32 v2, 0xffffff81, v24
	v_cndmask_b32_e64 v2, v2, v0, s[28:29]
	v_lshrrev_b32_e32 v9, 23, v8
	v_add3_u32 v24, v25, v2, v9
	v_add_u32_e32 v13, 6, v24
	v_and_b32_e32 v2, 0xfffff, v12
	v_add_u32_e32 v2, v2, v8
	v_cmp_ne_u32_e64 s[28:29], 0, v13
                                        ; implicit-def: $vgpr8_vgpr9
                                        ; implicit-def: $vgpr12
	s_and_saveexec_b64 s[40:41], s[28:29]
	s_xor_b64 s[40:41], exec, s[40:41]
; %bb.3209:                             ;   in Loop: Header=BB2_2977 Depth=3
	v_cmp_lt_u64_e64 s[28:29], s[88:89], v[2:3]
	v_add_u32_e32 v8, 7, v24
	v_cndmask_b32_e64 v12, v13, v8, s[28:29]
	v_cndmask_b32_e64 v8, 0, 1, s[28:29]
	v_lshrrev_b64 v[8:9], v8, v[2:3]
; %bb.3210:                             ;   in Loop: Header=BB2_2977 Depth=3
	s_andn2_saveexec_b64 s[28:29], s[40:41]
; %bb.3211:                             ;   in Loop: Header=BB2_2977 Depth=3
	v_mov_b32_e32 v9, v3
	v_bfe_u32 v12, v2, 23, 1
	v_mov_b32_e32 v8, v2
; %bb.3212:                             ;   in Loop: Header=BB2_2977 Depth=3
	s_or_b64 exec, exec, s[28:29]
	v_lshrrev_b64 v[8:9], 20, v[8:9]
	v_cmp_gt_i32_e64 s[28:29], 16, v12
	v_cndmask_b32_e64 v9, 0, v9, s[28:29]
	v_cndmask_b32_e64 v8, 7, v8, s[28:29]
	v_min_i32_e32 v2, 15, v12
	v_cmp_eq_u64_e64 s[40:41], 0, v[8:9]
	v_lshlrev_b32_e32 v2, 3, v2
	v_cmp_eq_u32_e64 s[28:29], 0, v12
	v_and_b32_e32 v2, 0xf8, v2
	v_and_or_b32 v2, v8, 7, v2
	s_and_b64 s[28:29], s[28:29], s[40:41]
	v_cndmask_b32_e64 v2, v2, 0, s[28:29]
	v_or_b32_e32 v40, v2, v16
.LBB2_3213:                             ;   in Loop: Header=BB2_2977 Depth=3
	s_or_b64 exec, exec, s[38:39]
                                        ; implicit-def: $vgpr16
.LBB2_3214:                             ;   in Loop: Header=BB2_2977 Depth=3
	s_andn2_saveexec_b64 s[28:29], s[36:37]
; %bb.3215:                             ;   in Loop: Header=BB2_2977 Depth=3
	v_or_b32_e32 v40, 0x7e, v16
; %bb.3216:                             ;   in Loop: Header=BB2_2977 Depth=3
	s_or_b64 exec, exec, s[28:29]
                                        ; implicit-def: $vgpr8
.LBB2_3217:                             ;   in Loop: Header=BB2_2977 Depth=3
	s_andn2_saveexec_b64 s[28:29], s[34:35]
; %bb.3218:                             ;   in Loop: Header=BB2_2977 Depth=3
	v_or_b32_sdwa v40, v8, s71 dst_sel:DWORD dst_unused:UNUSED_PAD src0_sel:BYTE_3 src1_sel:DWORD
; %bb.3219:                             ;   in Loop: Header=BB2_2977 Depth=3
	s_or_b64 exec, exec, s[28:29]
	v_lshrrev_b16_e32 v2, 8, v14
	v_cmp_ne_u16_e64 s[28:29], 0, v2
	v_mov_b32_e32 v8, 0
	s_and_saveexec_b64 s[40:41], s[28:29]
	s_cbranch_execz .LBB2_3225
; %bb.3220:                             ;   in Loop: Header=BB2_2977 Depth=3
	v_cmp_ne_u16_e64 s[28:29], s70, v2
	v_bfrev_b32_e32 v8, 1
	s_and_saveexec_b64 s[34:35], s[28:29]
	s_cbranch_execz .LBB2_3224
; %bb.3221:                             ;   in Loop: Header=BB2_2977 Depth=3
	v_and_b32_e32 v9, 0x7f, v2
	v_cmp_ne_u32_e64 s[28:29], s71, v9
	v_mov_b32_e32 v8, 0x7f800001
	s_and_saveexec_b64 s[36:37], s[28:29]
	s_cbranch_execz .LBB2_3223
; %bb.3222:                             ;   in Loop: Header=BB2_2977 Depth=3
	v_and_b32_e32 v12, 7, v2
	v_ffbh_u32_e32 v8, v12
	v_min_u32_e32 v16, 32, v8
	v_subrev_u32_e32 v8, 28, v16
	v_lshrrev_b32_e32 v13, 3, v9
	v_cmp_gt_u32_e64 s[28:29], 8, v9
	v_lshlrev_b64 v[8:9], v8, v[2:3]
	v_sub_u32_e32 v2, 29, v16
	v_and_b32_e32 v8, 7, v8
	v_cndmask_b32_e64 v2, v13, v2, s[28:29]
	v_cndmask_b32_e64 v8, v12, v8, s[28:29]
	v_lshlrev_b32_e32 v9, 16, v14
	v_lshlrev_b32_e32 v8, 20, v8
	v_and_b32_e32 v9, 0x80000000, v9
	v_lshl_add_u32 v2, v2, 23, v49
	v_or3_b32 v8, v9, v2, v8
.LBB2_3223:                             ;   in Loop: Header=BB2_2977 Depth=3
	s_or_b64 exec, exec, s[36:37]
.LBB2_3224:                             ;   in Loop: Header=BB2_2977 Depth=3
	s_or_b64 exec, exec, s[34:35]
.LBB2_3225:                             ;   in Loop: Header=BB2_2977 Depth=3
	s_or_b64 exec, exec, s[40:41]
	v_lshrrev_b16_e32 v2, 8, v10
	v_cmp_lt_i16_e64 s[28:29], s71, v2
	s_mov_b64 s[40:41], 0
	s_and_saveexec_b64 s[44:45], s[28:29]
	s_xor_b64 s[34:35], exec, s[44:45]
	s_cbranch_execz .LBB2_3417
; %bb.3226:                             ;   in Loop: Header=BB2_2977 Depth=3
	v_cmp_eq_u16_e64 s[28:29], s70, v2
	s_mov_b64 s[40:41], -1
	s_and_saveexec_b64 s[36:37], s[28:29]
; %bb.3227:                             ;   in Loop: Header=BB2_2977 Depth=3
	s_xor_b64 s[40:41], exec, -1
; %bb.3228:                             ;   in Loop: Header=BB2_2977 Depth=3
	s_or_b64 exec, exec, s[36:37]
	s_and_b64 s[40:41], s[40:41], exec
	s_or_saveexec_b64 s[34:35], s[34:35]
	v_bfrev_b32_e32 v9, 1
	s_xor_b64 exec, exec, s[34:35]
	s_cbranch_execnz .LBB2_3418
.LBB2_3229:                             ;   in Loop: Header=BB2_2977 Depth=3
	s_or_b64 exec, exec, s[34:35]
	s_and_saveexec_b64 s[34:35], s[40:41]
	s_cbranch_execz .LBB2_3231
.LBB2_3230:                             ;   in Loop: Header=BB2_2977 Depth=3
	v_and_b32_e32 v9, 7, v2
	v_ffbh_u32_e32 v12, v9
	v_min_u32_e32 v25, 32, v12
	v_subrev_u32_e32 v12, 28, v25
	v_lshlrev_b64 v[12:13], v12, v[2:3]
	v_and_b32_e32 v16, 0x7f, v2
	v_bfe_u32 v24, v2, 3, 4
	v_sub_u32_e32 v13, 29, v25
	v_and_b32_e32 v12, 7, v12
	v_cmp_gt_u32_e64 s[28:29], 8, v16
	v_cndmask_b32_e64 v13, v24, v13, s[28:29]
	v_cndmask_b32_e64 v9, v9, v12, s[28:29]
	v_lshlrev_b32_e32 v2, 24, v2
	v_lshlrev_b32_e32 v9, 20, v9
	v_and_b32_e32 v2, 0x80000000, v2
	v_lshl_add_u32 v12, v13, 23, v49
	v_or3_b32 v2, v2, v12, v9
	v_cmp_ne_u32_e64 s[28:29], s71, v16
	v_cndmask_b32_e64 v9, v5, v2, s[28:29]
.LBB2_3231:                             ;   in Loop: Header=BB2_2977 Depth=3
	s_or_b64 exec, exec, s[34:35]
	v_mul_f32_e32 v8, v8, v9
	v_and_b32_e32 v2, 0x7f800000, v8
	v_cmp_ne_u64_e64 s[28:29], s[62:63], v[2:3]
                                        ; implicit-def: $vgpr16
	s_and_saveexec_b64 s[40:41], s[28:29]
	s_xor_b64 s[34:35], exec, s[40:41]
	s_cbranch_execz .LBB2_3245
; %bb.3232:                             ;   in Loop: Header=BB2_2977 Depth=3
	v_and_b32_e32 v2, 0x7fffffff, v8
	v_cmp_gt_u64_e64 s[28:29], s[72:73], v[2:3]
	v_and_b32_sdwa v24, v8, s70 dst_sel:DWORD dst_unused:UNUSED_PAD src0_sel:BYTE_3 src1_sel:DWORD
                                        ; implicit-def: $vgpr16
	s_and_saveexec_b64 s[40:41], s[28:29]
	s_xor_b64 s[36:37], exec, s[40:41]
	s_cbranch_execz .LBB2_3242
; %bb.3233:                             ;   in Loop: Header=BB2_2977 Depth=3
	v_mov_b32_e32 v16, 0
	v_cmp_ne_u32_e64 s[28:29], 0, v8
	s_and_saveexec_b64 s[38:39], s[28:29]
	s_cbranch_execz .LBB2_3241
; %bb.3234:                             ;   in Loop: Header=BB2_2977 Depth=3
	v_bfe_u32 v16, v8, 23, 8
	v_and_b32_e32 v2, 0x7fffff, v8
	v_cmp_gt_u32_e64 s[40:41], s80, v16
	v_sub_u32_e32 v8, 0x79, v16
	v_cmp_eq_u32_e64 s[28:29], 0, v16
	v_cndmask_b32_e64 v8, 0, v8, s[40:41]
	v_cndmask_b32_e64 v25, v8, v1, s[28:29]
	v_or_b32_e32 v9, 0x800000, v2
	v_add_u32_e32 v8, 20, v25
	v_cndmask_b32_e64 v2, v9, v2, s[28:29]
	v_lshlrev_b64 v[8:9], v8, -1
	v_add_u32_e32 v12, 19, v25
	v_lshlrev_b64 v[12:13], v12, 1
	v_bfi_b32 v9, v9, 0, 0
	v_bfi_b32 v8, v8, 0, v2
	v_cmp_eq_u64_e64 s[40:41], v[8:9], v[12:13]
	v_lshrrev_b64 v[8:9], v25, v[2:3]
	v_mov_b32_e32 v13, v9
	v_mov_b32_e32 v12, v8
	s_and_saveexec_b64 s[48:49], s[40:41]
; %bb.3235:                             ;   in Loop: Header=BB2_2977 Depth=3
	v_bfe_u32 v2, v8, 20, 1
	v_add_co_u32_e64 v2, s[40:41], v8, v2
	v_add_co_u32_e64 v12, s[40:41], -1, v2
; %bb.3236:                             ;   in Loop: Header=BB2_2977 Depth=3
	s_or_b64 exec, exec, s[48:49]
	v_add_u32_e32 v2, 0xffffff81, v16
	v_cndmask_b32_e64 v2, v2, v0, s[28:29]
	v_lshrrev_b32_e32 v9, 23, v8
	v_add3_u32 v16, v25, v2, v9
	v_add_u32_e32 v13, 6, v16
	v_and_b32_e32 v2, 0xfffff, v12
	v_add_u32_e32 v2, v2, v8
	v_cmp_ne_u32_e64 s[28:29], 0, v13
                                        ; implicit-def: $vgpr8_vgpr9
                                        ; implicit-def: $vgpr12
	s_and_saveexec_b64 s[40:41], s[28:29]
	s_xor_b64 s[40:41], exec, s[40:41]
; %bb.3237:                             ;   in Loop: Header=BB2_2977 Depth=3
	v_cmp_lt_u64_e64 s[28:29], s[88:89], v[2:3]
	v_add_u32_e32 v8, 7, v16
	v_cndmask_b32_e64 v12, v13, v8, s[28:29]
	v_cndmask_b32_e64 v8, 0, 1, s[28:29]
	v_lshrrev_b64 v[8:9], v8, v[2:3]
; %bb.3238:                             ;   in Loop: Header=BB2_2977 Depth=3
	s_andn2_saveexec_b64 s[28:29], s[40:41]
; %bb.3239:                             ;   in Loop: Header=BB2_2977 Depth=3
	v_mov_b32_e32 v9, v3
	v_bfe_u32 v12, v2, 23, 1
	v_mov_b32_e32 v8, v2
; %bb.3240:                             ;   in Loop: Header=BB2_2977 Depth=3
	s_or_b64 exec, exec, s[28:29]
	v_lshrrev_b64 v[8:9], 20, v[8:9]
	v_cmp_gt_i32_e64 s[28:29], 16, v12
	v_cndmask_b32_e64 v9, 0, v9, s[28:29]
	v_cndmask_b32_e64 v8, 7, v8, s[28:29]
	v_min_i32_e32 v2, 15, v12
	v_cmp_eq_u64_e64 s[40:41], 0, v[8:9]
	v_lshlrev_b32_e32 v2, 3, v2
	v_cmp_eq_u32_e64 s[28:29], 0, v12
	v_and_b32_e32 v2, 0xf8, v2
	v_and_or_b32 v2, v8, 7, v2
	s_and_b64 s[28:29], s[28:29], s[40:41]
	v_cndmask_b32_e64 v2, v2, 0, s[28:29]
	v_or_b32_e32 v16, v2, v24
.LBB2_3241:                             ;   in Loop: Header=BB2_2977 Depth=3
	s_or_b64 exec, exec, s[38:39]
                                        ; implicit-def: $vgpr24
.LBB2_3242:                             ;   in Loop: Header=BB2_2977 Depth=3
	s_andn2_saveexec_b64 s[28:29], s[36:37]
; %bb.3243:                             ;   in Loop: Header=BB2_2977 Depth=3
	v_or_b32_e32 v16, 0x7e, v24
; %bb.3244:                             ;   in Loop: Header=BB2_2977 Depth=3
	s_or_b64 exec, exec, s[28:29]
                                        ; implicit-def: $vgpr8
.LBB2_3245:                             ;   in Loop: Header=BB2_2977 Depth=3
	s_andn2_saveexec_b64 s[28:29], s[34:35]
; %bb.3246:                             ;   in Loop: Header=BB2_2977 Depth=3
	v_or_b32_sdwa v16, v8, s71 dst_sel:DWORD dst_unused:UNUSED_PAD src0_sel:BYTE_3 src1_sel:DWORD
; %bb.3247:                             ;   in Loop: Header=BB2_2977 Depth=3
	s_or_b64 exec, exec, s[28:29]
	v_lshrrev_b32_e32 v2, 16, v14
	v_cmp_ne_u16_sdwa s[28:29], v2, v3 src0_sel:BYTE_0 src1_sel:DWORD
	v_mov_b32_e32 v8, 0
	s_and_saveexec_b64 s[40:41], s[28:29]
	s_cbranch_execz .LBB2_3253
; %bb.3248:                             ;   in Loop: Header=BB2_2977 Depth=3
	v_cmp_ne_u16_sdwa s[28:29], v2, s70 src0_sel:BYTE_0 src1_sel:DWORD
	v_bfrev_b32_e32 v8, 1
	s_and_saveexec_b64 s[34:35], s[28:29]
	s_cbranch_execz .LBB2_3252
; %bb.3249:                             ;   in Loop: Header=BB2_2977 Depth=3
	v_bfe_u32 v9, v14, 16, 7
	v_cmp_ne_u32_e64 s[28:29], s71, v9
	v_mov_b32_e32 v8, 0x7f800001
	s_and_saveexec_b64 s[36:37], s[28:29]
	s_cbranch_execz .LBB2_3251
; %bb.3250:                             ;   in Loop: Header=BB2_2977 Depth=3
	v_and_b32_e32 v12, 7, v2
	v_ffbh_u32_e32 v8, v12
	v_min_u32_e32 v24, 32, v8
	v_subrev_u32_e32 v8, 28, v24
	v_lshrrev_b32_e32 v13, 3, v9
	v_cmp_gt_u32_e64 s[28:29], 8, v9
	v_lshlrev_b64 v[8:9], v8, v[2:3]
	v_sub_u32_e32 v9, 29, v24
	v_and_b32_e32 v8, 7, v8
	v_cndmask_b32_e64 v9, v13, v9, s[28:29]
	v_cndmask_b32_e64 v8, v12, v8, s[28:29]
	v_lshlrev_b32_e32 v2, 24, v2
	v_lshlrev_b32_e32 v8, 20, v8
	v_and_b32_e32 v2, 0x80000000, v2
	v_lshl_add_u32 v9, v9, 23, v49
	v_or3_b32 v8, v2, v9, v8
.LBB2_3251:                             ;   in Loop: Header=BB2_2977 Depth=3
	s_or_b64 exec, exec, s[36:37]
.LBB2_3252:                             ;   in Loop: Header=BB2_2977 Depth=3
	s_or_b64 exec, exec, s[34:35]
.LBB2_3253:                             ;   in Loop: Header=BB2_2977 Depth=3
	s_or_b64 exec, exec, s[40:41]
	v_lshrrev_b32_e32 v2, 16, v10
	v_cmp_gt_i16_sdwa s[40:41], v2, s71 src0_sel:BYTE_0 src1_sel:DWORD
	s_mov_b64 s[28:29], 0
	s_and_saveexec_b64 s[44:45], s[40:41]
	s_xor_b64 s[40:41], exec, s[44:45]
	s_cbranch_execz .LBB2_3419
; %bb.3254:                             ;   in Loop: Header=BB2_2977 Depth=3
	v_cmp_eq_u16_sdwa s[44:45], v2, s70 src0_sel:BYTE_0 src1_sel:DWORD
	s_mov_b64 s[28:29], -1
	s_and_saveexec_b64 s[34:35], s[44:45]
; %bb.3255:                             ;   in Loop: Header=BB2_2977 Depth=3
	s_xor_b64 s[28:29], exec, -1
; %bb.3256:                             ;   in Loop: Header=BB2_2977 Depth=3
	s_or_b64 exec, exec, s[34:35]
	s_and_b64 s[28:29], s[28:29], exec
	s_or_saveexec_b64 s[40:41], s[40:41]
	v_bfrev_b32_e32 v9, 1
	s_xor_b64 exec, exec, s[40:41]
	s_cbranch_execnz .LBB2_3420
.LBB2_3257:                             ;   in Loop: Header=BB2_2977 Depth=3
	s_or_b64 exec, exec, s[40:41]
	s_and_saveexec_b64 s[40:41], s[28:29]
	s_cbranch_execz .LBB2_3259
.LBB2_3258:                             ;   in Loop: Header=BB2_2977 Depth=3
	v_and_b32_e32 v9, 7, v2
	v_ffbh_u32_e32 v12, v9
	v_min_u32_e32 v36, 32, v12
	v_subrev_u32_e32 v12, 28, v36
	v_lshlrev_b64 v[12:13], v12, v[2:3]
	v_and_b32_e32 v24, 0x7f, v2
	v_bfe_u32 v25, v2, 3, 4
	v_sub_u32_e32 v13, 29, v36
	v_and_b32_e32 v12, 7, v12
	v_cmp_gt_u32_e64 s[28:29], 8, v24
	v_cndmask_b32_e64 v13, v25, v13, s[28:29]
	v_cndmask_b32_e64 v9, v9, v12, s[28:29]
	v_lshlrev_b32_e32 v2, 24, v2
	v_lshlrev_b32_e32 v9, 20, v9
	v_and_b32_e32 v2, 0x80000000, v2
	v_lshl_add_u32 v12, v13, 23, v49
	v_or3_b32 v2, v2, v12, v9
	v_cmp_ne_u32_e64 s[28:29], s71, v24
	v_cndmask_b32_e64 v9, v5, v2, s[28:29]
.LBB2_3259:                             ;   in Loop: Header=BB2_2977 Depth=3
	s_or_b64 exec, exec, s[40:41]
	v_mul_f32_e32 v8, v8, v9
	v_and_b32_e32 v2, 0x7f800000, v8
	v_cmp_ne_u64_e64 s[28:29], s[62:63], v[2:3]
                                        ; implicit-def: $vgpr48
	s_and_saveexec_b64 s[40:41], s[28:29]
	s_xor_b64 s[34:35], exec, s[40:41]
	s_cbranch_execz .LBB2_3273
; %bb.3260:                             ;   in Loop: Header=BB2_2977 Depth=3
	v_and_b32_e32 v2, 0x7fffffff, v8
	v_cmp_gt_u64_e64 s[28:29], s[72:73], v[2:3]
	v_and_b32_sdwa v24, v8, s70 dst_sel:DWORD dst_unused:UNUSED_PAD src0_sel:BYTE_3 src1_sel:DWORD
                                        ; implicit-def: $vgpr48
	s_and_saveexec_b64 s[40:41], s[28:29]
	s_xor_b64 s[36:37], exec, s[40:41]
	s_cbranch_execz .LBB2_3270
; %bb.3261:                             ;   in Loop: Header=BB2_2977 Depth=3
	v_mov_b32_e32 v48, 0
	v_cmp_ne_u32_e64 s[28:29], 0, v8
	s_and_saveexec_b64 s[38:39], s[28:29]
	s_cbranch_execz .LBB2_3269
; %bb.3262:                             ;   in Loop: Header=BB2_2977 Depth=3
	v_bfe_u32 v25, v8, 23, 8
	v_and_b32_e32 v2, 0x7fffff, v8
	v_cmp_gt_u32_e64 s[40:41], s80, v25
	v_sub_u32_e32 v8, 0x79, v25
	v_cmp_eq_u32_e64 s[28:29], 0, v25
	v_cndmask_b32_e64 v8, 0, v8, s[40:41]
	v_cndmask_b32_e64 v36, v8, v1, s[28:29]
	v_or_b32_e32 v9, 0x800000, v2
	v_add_u32_e32 v8, 20, v36
	v_cndmask_b32_e64 v2, v9, v2, s[28:29]
	v_lshlrev_b64 v[8:9], v8, -1
	v_add_u32_e32 v12, 19, v36
	v_lshlrev_b64 v[12:13], v12, 1
	v_bfi_b32 v9, v9, 0, 0
	v_bfi_b32 v8, v8, 0, v2
	v_cmp_eq_u64_e64 s[40:41], v[8:9], v[12:13]
	v_lshrrev_b64 v[8:9], v36, v[2:3]
	v_mov_b32_e32 v13, v9
	v_mov_b32_e32 v12, v8
	s_and_saveexec_b64 s[48:49], s[40:41]
; %bb.3263:                             ;   in Loop: Header=BB2_2977 Depth=3
	v_bfe_u32 v2, v8, 20, 1
	v_add_co_u32_e64 v2, s[40:41], v8, v2
	v_add_co_u32_e64 v12, s[40:41], -1, v2
; %bb.3264:                             ;   in Loop: Header=BB2_2977 Depth=3
	s_or_b64 exec, exec, s[48:49]
	v_add_u32_e32 v2, 0xffffff81, v25
	v_cndmask_b32_e64 v2, v2, v0, s[28:29]
	v_lshrrev_b32_e32 v9, 23, v8
	v_add3_u32 v25, v36, v2, v9
	v_add_u32_e32 v13, 6, v25
	v_and_b32_e32 v2, 0xfffff, v12
	v_add_u32_e32 v2, v2, v8
	v_cmp_ne_u32_e64 s[28:29], 0, v13
                                        ; implicit-def: $vgpr8_vgpr9
                                        ; implicit-def: $vgpr12
	s_and_saveexec_b64 s[40:41], s[28:29]
	s_xor_b64 s[40:41], exec, s[40:41]
; %bb.3265:                             ;   in Loop: Header=BB2_2977 Depth=3
	v_cmp_lt_u64_e64 s[28:29], s[88:89], v[2:3]
	v_add_u32_e32 v8, 7, v25
	v_cndmask_b32_e64 v12, v13, v8, s[28:29]
	v_cndmask_b32_e64 v8, 0, 1, s[28:29]
	v_lshrrev_b64 v[8:9], v8, v[2:3]
; %bb.3266:                             ;   in Loop: Header=BB2_2977 Depth=3
	s_andn2_saveexec_b64 s[28:29], s[40:41]
; %bb.3267:                             ;   in Loop: Header=BB2_2977 Depth=3
	v_mov_b32_e32 v9, v3
	v_bfe_u32 v12, v2, 23, 1
	v_mov_b32_e32 v8, v2
; %bb.3268:                             ;   in Loop: Header=BB2_2977 Depth=3
	s_or_b64 exec, exec, s[28:29]
	v_lshrrev_b64 v[8:9], 20, v[8:9]
	v_cmp_gt_i32_e64 s[28:29], 16, v12
	v_cndmask_b32_e64 v9, 0, v9, s[28:29]
	v_cndmask_b32_e64 v8, 7, v8, s[28:29]
	v_min_i32_e32 v2, 15, v12
	v_cmp_eq_u64_e64 s[40:41], 0, v[8:9]
	v_lshlrev_b32_e32 v2, 3, v2
	v_cmp_eq_u32_e64 s[28:29], 0, v12
	v_and_b32_e32 v2, 0xf8, v2
	v_and_or_b32 v2, v8, 7, v2
	s_and_b64 s[28:29], s[28:29], s[40:41]
	v_cndmask_b32_e64 v2, v2, 0, s[28:29]
	v_or_b32_e32 v48, v2, v24
.LBB2_3269:                             ;   in Loop: Header=BB2_2977 Depth=3
	s_or_b64 exec, exec, s[38:39]
                                        ; implicit-def: $vgpr24
.LBB2_3270:                             ;   in Loop: Header=BB2_2977 Depth=3
	s_andn2_saveexec_b64 s[28:29], s[36:37]
; %bb.3271:                             ;   in Loop: Header=BB2_2977 Depth=3
	v_or_b32_e32 v48, 0x7e, v24
; %bb.3272:                             ;   in Loop: Header=BB2_2977 Depth=3
	s_or_b64 exec, exec, s[28:29]
                                        ; implicit-def: $vgpr8
.LBB2_3273:                             ;   in Loop: Header=BB2_2977 Depth=3
	s_andn2_saveexec_b64 s[28:29], s[34:35]
; %bb.3274:                             ;   in Loop: Header=BB2_2977 Depth=3
	v_or_b32_sdwa v48, v8, s71 dst_sel:DWORD dst_unused:UNUSED_PAD src0_sel:BYTE_3 src1_sel:DWORD
; %bb.3275:                             ;   in Loop: Header=BB2_2977 Depth=3
	s_or_b64 exec, exec, s[28:29]
	v_cmp_lt_u32_e64 s[28:29], s57, v14
	v_mov_b32_e32 v8, 0
	s_and_saveexec_b64 s[40:41], s[28:29]
	s_cbranch_execz .LBB2_3281
; %bb.3276:                             ;   in Loop: Header=BB2_2977 Depth=3
	v_lshrrev_b32_e32 v2, 24, v14
	v_cmp_ne_u32_e64 s[28:29], s70, v2
	v_bfrev_b32_e32 v8, 1
	s_and_saveexec_b64 s[34:35], s[28:29]
	s_cbranch_execz .LBB2_3280
; %bb.3277:                             ;   in Loop: Header=BB2_2977 Depth=3
	v_bfe_u32 v9, v14, 24, 7
	v_cmp_ne_u32_e64 s[28:29], s71, v9
	v_mov_b32_e32 v8, 0x7f800001
	s_and_saveexec_b64 s[36:37], s[28:29]
	s_cbranch_execz .LBB2_3279
; %bb.3278:                             ;   in Loop: Header=BB2_2977 Depth=3
	v_and_b32_e32 v12, 7, v2
	v_ffbh_u32_e32 v8, v12
	v_min_u32_e32 v24, 32, v8
	v_subrev_u32_e32 v8, 28, v24
	v_lshrrev_b32_e32 v13, 3, v9
	v_cmp_gt_u32_e64 s[28:29], 8, v9
	v_lshlrev_b64 v[8:9], v8, v[2:3]
	v_sub_u32_e32 v9, 29, v24
	v_and_b32_e32 v8, 7, v8
	v_cndmask_b32_e64 v9, v13, v9, s[28:29]
	v_cndmask_b32_e64 v8, v12, v8, s[28:29]
	v_lshlrev_b32_e32 v2, 24, v2
	v_lshlrev_b32_e32 v8, 20, v8
	v_and_b32_e32 v2, 0x80000000, v2
	v_lshl_add_u32 v9, v9, 23, v49
	v_or3_b32 v8, v2, v9, v8
.LBB2_3279:                             ;   in Loop: Header=BB2_2977 Depth=3
	s_or_b64 exec, exec, s[36:37]
.LBB2_3280:                             ;   in Loop: Header=BB2_2977 Depth=3
	s_or_b64 exec, exec, s[34:35]
.LBB2_3281:                             ;   in Loop: Header=BB2_2977 Depth=3
	s_or_b64 exec, exec, s[40:41]
	v_bfe_u32 v9, v10, 24, 3
	v_ffbh_u32_e32 v12, v9
	v_min_u32_e32 v36, 32, v12
	v_lshrrev_b32_e32 v2, 24, v10
	v_subrev_u32_e32 v12, 28, v36
	v_lshlrev_b64 v[12:13], v12, v[2:3]
	v_bfe_u32 v24, v10, 24, 7
	v_bfe_u32 v25, v2, 3, 4
	v_sub_u32_e32 v13, 29, v36
	v_and_b32_e32 v12, 7, v12
	v_cmp_gt_u32_e64 s[28:29], 8, v24
	v_cndmask_b32_e64 v13, v25, v13, s[28:29]
	v_cndmask_b32_e64 v9, v9, v12, s[28:29]
	v_lshlrev_b32_e32 v9, 20, v9
	v_and_b32_e32 v12, 0x80000000, v10
	v_lshl_add_u32 v13, v13, 23, v49
	v_or3_b32 v9, v12, v13, v9
	v_cmp_ne_u32_e64 s[28:29], s71, v24
	v_cndmask_b32_e64 v9, v5, v9, s[28:29]
	v_cmp_ne_u32_e64 s[28:29], s70, v2
	v_cndmask_b32_e64 v2, v35, v9, s[28:29]
	v_cmp_lt_u32_e64 s[28:29], s57, v10
	v_cndmask_b32_e64 v2, 0, v2, s[28:29]
	v_mul_f32_e32 v8, v2, v8
	v_and_b32_e32 v2, 0x7f800000, v8
	v_cmp_ne_u64_e64 s[28:29], s[62:63], v[2:3]
                                        ; implicit-def: $vgpr41
	s_and_saveexec_b64 s[40:41], s[28:29]
	s_xor_b64 s[34:35], exec, s[40:41]
	s_cbranch_execz .LBB2_3295
; %bb.3282:                             ;   in Loop: Header=BB2_2977 Depth=3
	v_and_b32_e32 v2, 0x7fffffff, v8
	v_cmp_gt_u64_e64 s[28:29], s[72:73], v[2:3]
	v_and_b32_sdwa v24, v8, s70 dst_sel:DWORD dst_unused:UNUSED_PAD src0_sel:BYTE_3 src1_sel:DWORD
                                        ; implicit-def: $vgpr41
	s_and_saveexec_b64 s[40:41], s[28:29]
	s_xor_b64 s[36:37], exec, s[40:41]
	s_cbranch_execz .LBB2_3292
; %bb.3283:                             ;   in Loop: Header=BB2_2977 Depth=3
	v_mov_b32_e32 v41, 0
	v_cmp_ne_u32_e64 s[28:29], 0, v8
	s_and_saveexec_b64 s[38:39], s[28:29]
	s_cbranch_execz .LBB2_3291
; %bb.3284:                             ;   in Loop: Header=BB2_2977 Depth=3
	v_bfe_u32 v25, v8, 23, 8
	v_and_b32_e32 v2, 0x7fffff, v8
	v_cmp_gt_u32_e64 s[40:41], s80, v25
	v_sub_u32_e32 v8, 0x79, v25
	v_cmp_eq_u32_e64 s[28:29], 0, v25
	v_cndmask_b32_e64 v8, 0, v8, s[40:41]
	v_cndmask_b32_e64 v36, v8, v1, s[28:29]
	v_or_b32_e32 v9, 0x800000, v2
	v_add_u32_e32 v8, 20, v36
	v_cndmask_b32_e64 v2, v9, v2, s[28:29]
	v_lshlrev_b64 v[8:9], v8, -1
	v_add_u32_e32 v12, 19, v36
	v_lshlrev_b64 v[12:13], v12, 1
	v_bfi_b32 v9, v9, 0, 0
	v_bfi_b32 v8, v8, 0, v2
	v_cmp_eq_u64_e64 s[40:41], v[8:9], v[12:13]
	v_lshrrev_b64 v[8:9], v36, v[2:3]
	v_mov_b32_e32 v13, v9
	v_mov_b32_e32 v12, v8
	s_and_saveexec_b64 s[48:49], s[40:41]
; %bb.3285:                             ;   in Loop: Header=BB2_2977 Depth=3
	v_bfe_u32 v2, v8, 20, 1
	v_add_co_u32_e64 v2, s[40:41], v8, v2
	v_add_co_u32_e64 v12, s[40:41], -1, v2
; %bb.3286:                             ;   in Loop: Header=BB2_2977 Depth=3
	s_or_b64 exec, exec, s[48:49]
	v_add_u32_e32 v2, 0xffffff81, v25
	v_cndmask_b32_e64 v2, v2, v0, s[28:29]
	v_lshrrev_b32_e32 v9, 23, v8
	v_add3_u32 v25, v36, v2, v9
	v_add_u32_e32 v13, 6, v25
	v_and_b32_e32 v2, 0xfffff, v12
	v_add_u32_e32 v2, v2, v8
	v_cmp_ne_u32_e64 s[28:29], 0, v13
                                        ; implicit-def: $vgpr8_vgpr9
                                        ; implicit-def: $vgpr12
	s_and_saveexec_b64 s[40:41], s[28:29]
	s_xor_b64 s[40:41], exec, s[40:41]
; %bb.3287:                             ;   in Loop: Header=BB2_2977 Depth=3
	v_cmp_lt_u64_e64 s[28:29], s[88:89], v[2:3]
	v_add_u32_e32 v8, 7, v25
	v_cndmask_b32_e64 v12, v13, v8, s[28:29]
	v_cndmask_b32_e64 v8, 0, 1, s[28:29]
	v_lshrrev_b64 v[8:9], v8, v[2:3]
; %bb.3288:                             ;   in Loop: Header=BB2_2977 Depth=3
	s_andn2_saveexec_b64 s[28:29], s[40:41]
; %bb.3289:                             ;   in Loop: Header=BB2_2977 Depth=3
	v_mov_b32_e32 v9, v3
	v_bfe_u32 v12, v2, 23, 1
	v_mov_b32_e32 v8, v2
; %bb.3290:                             ;   in Loop: Header=BB2_2977 Depth=3
	s_or_b64 exec, exec, s[28:29]
	v_lshrrev_b64 v[8:9], 20, v[8:9]
	v_cmp_gt_i32_e64 s[28:29], 16, v12
	v_cndmask_b32_e64 v9, 0, v9, s[28:29]
	v_cndmask_b32_e64 v8, 7, v8, s[28:29]
	v_min_i32_e32 v2, 15, v12
	v_cmp_eq_u64_e64 s[40:41], 0, v[8:9]
	v_lshlrev_b32_e32 v2, 3, v2
	v_cmp_eq_u32_e64 s[28:29], 0, v12
	v_and_b32_e32 v2, 0xf8, v2
	v_and_or_b32 v2, v8, 7, v2
	s_and_b64 s[28:29], s[28:29], s[40:41]
	v_cndmask_b32_e64 v2, v2, 0, s[28:29]
	v_or_b32_e32 v41, v2, v24
.LBB2_3291:                             ;   in Loop: Header=BB2_2977 Depth=3
	s_or_b64 exec, exec, s[38:39]
                                        ; implicit-def: $vgpr24
.LBB2_3292:                             ;   in Loop: Header=BB2_2977 Depth=3
	s_andn2_saveexec_b64 s[28:29], s[36:37]
; %bb.3293:                             ;   in Loop: Header=BB2_2977 Depth=3
	v_or_b32_e32 v41, 0x7e, v24
; %bb.3294:                             ;   in Loop: Header=BB2_2977 Depth=3
	s_or_b64 exec, exec, s[28:29]
                                        ; implicit-def: $vgpr8
.LBB2_3295:                             ;   in Loop: Header=BB2_2977 Depth=3
	s_andn2_saveexec_b64 s[28:29], s[34:35]
; %bb.3296:                             ;   in Loop: Header=BB2_2977 Depth=3
	v_or_b32_sdwa v41, v8, s71 dst_sel:DWORD dst_unused:UNUSED_PAD src0_sel:BYTE_3 src1_sel:DWORD
; %bb.3297:                             ;   in Loop: Header=BB2_2977 Depth=3
	s_or_b64 exec, exec, s[28:29]
	v_mov_b32_e32 v2, v15
	v_cmp_ne_u16_sdwa s[28:29], v15, v3 src0_sel:BYTE_0 src1_sel:DWORD
	v_mov_b32_e32 v12, 0
	s_and_saveexec_b64 s[40:41], s[28:29]
	s_cbranch_execz .LBB2_3303
; %bb.3298:                             ;   in Loop: Header=BB2_2977 Depth=3
	v_cmp_ne_u16_sdwa s[28:29], v15, s70 src0_sel:BYTE_0 src1_sel:DWORD
	v_bfrev_b32_e32 v12, 1
	s_and_saveexec_b64 s[34:35], s[28:29]
	s_cbranch_execz .LBB2_3302
; %bb.3299:                             ;   in Loop: Header=BB2_2977 Depth=3
	v_and_b32_e32 v8, 0x7f, v15
	v_cmp_ne_u32_e64 s[28:29], s71, v8
	v_mov_b32_e32 v12, 0x7f800001
	s_and_saveexec_b64 s[36:37], s[28:29]
	s_cbranch_execz .LBB2_3301
; %bb.3300:                             ;   in Loop: Header=BB2_2977 Depth=3
	v_and_b32_e32 v9, 7, v15
	v_lshrrev_b32_e32 v12, 3, v8
	v_cmp_gt_u32_e64 s[28:29], 8, v8
	v_ffbh_u32_e32 v8, v9
	v_min_u32_e32 v8, 32, v8
	v_subrev_u32_e32 v9, 28, v8
	v_sub_u32_e32 v8, 29, v8
	v_cndmask_b32_e64 v12, v12, v8, s[28:29]
	v_cndmask_b32_e64 v8, 0, v9, s[28:29]
	v_lshlrev_b64 v[8:9], v8, v[2:3]
	v_lshlrev_b32_e32 v9, 24, v2
	v_lshlrev_b32_e32 v8, 20, v8
	v_and_b32_e32 v8, 0x700000, v8
	v_and_b32_e32 v9, 0x80000000, v9
	v_lshl_add_u32 v12, v12, 23, v49
	v_or3_b32 v12, v9, v12, v8
.LBB2_3301:                             ;   in Loop: Header=BB2_2977 Depth=3
	s_or_b64 exec, exec, s[36:37]
.LBB2_3302:                             ;   in Loop: Header=BB2_2977 Depth=3
	s_or_b64 exec, exec, s[34:35]
.LBB2_3303:                             ;   in Loop: Header=BB2_2977 Depth=3
	s_or_b64 exec, exec, s[40:41]
	v_cmp_gt_i16_sdwa s[40:41], v11, s71 src0_sel:BYTE_0 src1_sel:DWORD
	s_mov_b64 s[28:29], 0
	s_and_saveexec_b64 s[44:45], s[40:41]
	s_xor_b64 s[40:41], exec, s[44:45]
	s_cbranch_execz .LBB2_3307
; %bb.3304:                             ;   in Loop: Header=BB2_2977 Depth=3
	v_cmp_eq_u16_sdwa s[44:45], v11, s70 src0_sel:BYTE_0 src1_sel:DWORD
	s_mov_b64 s[28:29], -1
	s_and_saveexec_b64 s[34:35], s[44:45]
; %bb.3305:                             ;   in Loop: Header=BB2_2977 Depth=3
	s_xor_b64 s[28:29], exec, -1
; %bb.3306:                             ;   in Loop: Header=BB2_2977 Depth=3
	s_or_b64 exec, exec, s[34:35]
	s_and_b64 s[28:29], s[28:29], exec
.LBB2_3307:                             ;   in Loop: Header=BB2_2977 Depth=3
	s_or_saveexec_b64 s[40:41], s[40:41]
	v_bfrev_b32_e32 v13, 1
	s_xor_b64 exec, exec, s[40:41]
; %bb.3308:                             ;   in Loop: Header=BB2_2977 Depth=3
	v_cmp_ne_u16_sdwa s[44:45], v11, v3 src0_sel:BYTE_0 src1_sel:DWORD
	s_andn2_b64 s[28:29], s[28:29], exec
	s_and_b64 s[44:45], s[44:45], exec
	v_mov_b32_e32 v13, 0
	s_or_b64 s[28:29], s[28:29], s[44:45]
; %bb.3309:                             ;   in Loop: Header=BB2_2977 Depth=3
	s_or_b64 exec, exec, s[40:41]
	v_mov_b32_e32 v8, v11
	v_mov_b32_e32 v9, v3
	s_and_saveexec_b64 s[40:41], s[28:29]
	s_cbranch_execz .LBB2_3311
; %bb.3310:                             ;   in Loop: Header=BB2_2977 Depth=3
	v_and_b32_e32 v13, 7, v11
	v_ffbh_u32_e32 v13, v13
	v_and_b32_e32 v36, 0x7f, v11
	v_min_u32_e32 v13, 32, v13
	v_bfe_u32 v24, v11, 3, 4
	v_subrev_u32_e32 v25, 28, v13
	v_sub_u32_e32 v13, 29, v13
	v_cmp_gt_u32_e64 s[28:29], 8, v36
	v_cndmask_b32_e64 v13, v24, v13, s[28:29]
	v_cndmask_b32_e64 v24, 0, v25, s[28:29]
	v_lshlrev_b64 v[24:25], v24, v[8:9]
	v_lshl_add_u32 v13, v13, 23, v49
	v_lshlrev_b32_e32 v9, 20, v24
	v_lshlrev_b32_e32 v24, 24, v8
	v_and_b32_e32 v9, 0x700000, v9
	v_and_b32_e32 v24, 0x80000000, v24
	v_or3_b32 v9, v24, v13, v9
	v_cmp_ne_u32_e64 s[28:29], s71, v36
	v_cndmask_b32_e64 v13, v5, v9, s[28:29]
.LBB2_3311:                             ;   in Loop: Header=BB2_2977 Depth=3
	s_or_b64 exec, exec, s[40:41]
	v_mul_f32_e32 v12, v12, v13
	v_and_b32_e32 v24, 0x7f800000, v12
	v_mov_b32_e32 v25, v3
	v_cmp_ne_u64_e64 s[28:29], s[62:63], v[24:25]
                                        ; implicit-def: $vgpr24
	s_and_saveexec_b64 s[40:41], s[28:29]
	s_xor_b64 s[34:35], exec, s[40:41]
	s_cbranch_execz .LBB2_3325
; %bb.3312:                             ;   in Loop: Header=BB2_2977 Depth=3
	v_and_b32_e32 v24, 0x7fffffff, v12
	v_mov_b32_e32 v25, v3
	v_cmp_gt_u64_e64 s[28:29], s[72:73], v[24:25]
	v_and_b32_sdwa v9, v12, s70 dst_sel:DWORD dst_unused:UNUSED_PAD src0_sel:BYTE_3 src1_sel:DWORD
                                        ; implicit-def: $vgpr24
	s_and_saveexec_b64 s[40:41], s[28:29]
	s_xor_b64 s[36:37], exec, s[40:41]
	s_cbranch_execz .LBB2_3322
; %bb.3313:                             ;   in Loop: Header=BB2_2977 Depth=3
	v_mov_b32_e32 v24, 0
	v_cmp_ne_u32_e64 s[28:29], 0, v12
	s_and_saveexec_b64 s[38:39], s[28:29]
	s_cbranch_execz .LBB2_3321
; %bb.3314:                             ;   in Loop: Header=BB2_2977 Depth=3
	v_bfe_u32 v24, v12, 23, 8
	v_and_b32_e32 v13, 0x7fffff, v12
	v_cmp_gt_u32_e64 s[40:41], s80, v24
	v_sub_u32_e32 v12, 0x79, v24
	v_cmp_eq_u32_e64 s[28:29], 0, v24
	v_cndmask_b32_e64 v12, 0, v12, s[40:41]
	v_or_b32_e32 v36, 0x800000, v13
	v_cndmask_b32_e64 v25, v12, v1, s[28:29]
	v_cndmask_b32_e64 v12, v36, v13, s[28:29]
	v_add_u32_e32 v36, 20, v25
	v_lshlrev_b64 v[57:58], v36, -1
	v_mov_b32_e32 v13, v3
	v_add_u32_e32 v36, 19, v25
	v_bfi_b32 v57, v57, 0, v12
	v_lshlrev_b64 v[59:60], v36, 1
	v_lshrrev_b64 v[12:13], v25, v[12:13]
	v_bfi_b32 v58, v58, 0, 0
	v_cmp_eq_u64_e64 s[40:41], v[57:58], v[59:60]
	v_mov_b32_e32 v58, v13
	v_mov_b32_e32 v57, v12
	s_and_saveexec_b64 s[48:49], s[40:41]
; %bb.3315:                             ;   in Loop: Header=BB2_2977 Depth=3
	v_bfe_u32 v13, v12, 20, 1
	v_add_co_u32_e64 v13, s[40:41], v12, v13
	v_add_co_u32_e64 v57, s[40:41], -1, v13
; %bb.3316:                             ;   in Loop: Header=BB2_2977 Depth=3
	s_or_b64 exec, exec, s[48:49]
	v_add_u32_e32 v13, 0xffffff81, v24
	v_cndmask_b32_e64 v13, v13, v0, s[28:29]
	v_lshrrev_b32_e32 v24, 23, v12
	v_add3_u32 v36, v25, v13, v24
	v_add_u32_e32 v25, 6, v36
	v_and_b32_e32 v13, 0xfffff, v57
	v_add_u32_e32 v12, v13, v12
	v_mov_b32_e32 v13, v3
	v_cmp_ne_u32_e64 s[28:29], 0, v25
                                        ; implicit-def: $vgpr24
	s_and_saveexec_b64 s[40:41], s[28:29]
	s_xor_b64 s[40:41], exec, s[40:41]
; %bb.3317:                             ;   in Loop: Header=BB2_2977 Depth=3
	v_cmp_lt_u64_e64 s[28:29], s[88:89], v[12:13]
	v_add_u32_e32 v24, 7, v36
	v_cndmask_b32_e64 v24, v25, v24, s[28:29]
	v_cndmask_b32_e64 v25, 0, 1, s[28:29]
	v_lshrrev_b64 v[12:13], v25, v[12:13]
; %bb.3318:                             ;   in Loop: Header=BB2_2977 Depth=3
	s_andn2_saveexec_b64 s[28:29], s[40:41]
; %bb.3319:                             ;   in Loop: Header=BB2_2977 Depth=3
	v_bfe_u32 v24, v12, 23, 1
; %bb.3320:                             ;   in Loop: Header=BB2_2977 Depth=3
	s_or_b64 exec, exec, s[28:29]
	v_lshrrev_b64 v[12:13], 20, v[12:13]
	v_cmp_gt_i32_e64 s[28:29], 16, v24
	v_cndmask_b32_e64 v13, 0, v13, s[28:29]
	v_cndmask_b32_e64 v12, 7, v12, s[28:29]
	v_cmp_eq_u64_e64 s[40:41], 0, v[12:13]
	v_min_i32_e32 v13, 15, v24
	v_lshlrev_b32_e32 v13, 3, v13
	v_cmp_eq_u32_e64 s[28:29], 0, v24
	v_and_b32_e32 v13, 0xf8, v13
	v_and_or_b32 v12, v12, 7, v13
	s_and_b64 s[28:29], s[28:29], s[40:41]
	v_cndmask_b32_e64 v12, v12, 0, s[28:29]
	v_or_b32_e32 v24, v12, v9
.LBB2_3321:                             ;   in Loop: Header=BB2_2977 Depth=3
	s_or_b64 exec, exec, s[38:39]
                                        ; implicit-def: $vgpr9
.LBB2_3322:                             ;   in Loop: Header=BB2_2977 Depth=3
	s_andn2_saveexec_b64 s[28:29], s[36:37]
; %bb.3323:                             ;   in Loop: Header=BB2_2977 Depth=3
	v_or_b32_e32 v24, 0x7e, v9
; %bb.3324:                             ;   in Loop: Header=BB2_2977 Depth=3
	s_or_b64 exec, exec, s[28:29]
                                        ; implicit-def: $vgpr12
.LBB2_3325:                             ;   in Loop: Header=BB2_2977 Depth=3
	s_andn2_saveexec_b64 s[28:29], s[34:35]
; %bb.3326:                             ;   in Loop: Header=BB2_2977 Depth=3
	v_or_b32_sdwa v24, v12, s71 dst_sel:DWORD dst_unused:UNUSED_PAD src0_sel:BYTE_3 src1_sel:DWORD
; %bb.3327:                             ;   in Loop: Header=BB2_2977 Depth=3
	s_or_b64 exec, exec, s[28:29]
	v_lshrrev_b16_e32 v9, 8, v2
	v_cmp_ne_u16_e64 s[28:29], 0, v9
	v_mov_b32_e32 v12, 0
	s_and_saveexec_b64 s[40:41], s[28:29]
	s_cbranch_execz .LBB2_3333
; %bb.3328:                             ;   in Loop: Header=BB2_2977 Depth=3
	v_cmp_ne_u16_e64 s[28:29], s70, v9
	v_bfrev_b32_e32 v12, 1
	s_and_saveexec_b64 s[34:35], s[28:29]
	s_cbranch_execz .LBB2_3332
; %bb.3329:                             ;   in Loop: Header=BB2_2977 Depth=3
	v_and_b32_e32 v13, 0x7f, v9
	v_cmp_ne_u32_e64 s[28:29], s71, v13
	v_mov_b32_e32 v12, 0x7f800001
	s_and_saveexec_b64 s[36:37], s[28:29]
	s_cbranch_execz .LBB2_3331
; %bb.3330:                             ;   in Loop: Header=BB2_2977 Depth=3
	v_and_b32_e32 v25, 7, v9
	v_ffbh_u32_e32 v12, v25
	v_min_u32_e32 v57, 32, v12
	v_subrev_u32_e32 v12, 28, v57
	v_lshrrev_b32_e32 v36, 3, v13
	v_cmp_gt_u32_e64 s[28:29], 8, v13
	v_lshlrev_b64 v[12:13], v12, v[9:10]
	v_sub_u32_e32 v9, 29, v57
	v_and_b32_e32 v12, 7, v12
	v_cndmask_b32_e64 v9, v36, v9, s[28:29]
	v_cndmask_b32_e64 v12, v25, v12, s[28:29]
	v_lshlrev_b32_e32 v2, 16, v2
	v_lshlrev_b32_e32 v12, 20, v12
	v_and_b32_e32 v2, 0x80000000, v2
	v_lshl_add_u32 v9, v9, 23, v49
	v_or3_b32 v12, v2, v9, v12
.LBB2_3331:                             ;   in Loop: Header=BB2_2977 Depth=3
	s_or_b64 exec, exec, s[36:37]
.LBB2_3332:                             ;   in Loop: Header=BB2_2977 Depth=3
	s_or_b64 exec, exec, s[34:35]
.LBB2_3333:                             ;   in Loop: Header=BB2_2977 Depth=3
	s_or_b64 exec, exec, s[40:41]
	v_lshrrev_b16_e32 v2, 8, v8
	v_cmp_lt_i16_e64 s[28:29], s71, v2
	s_mov_b64 s[40:41], 0
	s_and_saveexec_b64 s[44:45], s[28:29]
	s_xor_b64 s[34:35], exec, s[44:45]
	s_cbranch_execz .LBB2_3421
; %bb.3334:                             ;   in Loop: Header=BB2_2977 Depth=3
	v_cmp_eq_u16_e64 s[28:29], s70, v2
	s_mov_b64 s[40:41], -1
	s_and_saveexec_b64 s[36:37], s[28:29]
; %bb.3335:                             ;   in Loop: Header=BB2_2977 Depth=3
	s_xor_b64 s[40:41], exec, -1
; %bb.3336:                             ;   in Loop: Header=BB2_2977 Depth=3
	s_or_b64 exec, exec, s[36:37]
	s_and_b64 s[40:41], s[40:41], exec
	s_or_saveexec_b64 s[34:35], s[34:35]
	v_bfrev_b32_e32 v8, 1
	s_xor_b64 exec, exec, s[34:35]
	s_cbranch_execnz .LBB2_3422
.LBB2_3337:                             ;   in Loop: Header=BB2_2977 Depth=3
	s_or_b64 exec, exec, s[34:35]
	s_and_saveexec_b64 s[34:35], s[40:41]
	s_cbranch_execz .LBB2_3339
.LBB2_3338:                             ;   in Loop: Header=BB2_2977 Depth=3
	v_and_b32_e32 v13, 7, v2
	v_ffbh_u32_e32 v8, v13
	v_min_u32_e32 v57, 32, v8
	v_subrev_u32_e32 v8, 28, v57
	v_lshlrev_b64 v[8:9], v8, v[2:3]
	v_and_b32_e32 v25, 0x7f, v2
	v_bfe_u32 v36, v2, 3, 4
	v_sub_u32_e32 v9, 29, v57
	v_and_b32_e32 v8, 7, v8
	v_cmp_gt_u32_e64 s[28:29], 8, v25
	v_cndmask_b32_e64 v9, v36, v9, s[28:29]
	v_cndmask_b32_e64 v8, v13, v8, s[28:29]
	v_lshlrev_b32_e32 v2, 24, v2
	v_lshlrev_b32_e32 v8, 20, v8
	v_and_b32_e32 v2, 0x80000000, v2
	v_lshl_add_u32 v9, v9, 23, v49
	v_or3_b32 v2, v2, v9, v8
	v_cmp_ne_u32_e64 s[28:29], s71, v25
	v_cndmask_b32_e64 v8, v5, v2, s[28:29]
.LBB2_3339:                             ;   in Loop: Header=BB2_2977 Depth=3
	s_or_b64 exec, exec, s[34:35]
	v_mul_f32_e32 v8, v12, v8
	v_and_b32_e32 v2, 0x7f800000, v8
	v_cmp_ne_u64_e64 s[28:29], s[62:63], v[2:3]
                                        ; implicit-def: $vgpr25
	s_and_saveexec_b64 s[40:41], s[28:29]
	s_xor_b64 s[34:35], exec, s[40:41]
	s_cbranch_execz .LBB2_3353
; %bb.3340:                             ;   in Loop: Header=BB2_2977 Depth=3
	v_and_b32_e32 v2, 0x7fffffff, v8
	v_cmp_gt_u64_e64 s[28:29], s[72:73], v[2:3]
	v_and_b32_sdwa v57, v8, s70 dst_sel:DWORD dst_unused:UNUSED_PAD src0_sel:BYTE_3 src1_sel:DWORD
                                        ; implicit-def: $vgpr25
	s_and_saveexec_b64 s[40:41], s[28:29]
	s_xor_b64 s[36:37], exec, s[40:41]
	s_cbranch_execz .LBB2_3350
; %bb.3341:                             ;   in Loop: Header=BB2_2977 Depth=3
	v_mov_b32_e32 v25, 0
	v_cmp_ne_u32_e64 s[28:29], 0, v8
	s_and_saveexec_b64 s[38:39], s[28:29]
	s_cbranch_execz .LBB2_3349
; %bb.3342:                             ;   in Loop: Header=BB2_2977 Depth=3
	v_bfe_u32 v25, v8, 23, 8
	v_and_b32_e32 v2, 0x7fffff, v8
	v_cmp_gt_u32_e64 s[40:41], s80, v25
	v_sub_u32_e32 v8, 0x79, v25
	v_cmp_eq_u32_e64 s[28:29], 0, v25
	v_cndmask_b32_e64 v8, 0, v8, s[40:41]
	v_cndmask_b32_e64 v36, v8, v1, s[28:29]
	v_or_b32_e32 v9, 0x800000, v2
	v_add_u32_e32 v8, 20, v36
	v_cndmask_b32_e64 v2, v9, v2, s[28:29]
	v_lshlrev_b64 v[8:9], v8, -1
	v_add_u32_e32 v12, 19, v36
	v_lshlrev_b64 v[12:13], v12, 1
	v_bfi_b32 v9, v9, 0, 0
	v_bfi_b32 v8, v8, 0, v2
	v_cmp_eq_u64_e64 s[40:41], v[8:9], v[12:13]
	v_lshrrev_b64 v[8:9], v36, v[2:3]
	v_mov_b32_e32 v13, v9
	v_mov_b32_e32 v12, v8
	s_and_saveexec_b64 s[48:49], s[40:41]
; %bb.3343:                             ;   in Loop: Header=BB2_2977 Depth=3
	v_bfe_u32 v2, v8, 20, 1
	v_add_co_u32_e64 v2, s[40:41], v8, v2
	v_add_co_u32_e64 v12, s[40:41], -1, v2
; %bb.3344:                             ;   in Loop: Header=BB2_2977 Depth=3
	s_or_b64 exec, exec, s[48:49]
	v_add_u32_e32 v2, 0xffffff81, v25
	v_cndmask_b32_e64 v2, v2, v0, s[28:29]
	v_lshrrev_b32_e32 v9, 23, v8
	v_add3_u32 v25, v36, v2, v9
	v_add_u32_e32 v13, 6, v25
	v_and_b32_e32 v2, 0xfffff, v12
	v_add_u32_e32 v2, v2, v8
	v_cmp_ne_u32_e64 s[28:29], 0, v13
                                        ; implicit-def: $vgpr8_vgpr9
                                        ; implicit-def: $vgpr12
	s_and_saveexec_b64 s[40:41], s[28:29]
	s_xor_b64 s[40:41], exec, s[40:41]
; %bb.3345:                             ;   in Loop: Header=BB2_2977 Depth=3
	v_cmp_lt_u64_e64 s[28:29], s[88:89], v[2:3]
	v_add_u32_e32 v8, 7, v25
	v_cndmask_b32_e64 v12, v13, v8, s[28:29]
	v_cndmask_b32_e64 v8, 0, 1, s[28:29]
	v_lshrrev_b64 v[8:9], v8, v[2:3]
; %bb.3346:                             ;   in Loop: Header=BB2_2977 Depth=3
	s_andn2_saveexec_b64 s[28:29], s[40:41]
; %bb.3347:                             ;   in Loop: Header=BB2_2977 Depth=3
	v_mov_b32_e32 v9, v3
	v_bfe_u32 v12, v2, 23, 1
	v_mov_b32_e32 v8, v2
; %bb.3348:                             ;   in Loop: Header=BB2_2977 Depth=3
	s_or_b64 exec, exec, s[28:29]
	v_lshrrev_b64 v[8:9], 20, v[8:9]
	v_cmp_gt_i32_e64 s[28:29], 16, v12
	v_cndmask_b32_e64 v9, 0, v9, s[28:29]
	v_cndmask_b32_e64 v8, 7, v8, s[28:29]
	v_min_i32_e32 v2, 15, v12
	v_cmp_eq_u64_e64 s[40:41], 0, v[8:9]
	v_lshlrev_b32_e32 v2, 3, v2
	v_cmp_eq_u32_e64 s[28:29], 0, v12
	v_and_b32_e32 v2, 0xf8, v2
	v_and_or_b32 v2, v8, 7, v2
	s_and_b64 s[28:29], s[28:29], s[40:41]
	v_cndmask_b32_e64 v2, v2, 0, s[28:29]
	v_or_b32_e32 v25, v2, v57
.LBB2_3349:                             ;   in Loop: Header=BB2_2977 Depth=3
	s_or_b64 exec, exec, s[38:39]
                                        ; implicit-def: $vgpr57
.LBB2_3350:                             ;   in Loop: Header=BB2_2977 Depth=3
	s_andn2_saveexec_b64 s[28:29], s[36:37]
; %bb.3351:                             ;   in Loop: Header=BB2_2977 Depth=3
	v_or_b32_e32 v25, 0x7e, v57
; %bb.3352:                             ;   in Loop: Header=BB2_2977 Depth=3
	s_or_b64 exec, exec, s[28:29]
                                        ; implicit-def: $vgpr8
.LBB2_3353:                             ;   in Loop: Header=BB2_2977 Depth=3
	s_andn2_saveexec_b64 s[28:29], s[34:35]
; %bb.3354:                             ;   in Loop: Header=BB2_2977 Depth=3
	v_or_b32_sdwa v25, v8, s71 dst_sel:DWORD dst_unused:UNUSED_PAD src0_sel:BYTE_3 src1_sel:DWORD
; %bb.3355:                             ;   in Loop: Header=BB2_2977 Depth=3
	s_or_b64 exec, exec, s[28:29]
	v_lshrrev_b32_e32 v2, 16, v15
	v_cmp_ne_u16_sdwa s[28:29], v2, v3 src0_sel:BYTE_0 src1_sel:DWORD
	v_mov_b32_e32 v8, 0
	s_and_saveexec_b64 s[40:41], s[28:29]
	s_cbranch_execz .LBB2_3361
; %bb.3356:                             ;   in Loop: Header=BB2_2977 Depth=3
	v_cmp_ne_u16_sdwa s[28:29], v2, s70 src0_sel:BYTE_0 src1_sel:DWORD
	v_bfrev_b32_e32 v8, 1
	s_and_saveexec_b64 s[34:35], s[28:29]
	s_cbranch_execz .LBB2_3360
; %bb.3357:                             ;   in Loop: Header=BB2_2977 Depth=3
	v_bfe_u32 v9, v15, 16, 7
	v_cmp_ne_u32_e64 s[28:29], s71, v9
	v_mov_b32_e32 v8, 0x7f800001
	s_and_saveexec_b64 s[36:37], s[28:29]
	s_cbranch_execz .LBB2_3359
; %bb.3358:                             ;   in Loop: Header=BB2_2977 Depth=3
	v_and_b32_e32 v12, 7, v2
	v_ffbh_u32_e32 v8, v12
	v_min_u32_e32 v36, 32, v8
	v_subrev_u32_e32 v8, 28, v36
	v_lshrrev_b32_e32 v13, 3, v9
	v_cmp_gt_u32_e64 s[28:29], 8, v9
	v_lshlrev_b64 v[8:9], v8, v[2:3]
	v_sub_u32_e32 v9, 29, v36
	v_and_b32_e32 v8, 7, v8
	v_cndmask_b32_e64 v9, v13, v9, s[28:29]
	v_cndmask_b32_e64 v8, v12, v8, s[28:29]
	v_lshlrev_b32_e32 v2, 24, v2
	v_lshlrev_b32_e32 v8, 20, v8
	v_and_b32_e32 v2, 0x80000000, v2
	v_lshl_add_u32 v9, v9, 23, v49
	v_or3_b32 v8, v2, v9, v8
.LBB2_3359:                             ;   in Loop: Header=BB2_2977 Depth=3
	s_or_b64 exec, exec, s[36:37]
.LBB2_3360:                             ;   in Loop: Header=BB2_2977 Depth=3
	s_or_b64 exec, exec, s[34:35]
.LBB2_3361:                             ;   in Loop: Header=BB2_2977 Depth=3
	s_or_b64 exec, exec, s[40:41]
	v_lshrrev_b32_e32 v2, 16, v11
	v_cmp_gt_i16_sdwa s[40:41], v2, s71 src0_sel:BYTE_0 src1_sel:DWORD
	s_mov_b64 s[28:29], 0
	s_and_saveexec_b64 s[44:45], s[40:41]
	s_xor_b64 s[40:41], exec, s[44:45]
	s_cbranch_execz .LBB2_3423
; %bb.3362:                             ;   in Loop: Header=BB2_2977 Depth=3
	v_cmp_eq_u16_sdwa s[44:45], v2, s70 src0_sel:BYTE_0 src1_sel:DWORD
	s_mov_b64 s[28:29], -1
	s_and_saveexec_b64 s[34:35], s[44:45]
; %bb.3363:                             ;   in Loop: Header=BB2_2977 Depth=3
	s_xor_b64 s[28:29], exec, -1
; %bb.3364:                             ;   in Loop: Header=BB2_2977 Depth=3
	s_or_b64 exec, exec, s[34:35]
	s_and_b64 s[28:29], s[28:29], exec
	s_or_saveexec_b64 s[40:41], s[40:41]
	v_bfrev_b32_e32 v9, 1
	s_xor_b64 exec, exec, s[40:41]
	s_cbranch_execnz .LBB2_3424
.LBB2_3365:                             ;   in Loop: Header=BB2_2977 Depth=3
	s_or_b64 exec, exec, s[40:41]
	s_and_saveexec_b64 s[40:41], s[28:29]
	s_cbranch_execz .LBB2_3367
.LBB2_3366:                             ;   in Loop: Header=BB2_2977 Depth=3
	v_and_b32_e32 v9, 7, v2
	v_ffbh_u32_e32 v12, v9
	v_min_u32_e32 v58, 32, v12
	v_subrev_u32_e32 v12, 28, v58
	v_lshlrev_b64 v[12:13], v12, v[2:3]
	v_and_b32_e32 v36, 0x7f, v2
	v_bfe_u32 v57, v2, 3, 4
	v_sub_u32_e32 v13, 29, v58
	v_and_b32_e32 v12, 7, v12
	v_cmp_gt_u32_e64 s[28:29], 8, v36
	v_cndmask_b32_e64 v13, v57, v13, s[28:29]
	v_cndmask_b32_e64 v9, v9, v12, s[28:29]
	v_lshlrev_b32_e32 v2, 24, v2
	v_lshlrev_b32_e32 v9, 20, v9
	v_and_b32_e32 v2, 0x80000000, v2
	v_lshl_add_u32 v12, v13, 23, v49
	v_or3_b32 v2, v2, v12, v9
	v_cmp_ne_u32_e64 s[28:29], s71, v36
	v_cndmask_b32_e64 v9, v5, v2, s[28:29]
.LBB2_3367:                             ;   in Loop: Header=BB2_2977 Depth=3
	s_or_b64 exec, exec, s[40:41]
	v_mul_f32_e32 v8, v8, v9
	v_and_b32_e32 v2, 0x7f800000, v8
	v_cmp_ne_u64_e64 s[28:29], s[62:63], v[2:3]
                                        ; implicit-def: $vgpr12
	s_and_saveexec_b64 s[40:41], s[28:29]
	s_xor_b64 s[34:35], exec, s[40:41]
	s_cbranch_execz .LBB2_3381
; %bb.3368:                             ;   in Loop: Header=BB2_2977 Depth=3
	v_and_b32_e32 v2, 0x7fffffff, v8
	v_cmp_gt_u64_e64 s[28:29], s[72:73], v[2:3]
	v_and_b32_sdwa v57, v8, s70 dst_sel:DWORD dst_unused:UNUSED_PAD src0_sel:BYTE_3 src1_sel:DWORD
                                        ; implicit-def: $vgpr12
	s_and_saveexec_b64 s[40:41], s[28:29]
	s_xor_b64 s[36:37], exec, s[40:41]
	s_cbranch_execz .LBB2_3378
; %bb.3369:                             ;   in Loop: Header=BB2_2977 Depth=3
	v_mov_b32_e32 v12, 0
	v_cmp_ne_u32_e64 s[28:29], 0, v8
	s_and_saveexec_b64 s[38:39], s[28:29]
	s_cbranch_execz .LBB2_3377
; %bb.3370:                             ;   in Loop: Header=BB2_2977 Depth=3
	v_bfe_u32 v58, v8, 23, 8
	v_and_b32_e32 v2, 0x7fffff, v8
	v_cmp_gt_u32_e64 s[40:41], s80, v58
	v_sub_u32_e32 v8, 0x79, v58
	v_cmp_eq_u32_e64 s[28:29], 0, v58
	v_cndmask_b32_e64 v8, 0, v8, s[40:41]
	v_cndmask_b32_e64 v36, v8, v1, s[28:29]
	v_or_b32_e32 v9, 0x800000, v2
	v_add_u32_e32 v8, 20, v36
	v_cndmask_b32_e64 v2, v9, v2, s[28:29]
	v_lshlrev_b64 v[8:9], v8, -1
	v_add_u32_e32 v12, 19, v36
	v_lshlrev_b64 v[12:13], v12, 1
	v_bfi_b32 v9, v9, 0, 0
	v_bfi_b32 v8, v8, 0, v2
	v_cmp_eq_u64_e64 s[40:41], v[8:9], v[12:13]
	v_lshrrev_b64 v[8:9], v36, v[2:3]
	v_mov_b32_e32 v13, v9
	v_mov_b32_e32 v12, v8
	s_and_saveexec_b64 s[48:49], s[40:41]
; %bb.3371:                             ;   in Loop: Header=BB2_2977 Depth=3
	v_bfe_u32 v2, v8, 20, 1
	v_add_co_u32_e64 v2, s[40:41], v8, v2
	v_add_co_u32_e64 v12, s[40:41], -1, v2
; %bb.3372:                             ;   in Loop: Header=BB2_2977 Depth=3
	s_or_b64 exec, exec, s[48:49]
	v_add_u32_e32 v2, 0xffffff81, v58
	v_cndmask_b32_e64 v2, v2, v0, s[28:29]
	v_lshrrev_b32_e32 v9, 23, v8
	v_add3_u32 v36, v36, v2, v9
	v_add_u32_e32 v13, 6, v36
	v_and_b32_e32 v2, 0xfffff, v12
	v_add_u32_e32 v2, v2, v8
	v_cmp_ne_u32_e64 s[28:29], 0, v13
                                        ; implicit-def: $vgpr8_vgpr9
                                        ; implicit-def: $vgpr12
	s_and_saveexec_b64 s[40:41], s[28:29]
	s_xor_b64 s[40:41], exec, s[40:41]
; %bb.3373:                             ;   in Loop: Header=BB2_2977 Depth=3
	v_cmp_lt_u64_e64 s[28:29], s[88:89], v[2:3]
	v_add_u32_e32 v8, 7, v36
	v_cndmask_b32_e64 v12, v13, v8, s[28:29]
	v_cndmask_b32_e64 v8, 0, 1, s[28:29]
	v_lshrrev_b64 v[8:9], v8, v[2:3]
; %bb.3374:                             ;   in Loop: Header=BB2_2977 Depth=3
	s_andn2_saveexec_b64 s[28:29], s[40:41]
; %bb.3375:                             ;   in Loop: Header=BB2_2977 Depth=3
	v_mov_b32_e32 v9, v3
	v_bfe_u32 v12, v2, 23, 1
	v_mov_b32_e32 v8, v2
; %bb.3376:                             ;   in Loop: Header=BB2_2977 Depth=3
	s_or_b64 exec, exec, s[28:29]
	v_lshrrev_b64 v[8:9], 20, v[8:9]
	v_cmp_gt_i32_e64 s[28:29], 16, v12
	v_cndmask_b32_e64 v9, 0, v9, s[28:29]
	v_cndmask_b32_e64 v8, 7, v8, s[28:29]
	v_min_i32_e32 v2, 15, v12
	v_cmp_eq_u64_e64 s[40:41], 0, v[8:9]
	v_lshlrev_b32_e32 v2, 3, v2
	v_cmp_eq_u32_e64 s[28:29], 0, v12
	v_and_b32_e32 v2, 0xf8, v2
	v_and_or_b32 v2, v8, 7, v2
	s_and_b64 s[28:29], s[28:29], s[40:41]
	v_cndmask_b32_e64 v2, v2, 0, s[28:29]
	v_or_b32_e32 v12, v2, v57
.LBB2_3377:                             ;   in Loop: Header=BB2_2977 Depth=3
	s_or_b64 exec, exec, s[38:39]
                                        ; implicit-def: $vgpr57
.LBB2_3378:                             ;   in Loop: Header=BB2_2977 Depth=3
	s_andn2_saveexec_b64 s[28:29], s[36:37]
; %bb.3379:                             ;   in Loop: Header=BB2_2977 Depth=3
	v_or_b32_e32 v12, 0x7e, v57
; %bb.3380:                             ;   in Loop: Header=BB2_2977 Depth=3
	s_or_b64 exec, exec, s[28:29]
                                        ; implicit-def: $vgpr8
.LBB2_3381:                             ;   in Loop: Header=BB2_2977 Depth=3
	s_andn2_saveexec_b64 s[28:29], s[34:35]
; %bb.3382:                             ;   in Loop: Header=BB2_2977 Depth=3
	v_or_b32_sdwa v12, v8, s71 dst_sel:DWORD dst_unused:UNUSED_PAD src0_sel:BYTE_3 src1_sel:DWORD
; %bb.3383:                             ;   in Loop: Header=BB2_2977 Depth=3
	s_or_b64 exec, exec, s[28:29]
	v_cmp_lt_u64_e64 s[28:29], s[56:57], v[14:15]
	v_mov_b32_e32 v8, 0
	s_and_saveexec_b64 s[40:41], s[28:29]
	s_cbranch_execz .LBB2_3389
; %bb.3384:                             ;   in Loop: Header=BB2_2977 Depth=3
	v_lshrrev_b32_e32 v2, 24, v15
	v_cmp_ne_u32_e64 s[28:29], s70, v2
	v_bfrev_b32_e32 v8, 1
	s_and_saveexec_b64 s[34:35], s[28:29]
	s_cbranch_execz .LBB2_3388
; %bb.3385:                             ;   in Loop: Header=BB2_2977 Depth=3
	v_bfe_u32 v9, v15, 24, 7
	v_cmp_ne_u32_e64 s[28:29], s71, v9
	v_mov_b32_e32 v8, 0x7f800001
	s_and_saveexec_b64 s[36:37], s[28:29]
	s_cbranch_execz .LBB2_3387
; %bb.3386:                             ;   in Loop: Header=BB2_2977 Depth=3
	v_and_b32_e32 v13, 7, v2
	v_ffbh_u32_e32 v8, v13
	v_min_u32_e32 v15, 32, v8
	v_subrev_u32_e32 v8, 28, v15
	v_lshrrev_b32_e32 v14, 3, v9
	v_cmp_gt_u32_e64 s[28:29], 8, v9
	v_lshlrev_b64 v[8:9], v8, v[2:3]
	v_sub_u32_e32 v9, 29, v15
	v_and_b32_e32 v8, 7, v8
	v_cndmask_b32_e64 v9, v14, v9, s[28:29]
	v_cndmask_b32_e64 v8, v13, v8, s[28:29]
	v_lshlrev_b32_e32 v2, 24, v2
	v_lshlrev_b32_e32 v8, 20, v8
	v_and_b32_e32 v2, 0x80000000, v2
	v_lshl_add_u32 v9, v9, 23, v49
	v_or3_b32 v8, v2, v9, v8
.LBB2_3387:                             ;   in Loop: Header=BB2_2977 Depth=3
	s_or_b64 exec, exec, s[36:37]
.LBB2_3388:                             ;   in Loop: Header=BB2_2977 Depth=3
	s_or_b64 exec, exec, s[34:35]
.LBB2_3389:                             ;   in Loop: Header=BB2_2977 Depth=3
	s_or_b64 exec, exec, s[40:41]
	v_bfe_u32 v9, v11, 24, 3
	v_ffbh_u32_e32 v13, v9
	v_min_u32_e32 v57, 32, v13
	v_lshrrev_b32_e32 v2, 24, v11
	v_subrev_u32_e32 v13, 28, v57
	v_lshlrev_b64 v[13:14], v13, v[2:3]
	v_bfe_u32 v15, v11, 24, 7
	v_bfe_u32 v36, v2, 3, 4
	v_sub_u32_e32 v14, 29, v57
	v_and_b32_e32 v13, 7, v13
	v_cmp_gt_u32_e64 s[28:29], 8, v15
	v_cndmask_b32_e64 v14, v36, v14, s[28:29]
	v_cndmask_b32_e64 v9, v9, v13, s[28:29]
	v_lshlrev_b32_e32 v9, 20, v9
	v_and_b32_e32 v13, 0x80000000, v11
	v_lshl_add_u32 v14, v14, 23, v49
	v_or3_b32 v9, v13, v14, v9
	v_cmp_ne_u32_e64 s[28:29], s71, v15
	v_cndmask_b32_e64 v9, v5, v9, s[28:29]
	v_cmp_ne_u32_e64 s[28:29], s70, v2
	v_cndmask_b32_e64 v2, v35, v9, s[28:29]
	v_cmp_lt_u64_e64 s[28:29], s[56:57], v[10:11]
	v_cndmask_b32_e64 v2, 0, v2, s[28:29]
	v_mul_f32_e32 v8, v2, v8
	v_and_b32_e32 v2, 0x7f800000, v8
	v_cmp_ne_u64_e64 s[28:29], s[62:63], v[2:3]
                                        ; implicit-def: $vgpr2
	s_and_saveexec_b64 s[40:41], s[28:29]
	s_xor_b64 s[34:35], exec, s[40:41]
	s_cbranch_execz .LBB2_3403
; %bb.3390:                             ;   in Loop: Header=BB2_2977 Depth=3
	v_and_b32_e32 v2, 0x7fffffff, v8
	v_cmp_gt_u64_e64 s[28:29], s[72:73], v[2:3]
	v_and_b32_sdwa v11, v8, s70 dst_sel:DWORD dst_unused:UNUSED_PAD src0_sel:BYTE_3 src1_sel:DWORD
                                        ; implicit-def: $vgpr2
	s_and_saveexec_b64 s[40:41], s[28:29]
	s_xor_b64 s[36:37], exec, s[40:41]
	s_cbranch_execz .LBB2_3400
; %bb.3391:                             ;   in Loop: Header=BB2_2977 Depth=3
	v_mov_b32_e32 v2, 0
	v_cmp_ne_u32_e64 s[28:29], 0, v8
	s_and_saveexec_b64 s[38:39], s[28:29]
	s_cbranch_execz .LBB2_3399
; %bb.3392:                             ;   in Loop: Header=BB2_2977 Depth=3
	v_bfe_u32 v13, v8, 23, 8
	v_and_b32_e32 v2, 0x7fffff, v8
	v_cmp_gt_u32_e64 s[40:41], s80, v13
	v_sub_u32_e32 v8, 0x79, v13
	v_cmp_eq_u32_e64 s[28:29], 0, v13
	v_cndmask_b32_e64 v8, 0, v8, s[40:41]
	v_cndmask_b32_e64 v14, v8, v1, s[28:29]
	v_or_b32_e32 v9, 0x800000, v2
	v_add_u32_e32 v8, 20, v14
	v_cndmask_b32_e64 v2, v9, v2, s[28:29]
	v_lshlrev_b64 v[8:9], v8, -1
	v_add_u32_e32 v10, 19, v14
	v_lshlrev_b64 v[57:58], v10, 1
	v_bfi_b32 v9, v9, 0, 0
	v_bfi_b32 v8, v8, 0, v2
	v_cmp_eq_u64_e64 s[40:41], v[8:9], v[57:58]
	v_lshrrev_b64 v[8:9], v14, v[2:3]
	v_mov_b32_e32 v10, v9
	v_mov_b32_e32 v9, v8
	s_and_saveexec_b64 s[48:49], s[40:41]
; %bb.3393:                             ;   in Loop: Header=BB2_2977 Depth=3
	v_bfe_u32 v2, v8, 20, 1
	v_add_co_u32_e64 v2, s[40:41], v8, v2
	v_add_co_u32_e64 v9, s[40:41], -1, v2
; %bb.3394:                             ;   in Loop: Header=BB2_2977 Depth=3
	s_or_b64 exec, exec, s[48:49]
	v_add_u32_e32 v2, 0xffffff81, v13
	v_cndmask_b32_e64 v2, v2, v0, s[28:29]
	v_lshrrev_b32_e32 v10, 23, v8
	v_add3_u32 v14, v14, v2, v10
	v_add_u32_e32 v13, 6, v14
	v_and_b32_e32 v2, 0xfffff, v9
	v_add_u32_e32 v2, v2, v8
	v_cmp_ne_u32_e64 s[28:29], 0, v13
                                        ; implicit-def: $vgpr8_vgpr9
                                        ; implicit-def: $vgpr10
	s_and_saveexec_b64 s[40:41], s[28:29]
	s_xor_b64 s[40:41], exec, s[40:41]
; %bb.3395:                             ;   in Loop: Header=BB2_2977 Depth=3
	v_cmp_lt_u64_e64 s[28:29], s[88:89], v[2:3]
	v_add_u32_e32 v8, 7, v14
	v_cndmask_b32_e64 v10, v13, v8, s[28:29]
	v_cndmask_b32_e64 v8, 0, 1, s[28:29]
	v_lshrrev_b64 v[8:9], v8, v[2:3]
; %bb.3396:                             ;   in Loop: Header=BB2_2977 Depth=3
	s_andn2_saveexec_b64 s[28:29], s[40:41]
; %bb.3397:                             ;   in Loop: Header=BB2_2977 Depth=3
	v_mov_b32_e32 v9, v3
	v_bfe_u32 v10, v2, 23, 1
	v_mov_b32_e32 v8, v2
; %bb.3398:                             ;   in Loop: Header=BB2_2977 Depth=3
	s_or_b64 exec, exec, s[28:29]
	v_lshrrev_b64 v[8:9], 20, v[8:9]
	v_cmp_gt_i32_e64 s[28:29], 16, v10
	v_cndmask_b32_e64 v9, 0, v9, s[28:29]
	v_cndmask_b32_e64 v8, 7, v8, s[28:29]
	v_min_i32_e32 v2, 15, v10
	v_cmp_eq_u64_e64 s[40:41], 0, v[8:9]
	v_lshlrev_b32_e32 v2, 3, v2
	v_cmp_eq_u32_e64 s[28:29], 0, v10
	v_and_b32_e32 v2, 0xf8, v2
	v_and_or_b32 v2, v8, 7, v2
	s_and_b64 s[28:29], s[28:29], s[40:41]
	v_cndmask_b32_e64 v2, v2, 0, s[28:29]
	v_or_b32_e32 v2, v2, v11
.LBB2_3399:                             ;   in Loop: Header=BB2_2977 Depth=3
	s_or_b64 exec, exec, s[38:39]
                                        ; implicit-def: $vgpr11
.LBB2_3400:                             ;   in Loop: Header=BB2_2977 Depth=3
	s_andn2_saveexec_b64 s[28:29], s[36:37]
; %bb.3401:                             ;   in Loop: Header=BB2_2977 Depth=3
	v_or_b32_e32 v2, 0x7e, v11
; %bb.3402:                             ;   in Loop: Header=BB2_2977 Depth=3
	s_or_b64 exec, exec, s[28:29]
                                        ; implicit-def: $vgpr8
.LBB2_3403:                             ;   in Loop: Header=BB2_2977 Depth=3
	s_andn2_saveexec_b64 s[28:29], s[34:35]
	s_cbranch_execz .LBB2_2976
; %bb.3404:                             ;   in Loop: Header=BB2_2977 Depth=3
	v_or_b32_sdwa v2, v8, s71 dst_sel:DWORD dst_unused:UNUSED_PAD src0_sel:BYTE_3 src1_sel:DWORD
	s_branch .LBB2_2976
.LBB2_3405:                             ;   in Loop: Header=BB2_2977 Depth=3
	s_or_saveexec_b64 s[40:41], s[40:41]
	v_bfrev_b32_e32 v7, 1
	s_xor_b64 exec, exec, s[40:41]
	s_cbranch_execz .LBB2_2987
.LBB2_3406:                             ;   in Loop: Header=BB2_2977 Depth=3
	v_cmp_ne_u16_sdwa s[44:45], v8, v3 src0_sel:BYTE_0 src1_sel:DWORD
	s_andn2_b64 s[28:29], s[28:29], exec
	s_and_b64 s[44:45], s[44:45], exec
	v_mov_b32_e32 v7, 0
	s_or_b64 s[28:29], s[28:29], s[44:45]
	s_or_b64 exec, exec, s[40:41]
	s_and_saveexec_b64 s[40:41], s[28:29]
	s_cbranch_execnz .LBB2_2988
	s_branch .LBB2_2989
.LBB2_3407:                             ;   in Loop: Header=BB2_2977 Depth=3
	s_or_saveexec_b64 s[34:35], s[34:35]
	v_bfrev_b32_e32 v21, 1
	s_xor_b64 exec, exec, s[34:35]
	s_cbranch_execz .LBB2_3015
.LBB2_3408:                             ;   in Loop: Header=BB2_2977 Depth=3
	v_cmp_ne_u16_e64 s[28:29], 0, v2
	s_andn2_b64 s[40:41], s[40:41], exec
	s_and_b64 s[28:29], s[28:29], exec
	v_mov_b32_e32 v21, 0
	s_or_b64 s[40:41], s[40:41], s[28:29]
	s_or_b64 exec, exec, s[34:35]
	s_and_saveexec_b64 s[34:35], s[40:41]
	s_cbranch_execnz .LBB2_3016
	s_branch .LBB2_3017
.LBB2_3409:                             ;   in Loop: Header=BB2_2977 Depth=3
	s_or_saveexec_b64 s[40:41], s[40:41]
	v_bfrev_b32_e32 v21, 1
	s_xor_b64 exec, exec, s[40:41]
	s_cbranch_execz .LBB2_3043
.LBB2_3410:                             ;   in Loop: Header=BB2_2977 Depth=3
	v_cmp_ne_u16_sdwa s[44:45], v2, v3 src0_sel:BYTE_0 src1_sel:DWORD
	s_andn2_b64 s[28:29], s[28:29], exec
	s_and_b64 s[44:45], s[44:45], exec
	v_mov_b32_e32 v21, 0
	s_or_b64 s[28:29], s[28:29], s[44:45]
	s_or_b64 exec, exec, s[40:41]
	s_and_saveexec_b64 s[40:41], s[28:29]
	s_cbranch_execnz .LBB2_3044
	s_branch .LBB2_3045
.LBB2_3411:                             ;   in Loop: Header=BB2_2977 Depth=3
	s_or_saveexec_b64 s[34:35], s[34:35]
	v_bfrev_b32_e32 v24, 1
	s_xor_b64 exec, exec, s[34:35]
	s_cbranch_execz .LBB2_3123
.LBB2_3412:                             ;   in Loop: Header=BB2_2977 Depth=3
	v_cmp_ne_u16_e64 s[28:29], 0, v2
	s_andn2_b64 s[40:41], s[40:41], exec
	s_and_b64 s[28:29], s[28:29], exec
	v_mov_b32_e32 v24, 0
	s_or_b64 s[40:41], s[40:41], s[28:29]
	s_or_b64 exec, exec, s[34:35]
	s_and_saveexec_b64 s[34:35], s[40:41]
	s_cbranch_execnz .LBB2_3124
	s_branch .LBB2_3125
.LBB2_3413:                             ;   in Loop: Header=BB2_2977 Depth=3
	s_or_saveexec_b64 s[40:41], s[40:41]
	v_bfrev_b32_e32 v24, 1
	s_xor_b64 exec, exec, s[40:41]
	s_cbranch_execz .LBB2_3151
.LBB2_3414:                             ;   in Loop: Header=BB2_2977 Depth=3
	v_cmp_ne_u16_sdwa s[44:45], v2, v3 src0_sel:BYTE_0 src1_sel:DWORD
	s_andn2_b64 s[28:29], s[28:29], exec
	s_and_b64 s[44:45], s[44:45], exec
	v_mov_b32_e32 v24, 0
	s_or_b64 s[28:29], s[28:29], s[44:45]
	s_or_b64 exec, exec, s[40:41]
	s_and_saveexec_b64 s[40:41], s[28:29]
	s_cbranch_execnz .LBB2_3152
	s_branch .LBB2_3153
.LBB2_3415:                             ;   in Loop: Header=BB2_2977 Depth=3
	s_or_saveexec_b64 s[40:41], s[40:41]
	v_bfrev_b32_e32 v8, 1
	s_xor_b64 exec, exec, s[40:41]
	s_cbranch_execz .LBB2_3201
.LBB2_3416:                             ;   in Loop: Header=BB2_2977 Depth=3
	v_cmp_ne_u16_sdwa s[44:45], v10, v3 src0_sel:BYTE_0 src1_sel:DWORD
	s_andn2_b64 s[28:29], s[28:29], exec
	s_and_b64 s[44:45], s[44:45], exec
	v_mov_b32_e32 v8, 0
	s_or_b64 s[28:29], s[28:29], s[44:45]
	s_or_b64 exec, exec, s[40:41]
	s_and_saveexec_b64 s[40:41], s[28:29]
	s_cbranch_execnz .LBB2_3202
	s_branch .LBB2_3203
.LBB2_3417:                             ;   in Loop: Header=BB2_2977 Depth=3
	s_or_saveexec_b64 s[34:35], s[34:35]
	v_bfrev_b32_e32 v9, 1
	s_xor_b64 exec, exec, s[34:35]
	s_cbranch_execz .LBB2_3229
.LBB2_3418:                             ;   in Loop: Header=BB2_2977 Depth=3
	v_cmp_ne_u16_e64 s[28:29], 0, v2
	s_andn2_b64 s[40:41], s[40:41], exec
	s_and_b64 s[28:29], s[28:29], exec
	v_mov_b32_e32 v9, 0
	s_or_b64 s[40:41], s[40:41], s[28:29]
	s_or_b64 exec, exec, s[34:35]
	s_and_saveexec_b64 s[34:35], s[40:41]
	s_cbranch_execnz .LBB2_3230
	s_branch .LBB2_3231
.LBB2_3419:                             ;   in Loop: Header=BB2_2977 Depth=3
	s_or_saveexec_b64 s[40:41], s[40:41]
	v_bfrev_b32_e32 v9, 1
	s_xor_b64 exec, exec, s[40:41]
	s_cbranch_execz .LBB2_3257
.LBB2_3420:                             ;   in Loop: Header=BB2_2977 Depth=3
	v_cmp_ne_u16_sdwa s[44:45], v2, v3 src0_sel:BYTE_0 src1_sel:DWORD
	s_andn2_b64 s[28:29], s[28:29], exec
	s_and_b64 s[44:45], s[44:45], exec
	v_mov_b32_e32 v9, 0
	s_or_b64 s[28:29], s[28:29], s[44:45]
	s_or_b64 exec, exec, s[40:41]
	s_and_saveexec_b64 s[40:41], s[28:29]
	s_cbranch_execnz .LBB2_3258
	s_branch .LBB2_3259
.LBB2_3421:                             ;   in Loop: Header=BB2_2977 Depth=3
	s_or_saveexec_b64 s[34:35], s[34:35]
	v_bfrev_b32_e32 v8, 1
	s_xor_b64 exec, exec, s[34:35]
	s_cbranch_execz .LBB2_3337
.LBB2_3422:                             ;   in Loop: Header=BB2_2977 Depth=3
	v_cmp_ne_u16_e64 s[28:29], 0, v2
	s_andn2_b64 s[40:41], s[40:41], exec
	s_and_b64 s[28:29], s[28:29], exec
	v_mov_b32_e32 v8, 0
	s_or_b64 s[40:41], s[40:41], s[28:29]
	s_or_b64 exec, exec, s[34:35]
	s_and_saveexec_b64 s[34:35], s[40:41]
	s_cbranch_execnz .LBB2_3338
	s_branch .LBB2_3339
.LBB2_3423:                             ;   in Loop: Header=BB2_2977 Depth=3
	s_or_saveexec_b64 s[40:41], s[40:41]
	v_bfrev_b32_e32 v9, 1
	s_xor_b64 exec, exec, s[40:41]
	s_cbranch_execz .LBB2_3365
.LBB2_3424:                             ;   in Loop: Header=BB2_2977 Depth=3
	v_cmp_ne_u16_sdwa s[44:45], v2, v3 src0_sel:BYTE_0 src1_sel:DWORD
	s_andn2_b64 s[28:29], s[28:29], exec
	s_and_b64 s[44:45], s[44:45], exec
	v_mov_b32_e32 v9, 0
	s_or_b64 s[28:29], s[28:29], s[44:45]
	s_or_b64 exec, exec, s[40:41]
	s_and_saveexec_b64 s[40:41], s[28:29]
	s_cbranch_execnz .LBB2_3366
	s_branch .LBB2_3367
.LBB2_3425:                             ;   in Loop: Header=BB2_1679 Depth=2
	s_or_b64 exec, exec, s[30:31]
	buffer_load_dword v56, off, s[0:3], s33 offset:148 ; 4-byte Folded Reload
	buffer_load_dword v47, off, s[0:3], s33 offset:144 ; 4-byte Folded Reload
	v_mov_b32_e32 v30, v61
.LBB2_3426:                             ;   in Loop: Header=BB2_1679 Depth=2
	s_or_b64 exec, exec, s[42:43]
	v_and_b32_e32 v8, 15, v30
	v_cndmask_b32_e32 v31, v27, v8, vcc
	v_mov_b32_e32 v6, 0
	v_cmp_ne_u32_e64 s[28:29], 0, v31
	s_mov_b64 s[30:31], 0
                                        ; implicit-def: $vgpr7
                                        ; implicit-def: $vgpr21
                                        ; implicit-def: $vgpr2
	s_and_saveexec_b64 s[42:43], s[28:29]
	s_cbranch_execz .LBB2_3882
; %bb.3427:                             ;   in Loop: Header=BB2_1679 Depth=2
	v_sub_u32_e32 v2, v27, v8
	v_cndmask_b32_e32 v2, 0, v2, vcc
	v_add_u32_e32 v10, v2, v4
	buffer_load_dword v4, off, s[0:3], s33 offset:152 ; 4-byte Folded Reload
	v_cmp_lt_i32_e32 vcc, 0, v26
	v_cndmask_b32_e32 v2, 0, v17, vcc
	v_sub_u32_e32 v2, v2, v26
	v_ashrrev_i32_e32 v8, 31, v31
	v_lshrrev_b32_e32 v8, 22, v8
	v_add_u32_e32 v8, v31, v8
	v_and_b32_e32 v53, 0xfffffc00, v8
	v_sub_u32_e32 v26, v31, v53
	v_ashrrev_i32_e32 v9, 10, v8
	v_cmp_lt_i32_e32 vcc, 15, v26
	v_addc_co_u32_e64 v8, s[28:29], 0, v9, vcc
	s_waitcnt vmcnt(0)
	v_lshl_add_u32 v2, v2, 6, v4
	v_ashrrev_i32_e32 v4, 31, v2
	v_lshrrev_b32_e32 v4, 26, v4
	v_add_u32_e32 v4, v2, v4
	v_ashrrev_i32_e32 v7, 6, v4
	v_and_b32_e32 v4, 0xffffffc0, v4
	v_sub_u32_e32 v4, v2, v4
	v_lshlrev_b32_e32 v2, 4, v4
	v_lshl_add_u32 v2, v7, 10, v2
	v_sub_u32_e32 v6, v31, v2
	v_sub_u32_e32 v40, v8, v7
	v_cmp_lt_i32_e64 s[28:29], 15, v6
	s_and_saveexec_b64 s[30:31], s[28:29]
	s_cbranch_execz .LBB2_3879
; %bb.3428:                             ;   in Loop: Header=BB2_1679 Depth=2
	buffer_store_dword v30, off, s[0:3], s33 offset:204 ; 4-byte Folded Spill
	buffer_store_dword v10, off, s[0:3], s33 offset:196 ; 4-byte Folded Spill
	s_trap 2
	ds_read_b64 v[7:8], v0
	v_add_u32_e32 v2, v2, v10
	v_ashrrev_i32_e32 v9, 31, v2
	v_add_co_u32_e64 v44, s[28:29], v2, v42
	v_addc_co_u32_e64 v45, s[28:29], v9, v43, s[28:29]
	s_waitcnt lgkmcnt(0)
	v_add_co_u32_e64 v46, s[28:29], v7, v2
	v_addc_co_u32_e64 v47, s[28:29], v8, v9, s[28:29]
	buffer_load_dword v7, off, s[0:3], s33 offset:156 ; 4-byte Folded Reload
	buffer_load_dword v8, off, s[0:3], s33 offset:160 ; 4-byte Folded Reload
	s_mov_b64 s[34:35], 0
	s_waitcnt vmcnt(1)
	v_add_co_u32_e64 v55, s[28:29], v2, v7
	s_waitcnt vmcnt(0)
	v_addc_co_u32_e64 v56, s[28:29], v9, v8, s[28:29]
	s_branch .LBB2_3430
.LBB2_3429:                             ;   in Loop: Header=BB2_3430 Depth=3
	s_or_b64 exec, exec, s[28:29]
	v_lshl_or_b32 v8, v30, 8, v52
	v_lshlrev_b32_e32 v9, 16, v41
	v_lshlrev_b32_e32 v10, 24, v59
	v_or3_b32 v8, v8, v9, v10
	v_lshl_or_b32 v7, v27, 8, v7
	v_lshlrev_b32_e32 v9, 16, v21
	v_lshlrev_b32_e32 v10, 24, v34
	v_add_co_u32_e64 v44, s[28:29], v44, v38
	v_or3_b32 v7, v7, v9, v10
	v_lshl_or_b32 v9, v16, 8, v60
	v_lshlrev_b32_e32 v10, 16, v48
	v_lshlrev_b32_e32 v11, 24, v61
	v_addc_co_u32_e64 v45, s[28:29], 0, v45, s[28:29]
	v_or3_b32 v9, v9, v10, v11
	v_lshlrev_b32_e32 v2, 24, v2
	v_lshlrev_b32_e32 v10, 16, v12
	v_lshl_or_b32 v11, v25, 8, v24
	v_add_co_u32_e64 v46, s[28:29], v46, v38
	v_or3_b32 v10, v11, v10, v2
	v_addc_co_u32_e64 v47, s[28:29], 0, v47, s[28:29]
	global_store_dwordx4 v[55:56], v[7:10], off glc slc
	v_add_co_u32_e64 v55, s[28:29], v55, v38
	v_addc_co_u32_e64 v56, s[28:29], 0, v56, s[28:29]
	v_sub_u32_e32 v6, v6, v38
	v_cmp_gt_i32_e64 s[28:29], 16, v6
	s_or_b64 s[34:35], s[28:29], s[34:35]
	v_sub_u32_e32 v40, v40, v17
	s_andn2_b64 exec, exec, s[34:35]
	s_cbranch_execz .LBB2_3878
.LBB2_3430:                             ;   Parent Loop BB2_47 Depth=1
                                        ;     Parent Loop BB2_1679 Depth=2
                                        ; =>    This Inner Loop Header: Depth=3
	global_load_dwordx4 v[12:15], v[44:45], off glc slc
	global_load_dwordx4 v[8:11], v[46:47], off glc slc
	v_mov_b32_e32 v2, 0
	s_waitcnt vmcnt(1)
	v_cmp_ne_u16_sdwa s[28:29], v12, v3 src0_sel:BYTE_0 src1_sel:DWORD
	s_and_saveexec_b64 s[40:41], s[28:29]
	s_cbranch_execz .LBB2_3436
; %bb.3431:                             ;   in Loop: Header=BB2_3430 Depth=3
	v_cmp_ne_u16_sdwa s[28:29], v12, s70 src0_sel:BYTE_0 src1_sel:DWORD
	v_bfrev_b32_e32 v2, 1
	s_and_saveexec_b64 s[36:37], s[28:29]
	s_cbranch_execz .LBB2_3435
; %bb.3432:                             ;   in Loop: Header=BB2_3430 Depth=3
	v_and_b32_e32 v7, 0x7f, v12
	v_cmp_ne_u32_e64 s[28:29], s71, v7
	v_mov_b32_e32 v2, 0x7f800001
	s_and_saveexec_b64 s[38:39], s[28:29]
	s_cbranch_execz .LBB2_3434
; %bb.3433:                             ;   in Loop: Header=BB2_3430 Depth=3
	v_and_b32_e32 v2, 7, v12
	v_ffbh_u32_e32 v2, v2
	v_min_u32_e32 v2, 32, v2
	v_lshrrev_b32_e32 v16, 3, v7
	v_cmp_gt_u32_e64 s[28:29], 8, v7
	v_subrev_u32_e32 v7, 28, v2
	v_cndmask_b32_e64 v7, 0, v7, s[28:29]
	v_lshlrev_b64 v[24:25], v7, v[12:13]
	v_sub_u32_e32 v2, 29, v2
	v_cndmask_b32_e64 v2, v16, v2, s[28:29]
	v_lshlrev_b32_e32 v7, 20, v24
	v_lshlrev_b32_e32 v16, 24, v12
	v_and_b32_e32 v7, 0x700000, v7
	v_and_b32_e32 v16, 0x80000000, v16
	v_lshl_add_u32 v2, v2, 23, v49
	v_or3_b32 v2, v16, v2, v7
.LBB2_3434:                             ;   in Loop: Header=BB2_3430 Depth=3
	s_or_b64 exec, exec, s[38:39]
.LBB2_3435:                             ;   in Loop: Header=BB2_3430 Depth=3
	s_or_b64 exec, exec, s[36:37]
.LBB2_3436:                             ;   in Loop: Header=BB2_3430 Depth=3
	s_or_b64 exec, exec, s[40:41]
	s_waitcnt vmcnt(0)
	v_cmp_gt_i16_sdwa s[40:41], v8, s71 src0_sel:BYTE_0 src1_sel:DWORD
	s_mov_b64 s[28:29], 0
	s_and_saveexec_b64 s[44:45], s[40:41]
	s_xor_b64 s[40:41], exec, s[44:45]
	s_cbranch_execz .LBB2_3858
; %bb.3437:                             ;   in Loop: Header=BB2_3430 Depth=3
	v_cmp_eq_u16_sdwa s[44:45], v8, s70 src0_sel:BYTE_0 src1_sel:DWORD
	s_mov_b64 s[28:29], -1
	s_and_saveexec_b64 s[36:37], s[44:45]
; %bb.3438:                             ;   in Loop: Header=BB2_3430 Depth=3
	s_xor_b64 s[28:29], exec, -1
; %bb.3439:                             ;   in Loop: Header=BB2_3430 Depth=3
	s_or_b64 exec, exec, s[36:37]
	s_and_b64 s[28:29], s[28:29], exec
	s_or_saveexec_b64 s[40:41], s[40:41]
	v_bfrev_b32_e32 v7, 1
	s_xor_b64 exec, exec, s[40:41]
	s_cbranch_execnz .LBB2_3859
.LBB2_3440:                             ;   in Loop: Header=BB2_3430 Depth=3
	s_or_b64 exec, exec, s[40:41]
	s_and_saveexec_b64 s[40:41], s[28:29]
	s_cbranch_execz .LBB2_3442
.LBB2_3441:                             ;   in Loop: Header=BB2_3430 Depth=3
	v_and_b32_e32 v7, 7, v8
	v_ffbh_u32_e32 v7, v7
	v_and_b32_e32 v16, 0x7f, v8
	v_min_u32_e32 v7, 32, v7
	v_bfe_u32 v21, v8, 3, 4
	v_subrev_u32_e32 v24, 28, v7
	v_sub_u32_e32 v7, 29, v7
	v_cmp_gt_u32_e64 s[28:29], 8, v16
	v_cndmask_b32_e64 v7, v21, v7, s[28:29]
	v_cndmask_b32_e64 v21, 0, v24, s[28:29]
	v_lshlrev_b64 v[24:25], v21, v[8:9]
	v_lshl_add_u32 v7, v7, 23, v49
	v_lshlrev_b32_e32 v21, 20, v24
	v_lshlrev_b32_e32 v24, 24, v8
	v_and_b32_e32 v21, 0x700000, v21
	v_and_b32_e32 v24, 0x80000000, v24
	v_or3_b32 v7, v24, v7, v21
	v_cmp_ne_u32_e64 s[28:29], s71, v16
	v_cndmask_b32_e64 v7, v5, v7, s[28:29]
.LBB2_3442:                             ;   in Loop: Header=BB2_3430 Depth=3
	s_or_b64 exec, exec, s[40:41]
	v_mul_f32_e32 v21, v2, v7
	v_and_b32_e32 v2, 0x7f800000, v21
	v_cmp_ne_u64_e64 s[28:29], s[62:63], v[2:3]
                                        ; implicit-def: $vgpr7
	s_and_saveexec_b64 s[40:41], s[28:29]
	s_xor_b64 s[36:37], exec, s[40:41]
	s_cbranch_execz .LBB2_3456
; %bb.3443:                             ;   in Loop: Header=BB2_3430 Depth=3
	v_and_b32_e32 v2, 0x7fffffff, v21
	v_cmp_gt_u64_e64 s[28:29], s[72:73], v[2:3]
	v_and_b32_sdwa v16, v21, s70 dst_sel:DWORD dst_unused:UNUSED_PAD src0_sel:BYTE_3 src1_sel:DWORD
                                        ; implicit-def: $vgpr7
	s_and_saveexec_b64 s[40:41], s[28:29]
	s_xor_b64 s[38:39], exec, s[40:41]
	s_cbranch_execz .LBB2_3453
; %bb.3444:                             ;   in Loop: Header=BB2_3430 Depth=3
	v_mov_b32_e32 v7, 0
	v_cmp_ne_u32_e64 s[28:29], 0, v21
	s_and_saveexec_b64 s[48:49], s[28:29]
	s_cbranch_execz .LBB2_3452
; %bb.3445:                             ;   in Loop: Header=BB2_3430 Depth=3
	v_bfe_u32 v7, v21, 23, 8
	v_and_b32_e32 v2, 0x7fffff, v21
	v_cmp_gt_u32_e64 s[40:41], s80, v7
	v_sub_u32_e32 v21, 0x79, v7
	v_cmp_eq_u32_e64 s[28:29], 0, v7
	v_cndmask_b32_e64 v21, 0, v21, s[40:41]
	v_or_b32_e32 v24, 0x800000, v2
	v_cndmask_b32_e64 v21, v21, v1, s[28:29]
	v_cndmask_b32_e64 v2, v24, v2, s[28:29]
	v_add_u32_e32 v24, 20, v21
	v_lshlrev_b64 v[24:25], v24, -1
	v_add_u32_e32 v27, 19, v21
	v_lshlrev_b64 v[57:58], v27, 1
	v_bfi_b32 v25, v25, 0, 0
	v_bfi_b32 v24, v24, 0, v2
	v_cmp_eq_u64_e64 s[40:41], v[24:25], v[57:58]
	v_lshrrev_b64 v[57:58], v21, v[2:3]
	v_mov_b32_e32 v59, v58
	v_mov_b32_e32 v58, v57
	s_and_saveexec_b64 s[50:51], s[40:41]
; %bb.3446:                             ;   in Loop: Header=BB2_3430 Depth=3
	v_bfe_u32 v2, v57, 20, 1
	v_add_co_u32_e64 v2, s[40:41], v57, v2
	v_add_co_u32_e64 v58, s[40:41], -1, v2
; %bb.3447:                             ;   in Loop: Header=BB2_3430 Depth=3
	s_or_b64 exec, exec, s[50:51]
	v_add_u32_e32 v2, 0xffffff81, v7
	v_cndmask_b32_e64 v2, v2, v0, s[28:29]
	v_lshrrev_b32_e32 v7, 23, v57
	v_add3_u32 v24, v21, v2, v7
	v_add_u32_e32 v21, 6, v24
	v_and_b32_e32 v2, 0xfffff, v58
	v_add_u32_e32 v2, v2, v57
	v_cmp_ne_u32_e64 s[28:29], 0, v21
                                        ; implicit-def: $vgpr57_vgpr58
                                        ; implicit-def: $vgpr7
	s_and_saveexec_b64 s[40:41], s[28:29]
	s_xor_b64 s[40:41], exec, s[40:41]
; %bb.3448:                             ;   in Loop: Header=BB2_3430 Depth=3
	v_cmp_lt_u64_e64 s[28:29], s[88:89], v[2:3]
	v_add_u32_e32 v7, 7, v24
	v_cndmask_b32_e64 v7, v21, v7, s[28:29]
	v_cndmask_b32_e64 v21, 0, 1, s[28:29]
	v_lshrrev_b64 v[57:58], v21, v[2:3]
; %bb.3449:                             ;   in Loop: Header=BB2_3430 Depth=3
	s_andn2_saveexec_b64 s[28:29], s[40:41]
; %bb.3450:                             ;   in Loop: Header=BB2_3430 Depth=3
	v_mov_b32_e32 v58, v3
	v_bfe_u32 v7, v2, 23, 1
	v_mov_b32_e32 v57, v2
; %bb.3451:                             ;   in Loop: Header=BB2_3430 Depth=3
	s_or_b64 exec, exec, s[28:29]
	v_lshrrev_b64 v[24:25], 20, v[57:58]
	v_cmp_gt_i32_e64 s[28:29], 16, v7
	v_cndmask_b32_e64 v25, 0, v25, s[28:29]
	v_cndmask_b32_e64 v24, 7, v24, s[28:29]
	v_min_i32_e32 v2, 15, v7
	v_cmp_eq_u64_e64 s[40:41], 0, v[24:25]
	v_lshlrev_b32_e32 v2, 3, v2
	v_cmp_eq_u32_e64 s[28:29], 0, v7
	v_and_b32_e32 v2, 0xf8, v2
	v_and_or_b32 v2, v24, 7, v2
	s_and_b64 s[28:29], s[28:29], s[40:41]
	v_cndmask_b32_e64 v2, v2, 0, s[28:29]
	v_or_b32_e32 v7, v2, v16
.LBB2_3452:                             ;   in Loop: Header=BB2_3430 Depth=3
	s_or_b64 exec, exec, s[48:49]
                                        ; implicit-def: $vgpr16
.LBB2_3453:                             ;   in Loop: Header=BB2_3430 Depth=3
	s_andn2_saveexec_b64 s[28:29], s[38:39]
; %bb.3454:                             ;   in Loop: Header=BB2_3430 Depth=3
	v_or_b32_e32 v7, 0x7e, v16
; %bb.3455:                             ;   in Loop: Header=BB2_3430 Depth=3
	s_or_b64 exec, exec, s[28:29]
                                        ; implicit-def: $vgpr21
.LBB2_3456:                             ;   in Loop: Header=BB2_3430 Depth=3
	s_andn2_saveexec_b64 s[28:29], s[36:37]
; %bb.3457:                             ;   in Loop: Header=BB2_3430 Depth=3
	v_or_b32_sdwa v7, v21, s71 dst_sel:DWORD dst_unused:UNUSED_PAD src0_sel:BYTE_3 src1_sel:DWORD
; %bb.3458:                             ;   in Loop: Header=BB2_3430 Depth=3
	s_or_b64 exec, exec, s[28:29]
	v_lshrrev_b16_e32 v2, 8, v12
	v_cmp_ne_u16_e64 s[28:29], 0, v2
	v_mov_b32_e32 v16, 0
	s_and_saveexec_b64 s[40:41], s[28:29]
	s_cbranch_execz .LBB2_3464
; %bb.3459:                             ;   in Loop: Header=BB2_3430 Depth=3
	v_cmp_ne_u16_e64 s[28:29], s70, v2
	v_bfrev_b32_e32 v16, 1
	s_and_saveexec_b64 s[36:37], s[28:29]
	s_cbranch_execz .LBB2_3463
; %bb.3460:                             ;   in Loop: Header=BB2_3430 Depth=3
	v_and_b32_e32 v21, 0x7f, v2
	v_cmp_ne_u32_e64 s[28:29], s71, v21
	v_mov_b32_e32 v16, 0x7f800001
	s_and_saveexec_b64 s[38:39], s[28:29]
	s_cbranch_execz .LBB2_3462
; %bb.3461:                             ;   in Loop: Header=BB2_3430 Depth=3
	v_and_b32_e32 v16, 7, v2
	v_lshrrev_b32_e32 v27, 3, v21
	v_cmp_gt_u32_e64 s[28:29], 8, v21
	v_ffbh_u32_e32 v21, v16
	v_min_u32_e32 v21, 32, v21
	v_subrev_u32_e32 v24, 28, v21
	v_lshlrev_b64 v[24:25], v24, v[2:3]
	v_sub_u32_e32 v2, 29, v21
	v_and_b32_e32 v21, 7, v24
	v_cndmask_b32_e64 v2, v27, v2, s[28:29]
	v_cndmask_b32_e64 v16, v16, v21, s[28:29]
	v_lshlrev_b32_e32 v21, 16, v12
	v_lshlrev_b32_e32 v16, 20, v16
	v_and_b32_e32 v21, 0x80000000, v21
	v_lshl_add_u32 v2, v2, 23, v49
	v_or3_b32 v16, v21, v2, v16
.LBB2_3462:                             ;   in Loop: Header=BB2_3430 Depth=3
	s_or_b64 exec, exec, s[38:39]
.LBB2_3463:                             ;   in Loop: Header=BB2_3430 Depth=3
	s_or_b64 exec, exec, s[36:37]
.LBB2_3464:                             ;   in Loop: Header=BB2_3430 Depth=3
	s_or_b64 exec, exec, s[40:41]
	v_lshrrev_b16_e32 v2, 8, v8
	v_cmp_lt_i16_e64 s[28:29], s71, v2
	s_mov_b64 s[40:41], 0
	s_and_saveexec_b64 s[44:45], s[28:29]
	s_xor_b64 s[36:37], exec, s[44:45]
	s_cbranch_execz .LBB2_3860
; %bb.3465:                             ;   in Loop: Header=BB2_3430 Depth=3
	v_cmp_eq_u16_e64 s[28:29], s70, v2
	s_mov_b64 s[40:41], -1
	s_and_saveexec_b64 s[38:39], s[28:29]
; %bb.3466:                             ;   in Loop: Header=BB2_3430 Depth=3
	s_xor_b64 s[40:41], exec, -1
; %bb.3467:                             ;   in Loop: Header=BB2_3430 Depth=3
	s_or_b64 exec, exec, s[38:39]
	s_and_b64 s[40:41], s[40:41], exec
	s_or_saveexec_b64 s[36:37], s[36:37]
	v_bfrev_b32_e32 v21, 1
	s_xor_b64 exec, exec, s[36:37]
	s_cbranch_execnz .LBB2_3861
.LBB2_3468:                             ;   in Loop: Header=BB2_3430 Depth=3
	s_or_b64 exec, exec, s[36:37]
	s_and_saveexec_b64 s[36:37], s[40:41]
	s_cbranch_execz .LBB2_3470
.LBB2_3469:                             ;   in Loop: Header=BB2_3430 Depth=3
	v_and_b32_e32 v21, 7, v2
	v_ffbh_u32_e32 v24, v21
	v_min_u32_e32 v34, 32, v24
	v_subrev_u32_e32 v24, 28, v34
	v_lshlrev_b64 v[24:25], v24, v[2:3]
	v_and_b32_e32 v27, 0x7f, v2
	v_bfe_u32 v30, v2, 3, 4
	v_sub_u32_e32 v25, 29, v34
	v_and_b32_e32 v24, 7, v24
	v_cmp_gt_u32_e64 s[28:29], 8, v27
	v_cndmask_b32_e64 v25, v30, v25, s[28:29]
	v_cndmask_b32_e64 v21, v21, v24, s[28:29]
	v_lshlrev_b32_e32 v2, 24, v2
	v_lshlrev_b32_e32 v21, 20, v21
	v_and_b32_e32 v2, 0x80000000, v2
	v_lshl_add_u32 v24, v25, 23, v49
	v_or3_b32 v2, v2, v24, v21
	v_cmp_ne_u32_e64 s[28:29], s71, v27
	v_cndmask_b32_e64 v21, v5, v2, s[28:29]
.LBB2_3470:                             ;   in Loop: Header=BB2_3430 Depth=3
	s_or_b64 exec, exec, s[36:37]
	v_mul_f32_e32 v21, v16, v21
	v_and_b32_e32 v2, 0x7f800000, v21
	v_cmp_ne_u64_e64 s[28:29], s[62:63], v[2:3]
                                        ; implicit-def: $vgpr27
	s_and_saveexec_b64 s[40:41], s[28:29]
	s_xor_b64 s[36:37], exec, s[40:41]
	s_cbranch_execz .LBB2_3484
; %bb.3471:                             ;   in Loop: Header=BB2_3430 Depth=3
	v_and_b32_e32 v2, 0x7fffffff, v21
	v_cmp_gt_u64_e64 s[28:29], s[72:73], v[2:3]
	v_and_b32_sdwa v16, v21, s70 dst_sel:DWORD dst_unused:UNUSED_PAD src0_sel:BYTE_3 src1_sel:DWORD
                                        ; implicit-def: $vgpr27
	s_and_saveexec_b64 s[40:41], s[28:29]
	s_xor_b64 s[38:39], exec, s[40:41]
	s_cbranch_execz .LBB2_3481
; %bb.3472:                             ;   in Loop: Header=BB2_3430 Depth=3
	v_mov_b32_e32 v27, 0
	v_cmp_ne_u32_e64 s[28:29], 0, v21
	s_and_saveexec_b64 s[48:49], s[28:29]
	s_cbranch_execz .LBB2_3480
; %bb.3473:                             ;   in Loop: Header=BB2_3430 Depth=3
	v_and_b32_e32 v2, 0x7fffff, v21
	v_bfe_u32 v21, v21, 23, 8
	v_cmp_gt_u32_e64 s[40:41], s80, v21
	v_sub_u32_e32 v24, 0x79, v21
	v_cmp_eq_u32_e64 s[28:29], 0, v21
	v_cndmask_b32_e64 v24, 0, v24, s[40:41]
	v_or_b32_e32 v25, 0x800000, v2
	v_cndmask_b32_e64 v24, v24, v1, s[28:29]
	v_cndmask_b32_e64 v2, v25, v2, s[28:29]
	v_add_u32_e32 v25, 20, v24
	v_lshlrev_b64 v[57:58], v25, -1
	v_add_u32_e32 v25, 19, v24
	v_lshlrev_b64 v[59:60], v25, 1
	v_bfi_b32 v58, v58, 0, 0
	v_bfi_b32 v57, v57, 0, v2
	v_cmp_eq_u64_e64 s[40:41], v[57:58], v[59:60]
	v_lshrrev_b64 v[57:58], v24, v[2:3]
	v_mov_b32_e32 v59, v58
	v_mov_b32_e32 v58, v57
	s_and_saveexec_b64 s[50:51], s[40:41]
; %bb.3474:                             ;   in Loop: Header=BB2_3430 Depth=3
	v_bfe_u32 v2, v57, 20, 1
	v_add_co_u32_e64 v2, s[40:41], v57, v2
	v_add_co_u32_e64 v58, s[40:41], -1, v2
; %bb.3475:                             ;   in Loop: Header=BB2_3430 Depth=3
	s_or_b64 exec, exec, s[50:51]
	v_add_u32_e32 v2, 0xffffff81, v21
	v_cndmask_b32_e64 v2, v2, v0, s[28:29]
	v_lshrrev_b32_e32 v21, 23, v57
	v_add3_u32 v25, v24, v2, v21
	v_add_u32_e32 v24, 6, v25
	v_and_b32_e32 v2, 0xfffff, v58
	v_add_u32_e32 v2, v2, v57
	v_cmp_ne_u32_e64 s[28:29], 0, v24
                                        ; implicit-def: $vgpr57_vgpr58
                                        ; implicit-def: $vgpr21
	s_and_saveexec_b64 s[40:41], s[28:29]
	s_xor_b64 s[40:41], exec, s[40:41]
; %bb.3476:                             ;   in Loop: Header=BB2_3430 Depth=3
	v_cmp_lt_u64_e64 s[28:29], s[88:89], v[2:3]
	v_add_u32_e32 v21, 7, v25
	v_cndmask_b32_e64 v21, v24, v21, s[28:29]
	v_cndmask_b32_e64 v24, 0, 1, s[28:29]
	v_lshrrev_b64 v[57:58], v24, v[2:3]
; %bb.3477:                             ;   in Loop: Header=BB2_3430 Depth=3
	s_andn2_saveexec_b64 s[28:29], s[40:41]
; %bb.3478:                             ;   in Loop: Header=BB2_3430 Depth=3
	v_mov_b32_e32 v58, v3
	v_bfe_u32 v21, v2, 23, 1
	v_mov_b32_e32 v57, v2
; %bb.3479:                             ;   in Loop: Header=BB2_3430 Depth=3
	s_or_b64 exec, exec, s[28:29]
	v_lshrrev_b64 v[24:25], 20, v[57:58]
	v_cmp_gt_i32_e64 s[28:29], 16, v21
	v_cndmask_b32_e64 v25, 0, v25, s[28:29]
	v_cndmask_b32_e64 v24, 7, v24, s[28:29]
	v_min_i32_e32 v2, 15, v21
	v_cmp_eq_u64_e64 s[40:41], 0, v[24:25]
	v_lshlrev_b32_e32 v2, 3, v2
	v_cmp_eq_u32_e64 s[28:29], 0, v21
	v_and_b32_e32 v2, 0xf8, v2
	v_and_or_b32 v2, v24, 7, v2
	s_and_b64 s[28:29], s[28:29], s[40:41]
	v_cndmask_b32_e64 v2, v2, 0, s[28:29]
	v_or_b32_e32 v27, v2, v16
.LBB2_3480:                             ;   in Loop: Header=BB2_3430 Depth=3
	s_or_b64 exec, exec, s[48:49]
                                        ; implicit-def: $vgpr16
.LBB2_3481:                             ;   in Loop: Header=BB2_3430 Depth=3
	s_andn2_saveexec_b64 s[28:29], s[38:39]
; %bb.3482:                             ;   in Loop: Header=BB2_3430 Depth=3
	v_or_b32_e32 v27, 0x7e, v16
; %bb.3483:                             ;   in Loop: Header=BB2_3430 Depth=3
	s_or_b64 exec, exec, s[28:29]
                                        ; implicit-def: $vgpr21
.LBB2_3484:                             ;   in Loop: Header=BB2_3430 Depth=3
	s_andn2_saveexec_b64 s[28:29], s[36:37]
; %bb.3485:                             ;   in Loop: Header=BB2_3430 Depth=3
	v_or_b32_sdwa v27, v21, s71 dst_sel:DWORD dst_unused:UNUSED_PAD src0_sel:BYTE_3 src1_sel:DWORD
; %bb.3486:                             ;   in Loop: Header=BB2_3430 Depth=3
	s_or_b64 exec, exec, s[28:29]
	v_lshrrev_b32_e32 v2, 16, v12
	v_cmp_ne_u16_sdwa s[28:29], v2, v3 src0_sel:BYTE_0 src1_sel:DWORD
	v_mov_b32_e32 v16, 0
	s_and_saveexec_b64 s[40:41], s[28:29]
	s_cbranch_execz .LBB2_3492
; %bb.3487:                             ;   in Loop: Header=BB2_3430 Depth=3
	v_cmp_ne_u16_sdwa s[28:29], v2, s70 src0_sel:BYTE_0 src1_sel:DWORD
	v_bfrev_b32_e32 v16, 1
	s_and_saveexec_b64 s[36:37], s[28:29]
	s_cbranch_execz .LBB2_3491
; %bb.3488:                             ;   in Loop: Header=BB2_3430 Depth=3
	v_bfe_u32 v21, v12, 16, 7
	v_cmp_ne_u32_e64 s[28:29], s71, v21
	v_mov_b32_e32 v16, 0x7f800001
	s_and_saveexec_b64 s[38:39], s[28:29]
	s_cbranch_execz .LBB2_3490
; %bb.3489:                             ;   in Loop: Header=BB2_3430 Depth=3
	v_and_b32_e32 v16, 7, v2
	v_lshrrev_b32_e32 v30, 3, v21
	v_cmp_gt_u32_e64 s[28:29], 8, v21
	v_ffbh_u32_e32 v21, v16
	v_min_u32_e32 v21, 32, v21
	v_subrev_u32_e32 v24, 28, v21
	v_lshlrev_b64 v[24:25], v24, v[2:3]
	v_sub_u32_e32 v21, 29, v21
	v_and_b32_e32 v24, 7, v24
	v_cndmask_b32_e64 v21, v30, v21, s[28:29]
	v_cndmask_b32_e64 v16, v16, v24, s[28:29]
	v_lshlrev_b32_e32 v2, 24, v2
	v_lshlrev_b32_e32 v16, 20, v16
	v_and_b32_e32 v2, 0x80000000, v2
	v_lshl_add_u32 v21, v21, 23, v49
	v_or3_b32 v16, v2, v21, v16
.LBB2_3490:                             ;   in Loop: Header=BB2_3430 Depth=3
	s_or_b64 exec, exec, s[38:39]
.LBB2_3491:                             ;   in Loop: Header=BB2_3430 Depth=3
	s_or_b64 exec, exec, s[36:37]
.LBB2_3492:                             ;   in Loop: Header=BB2_3430 Depth=3
	s_or_b64 exec, exec, s[40:41]
	v_lshrrev_b32_e32 v2, 16, v8
	v_cmp_gt_i16_sdwa s[40:41], v2, s71 src0_sel:BYTE_0 src1_sel:DWORD
	s_mov_b64 s[28:29], 0
	s_and_saveexec_b64 s[44:45], s[40:41]
	s_xor_b64 s[40:41], exec, s[44:45]
	s_cbranch_execz .LBB2_3862
; %bb.3493:                             ;   in Loop: Header=BB2_3430 Depth=3
	v_cmp_eq_u16_sdwa s[44:45], v2, s70 src0_sel:BYTE_0 src1_sel:DWORD
	s_mov_b64 s[28:29], -1
	s_and_saveexec_b64 s[36:37], s[44:45]
; %bb.3494:                             ;   in Loop: Header=BB2_3430 Depth=3
	s_xor_b64 s[28:29], exec, -1
; %bb.3495:                             ;   in Loop: Header=BB2_3430 Depth=3
	s_or_b64 exec, exec, s[36:37]
	s_and_b64 s[28:29], s[28:29], exec
	s_or_saveexec_b64 s[40:41], s[40:41]
	v_bfrev_b32_e32 v21, 1
	s_xor_b64 exec, exec, s[40:41]
	s_cbranch_execnz .LBB2_3863
.LBB2_3496:                             ;   in Loop: Header=BB2_3430 Depth=3
	s_or_b64 exec, exec, s[40:41]
	s_and_saveexec_b64 s[40:41], s[28:29]
	s_cbranch_execz .LBB2_3498
.LBB2_3497:                             ;   in Loop: Header=BB2_3430 Depth=3
	v_and_b32_e32 v21, 7, v2
	v_ffbh_u32_e32 v24, v21
	v_min_u32_e32 v36, 32, v24
	v_subrev_u32_e32 v24, 28, v36
	v_lshlrev_b64 v[24:25], v24, v[2:3]
	v_and_b32_e32 v30, 0x7f, v2
	v_bfe_u32 v34, v2, 3, 4
	v_sub_u32_e32 v25, 29, v36
	v_and_b32_e32 v24, 7, v24
	v_cmp_gt_u32_e64 s[28:29], 8, v30
	v_cndmask_b32_e64 v25, v34, v25, s[28:29]
	v_cndmask_b32_e64 v21, v21, v24, s[28:29]
	v_lshlrev_b32_e32 v2, 24, v2
	v_lshlrev_b32_e32 v21, 20, v21
	v_and_b32_e32 v2, 0x80000000, v2
	v_lshl_add_u32 v24, v25, 23, v49
	v_or3_b32 v2, v2, v24, v21
	v_cmp_ne_u32_e64 s[28:29], s71, v30
	v_cndmask_b32_e64 v21, v5, v2, s[28:29]
.LBB2_3498:                             ;   in Loop: Header=BB2_3430 Depth=3
	s_or_b64 exec, exec, s[40:41]
	v_mul_f32_e32 v24, v16, v21
	v_and_b32_e32 v2, 0x7f800000, v24
	v_cmp_ne_u64_e64 s[28:29], s[62:63], v[2:3]
                                        ; implicit-def: $vgpr21
	s_and_saveexec_b64 s[40:41], s[28:29]
	s_xor_b64 s[36:37], exec, s[40:41]
	s_cbranch_execz .LBB2_3512
; %bb.3499:                             ;   in Loop: Header=BB2_3430 Depth=3
	v_and_b32_e32 v2, 0x7fffffff, v24
	v_cmp_gt_u64_e64 s[28:29], s[72:73], v[2:3]
	v_and_b32_sdwa v16, v24, s70 dst_sel:DWORD dst_unused:UNUSED_PAD src0_sel:BYTE_3 src1_sel:DWORD
                                        ; implicit-def: $vgpr21
	s_and_saveexec_b64 s[40:41], s[28:29]
	s_xor_b64 s[38:39], exec, s[40:41]
	s_cbranch_execz .LBB2_3509
; %bb.3500:                             ;   in Loop: Header=BB2_3430 Depth=3
	v_mov_b32_e32 v21, 0
	v_cmp_ne_u32_e64 s[28:29], 0, v24
	s_and_saveexec_b64 s[48:49], s[28:29]
	s_cbranch_execz .LBB2_3508
; %bb.3501:                             ;   in Loop: Header=BB2_3430 Depth=3
	v_bfe_u32 v21, v24, 23, 8
	v_and_b32_e32 v2, 0x7fffff, v24
	v_cmp_gt_u32_e64 s[40:41], s80, v21
	v_sub_u32_e32 v24, 0x79, v21
	v_cmp_eq_u32_e64 s[28:29], 0, v21
	v_cndmask_b32_e64 v24, 0, v24, s[40:41]
	v_or_b32_e32 v25, 0x800000, v2
	v_cndmask_b32_e64 v24, v24, v1, s[28:29]
	v_cndmask_b32_e64 v2, v25, v2, s[28:29]
	v_add_u32_e32 v25, 20, v24
	v_lshlrev_b64 v[57:58], v25, -1
	v_add_u32_e32 v25, 19, v24
	v_lshlrev_b64 v[59:60], v25, 1
	v_bfi_b32 v58, v58, 0, 0
	v_bfi_b32 v57, v57, 0, v2
	v_cmp_eq_u64_e64 s[40:41], v[57:58], v[59:60]
	v_lshrrev_b64 v[57:58], v24, v[2:3]
	v_mov_b32_e32 v59, v58
	v_mov_b32_e32 v58, v57
	s_and_saveexec_b64 s[50:51], s[40:41]
; %bb.3502:                             ;   in Loop: Header=BB2_3430 Depth=3
	v_bfe_u32 v2, v57, 20, 1
	v_add_co_u32_e64 v2, s[40:41], v57, v2
	v_add_co_u32_e64 v58, s[40:41], -1, v2
; %bb.3503:                             ;   in Loop: Header=BB2_3430 Depth=3
	s_or_b64 exec, exec, s[50:51]
	v_add_u32_e32 v2, 0xffffff81, v21
	v_cndmask_b32_e64 v2, v2, v0, s[28:29]
	v_lshrrev_b32_e32 v21, 23, v57
	v_add3_u32 v25, v24, v2, v21
	v_add_u32_e32 v24, 6, v25
	v_and_b32_e32 v2, 0xfffff, v58
	v_add_u32_e32 v2, v2, v57
	v_cmp_ne_u32_e64 s[28:29], 0, v24
                                        ; implicit-def: $vgpr57_vgpr58
                                        ; implicit-def: $vgpr21
	s_and_saveexec_b64 s[40:41], s[28:29]
	s_xor_b64 s[40:41], exec, s[40:41]
; %bb.3504:                             ;   in Loop: Header=BB2_3430 Depth=3
	v_cmp_lt_u64_e64 s[28:29], s[88:89], v[2:3]
	v_add_u32_e32 v21, 7, v25
	v_cndmask_b32_e64 v21, v24, v21, s[28:29]
	v_cndmask_b32_e64 v24, 0, 1, s[28:29]
	v_lshrrev_b64 v[57:58], v24, v[2:3]
; %bb.3505:                             ;   in Loop: Header=BB2_3430 Depth=3
	s_andn2_saveexec_b64 s[28:29], s[40:41]
; %bb.3506:                             ;   in Loop: Header=BB2_3430 Depth=3
	v_mov_b32_e32 v58, v3
	v_bfe_u32 v21, v2, 23, 1
	v_mov_b32_e32 v57, v2
; %bb.3507:                             ;   in Loop: Header=BB2_3430 Depth=3
	s_or_b64 exec, exec, s[28:29]
	v_lshrrev_b64 v[24:25], 20, v[57:58]
	v_cmp_gt_i32_e64 s[28:29], 16, v21
	v_cndmask_b32_e64 v25, 0, v25, s[28:29]
	v_cndmask_b32_e64 v24, 7, v24, s[28:29]
	v_min_i32_e32 v2, 15, v21
	v_cmp_eq_u64_e64 s[40:41], 0, v[24:25]
	v_lshlrev_b32_e32 v2, 3, v2
	v_cmp_eq_u32_e64 s[28:29], 0, v21
	v_and_b32_e32 v2, 0xf8, v2
	v_and_or_b32 v2, v24, 7, v2
	s_and_b64 s[28:29], s[28:29], s[40:41]
	v_cndmask_b32_e64 v2, v2, 0, s[28:29]
	v_or_b32_e32 v21, v2, v16
.LBB2_3508:                             ;   in Loop: Header=BB2_3430 Depth=3
	s_or_b64 exec, exec, s[48:49]
                                        ; implicit-def: $vgpr16
.LBB2_3509:                             ;   in Loop: Header=BB2_3430 Depth=3
	s_andn2_saveexec_b64 s[28:29], s[38:39]
; %bb.3510:                             ;   in Loop: Header=BB2_3430 Depth=3
	v_or_b32_e32 v21, 0x7e, v16
; %bb.3511:                             ;   in Loop: Header=BB2_3430 Depth=3
	s_or_b64 exec, exec, s[28:29]
                                        ; implicit-def: $vgpr24
.LBB2_3512:                             ;   in Loop: Header=BB2_3430 Depth=3
	s_andn2_saveexec_b64 s[28:29], s[36:37]
; %bb.3513:                             ;   in Loop: Header=BB2_3430 Depth=3
	v_or_b32_sdwa v21, v24, s71 dst_sel:DWORD dst_unused:UNUSED_PAD src0_sel:BYTE_3 src1_sel:DWORD
; %bb.3514:                             ;   in Loop: Header=BB2_3430 Depth=3
	s_or_b64 exec, exec, s[28:29]
	v_cmp_lt_u32_e64 s[28:29], s57, v12
	v_mov_b32_e32 v16, 0
	s_and_saveexec_b64 s[40:41], s[28:29]
	s_cbranch_execz .LBB2_3520
; %bb.3515:                             ;   in Loop: Header=BB2_3430 Depth=3
	v_lshrrev_b32_e32 v2, 24, v12
	v_cmp_ne_u32_e64 s[28:29], s70, v2
	v_bfrev_b32_e32 v16, 1
	s_and_saveexec_b64 s[36:37], s[28:29]
	s_cbranch_execz .LBB2_3519
; %bb.3516:                             ;   in Loop: Header=BB2_3430 Depth=3
	v_bfe_u32 v24, v12, 24, 7
	v_cmp_ne_u32_e64 s[28:29], s71, v24
	v_mov_b32_e32 v16, 0x7f800001
	s_and_saveexec_b64 s[38:39], s[28:29]
	s_cbranch_execz .LBB2_3518
; %bb.3517:                             ;   in Loop: Header=BB2_3430 Depth=3
	v_and_b32_e32 v16, 7, v2
	v_lshrrev_b32_e32 v30, 3, v24
	v_cmp_gt_u32_e64 s[28:29], 8, v24
	v_ffbh_u32_e32 v24, v16
	v_min_u32_e32 v34, 32, v24
	v_subrev_u32_e32 v24, 28, v34
	v_lshlrev_b64 v[24:25], v24, v[2:3]
	v_sub_u32_e32 v25, 29, v34
	v_and_b32_e32 v24, 7, v24
	v_cndmask_b32_e64 v25, v30, v25, s[28:29]
	v_cndmask_b32_e64 v16, v16, v24, s[28:29]
	v_lshlrev_b32_e32 v2, 24, v2
	v_lshlrev_b32_e32 v16, 20, v16
	v_and_b32_e32 v2, 0x80000000, v2
	v_lshl_add_u32 v24, v25, 23, v49
	v_or3_b32 v16, v2, v24, v16
.LBB2_3518:                             ;   in Loop: Header=BB2_3430 Depth=3
	s_or_b64 exec, exec, s[38:39]
.LBB2_3519:                             ;   in Loop: Header=BB2_3430 Depth=3
	s_or_b64 exec, exec, s[36:37]
.LBB2_3520:                             ;   in Loop: Header=BB2_3430 Depth=3
	s_or_b64 exec, exec, s[40:41]
	v_bfe_u32 v30, v8, 24, 3
	v_ffbh_u32_e32 v24, v30
	v_min_u32_e32 v37, 32, v24
	v_lshrrev_b32_e32 v2, 24, v8
	v_subrev_u32_e32 v24, 28, v37
	v_lshlrev_b64 v[24:25], v24, v[2:3]
	v_bfe_u32 v34, v8, 24, 7
	v_bfe_u32 v36, v2, 3, 4
	v_sub_u32_e32 v25, 29, v37
	v_and_b32_e32 v24, 7, v24
	v_cmp_gt_u32_e64 s[28:29], 8, v34
	v_cndmask_b32_e64 v25, v36, v25, s[28:29]
	v_cndmask_b32_e64 v24, v30, v24, s[28:29]
	v_lshlrev_b32_e32 v24, 20, v24
	v_and_b32_e32 v30, 0x80000000, v8
	v_lshl_add_u32 v25, v25, 23, v49
	v_or3_b32 v24, v30, v25, v24
	v_cmp_ne_u32_e64 s[28:29], s71, v34
	v_cndmask_b32_e64 v24, v5, v24, s[28:29]
	v_cmp_ne_u32_e64 s[28:29], s70, v2
	v_cndmask_b32_e64 v2, v35, v24, s[28:29]
	v_cmp_lt_u32_e64 s[28:29], s57, v8
	v_cndmask_b32_e64 v2, 0, v2, s[28:29]
	v_mul_f32_e32 v24, v2, v16
	v_and_b32_e32 v2, 0x7f800000, v24
	v_cmp_ne_u64_e64 s[28:29], s[62:63], v[2:3]
                                        ; implicit-def: $vgpr34
	s_and_saveexec_b64 s[40:41], s[28:29]
	s_xor_b64 s[36:37], exec, s[40:41]
	s_cbranch_execz .LBB2_3534
; %bb.3521:                             ;   in Loop: Header=BB2_3430 Depth=3
	v_and_b32_e32 v2, 0x7fffffff, v24
	v_cmp_gt_u64_e64 s[28:29], s[72:73], v[2:3]
	v_and_b32_sdwa v16, v24, s70 dst_sel:DWORD dst_unused:UNUSED_PAD src0_sel:BYTE_3 src1_sel:DWORD
                                        ; implicit-def: $vgpr34
	s_and_saveexec_b64 s[40:41], s[28:29]
	s_xor_b64 s[38:39], exec, s[40:41]
	s_cbranch_execz .LBB2_3531
; %bb.3522:                             ;   in Loop: Header=BB2_3430 Depth=3
	v_mov_b32_e32 v34, 0
	v_cmp_ne_u32_e64 s[28:29], 0, v24
	s_and_saveexec_b64 s[48:49], s[28:29]
	s_cbranch_execz .LBB2_3530
; %bb.3523:                             ;   in Loop: Header=BB2_3430 Depth=3
	v_and_b32_e32 v2, 0x7fffff, v24
	v_bfe_u32 v24, v24, 23, 8
	v_cmp_gt_u32_e64 s[40:41], s80, v24
	v_sub_u32_e32 v25, 0x79, v24
	v_cmp_eq_u32_e64 s[28:29], 0, v24
	v_cndmask_b32_e64 v25, 0, v25, s[40:41]
	v_or_b32_e32 v30, 0x800000, v2
	v_cndmask_b32_e64 v25, v25, v1, s[28:29]
	v_cndmask_b32_e64 v2, v30, v2, s[28:29]
	v_add_u32_e32 v30, 20, v25
	v_lshlrev_b64 v[57:58], v30, -1
	v_add_u32_e32 v30, 19, v25
	v_lshlrev_b64 v[59:60], v30, 1
	v_bfi_b32 v58, v58, 0, 0
	v_bfi_b32 v57, v57, 0, v2
	v_cmp_eq_u64_e64 s[40:41], v[57:58], v[59:60]
	v_lshrrev_b64 v[57:58], v25, v[2:3]
	v_mov_b32_e32 v59, v58
	v_mov_b32_e32 v58, v57
	s_and_saveexec_b64 s[50:51], s[40:41]
; %bb.3524:                             ;   in Loop: Header=BB2_3430 Depth=3
	v_bfe_u32 v2, v57, 20, 1
	v_add_co_u32_e64 v2, s[40:41], v57, v2
	v_add_co_u32_e64 v58, s[40:41], -1, v2
; %bb.3525:                             ;   in Loop: Header=BB2_3430 Depth=3
	s_or_b64 exec, exec, s[50:51]
	v_add_u32_e32 v2, 0xffffff81, v24
	v_cndmask_b32_e64 v2, v2, v0, s[28:29]
	v_lshrrev_b32_e32 v24, 23, v57
	v_add3_u32 v30, v25, v2, v24
	v_add_u32_e32 v25, 6, v30
	v_and_b32_e32 v2, 0xfffff, v58
	v_add_u32_e32 v2, v2, v57
	v_cmp_ne_u32_e64 s[28:29], 0, v25
                                        ; implicit-def: $vgpr57_vgpr58
                                        ; implicit-def: $vgpr24
	s_and_saveexec_b64 s[40:41], s[28:29]
	s_xor_b64 s[40:41], exec, s[40:41]
; %bb.3526:                             ;   in Loop: Header=BB2_3430 Depth=3
	v_cmp_lt_u64_e64 s[28:29], s[88:89], v[2:3]
	v_add_u32_e32 v24, 7, v30
	v_cndmask_b32_e64 v24, v25, v24, s[28:29]
	v_cndmask_b32_e64 v25, 0, 1, s[28:29]
	v_lshrrev_b64 v[57:58], v25, v[2:3]
; %bb.3527:                             ;   in Loop: Header=BB2_3430 Depth=3
	s_andn2_saveexec_b64 s[28:29], s[40:41]
; %bb.3528:                             ;   in Loop: Header=BB2_3430 Depth=3
	v_mov_b32_e32 v58, v3
	v_bfe_u32 v24, v2, 23, 1
	v_mov_b32_e32 v57, v2
; %bb.3529:                             ;   in Loop: Header=BB2_3430 Depth=3
	s_or_b64 exec, exec, s[28:29]
	v_lshrrev_b64 v[57:58], 20, v[57:58]
	v_cmp_gt_i32_e64 s[28:29], 16, v24
	v_cndmask_b32_e64 v58, 0, v58, s[28:29]
	v_cndmask_b32_e64 v57, 7, v57, s[28:29]
	v_min_i32_e32 v2, 15, v24
	v_cmp_eq_u64_e64 s[40:41], 0, v[57:58]
	v_lshlrev_b32_e32 v2, 3, v2
	v_cmp_eq_u32_e64 s[28:29], 0, v24
	v_and_b32_e32 v2, 0xf8, v2
	v_and_or_b32 v2, v57, 7, v2
	s_and_b64 s[28:29], s[28:29], s[40:41]
	v_cndmask_b32_e64 v2, v2, 0, s[28:29]
	v_or_b32_e32 v34, v2, v16
.LBB2_3530:                             ;   in Loop: Header=BB2_3430 Depth=3
	s_or_b64 exec, exec, s[48:49]
                                        ; implicit-def: $vgpr16
.LBB2_3531:                             ;   in Loop: Header=BB2_3430 Depth=3
	s_andn2_saveexec_b64 s[28:29], s[38:39]
; %bb.3532:                             ;   in Loop: Header=BB2_3430 Depth=3
	v_or_b32_e32 v34, 0x7e, v16
; %bb.3533:                             ;   in Loop: Header=BB2_3430 Depth=3
	s_or_b64 exec, exec, s[28:29]
                                        ; implicit-def: $vgpr24
.LBB2_3534:                             ;   in Loop: Header=BB2_3430 Depth=3
	s_andn2_saveexec_b64 s[28:29], s[36:37]
; %bb.3535:                             ;   in Loop: Header=BB2_3430 Depth=3
	v_or_b32_sdwa v34, v24, s71 dst_sel:DWORD dst_unused:UNUSED_PAD src0_sel:BYTE_3 src1_sel:DWORD
; %bb.3536:                             ;   in Loop: Header=BB2_3430 Depth=3
	s_or_b64 exec, exec, s[28:29]
	v_mov_b32_e32 v2, v13
	v_cmp_ne_u16_sdwa s[28:29], v13, v3 src0_sel:BYTE_0 src1_sel:DWORD
	v_mov_b32_e32 v16, 0
	s_and_saveexec_b64 s[40:41], s[28:29]
	s_cbranch_execz .LBB2_3542
; %bb.3537:                             ;   in Loop: Header=BB2_3430 Depth=3
	v_cmp_ne_u16_sdwa s[28:29], v13, s70 src0_sel:BYTE_0 src1_sel:DWORD
	v_bfrev_b32_e32 v16, 1
	s_and_saveexec_b64 s[36:37], s[28:29]
	s_cbranch_execz .LBB2_3541
; %bb.3538:                             ;   in Loop: Header=BB2_3430 Depth=3
	v_and_b32_e32 v24, 0x7f, v13
	v_cmp_ne_u32_e64 s[28:29], s71, v24
	v_mov_b32_e32 v16, 0x7f800001
	s_and_saveexec_b64 s[38:39], s[28:29]
	s_cbranch_execz .LBB2_3540
; %bb.3539:                             ;   in Loop: Header=BB2_3430 Depth=3
	v_and_b32_e32 v16, 7, v13
	v_ffbh_u32_e32 v16, v16
	v_min_u32_e32 v16, 32, v16
	v_lshrrev_b32_e32 v25, 3, v24
	v_cmp_gt_u32_e64 s[28:29], 8, v24
	v_subrev_u32_e32 v24, 28, v16
	v_sub_u32_e32 v16, 29, v16
	v_cndmask_b32_e64 v24, 0, v24, s[28:29]
	v_cndmask_b32_e64 v16, v25, v16, s[28:29]
	v_lshlrev_b64 v[24:25], v24, v[2:3]
	v_lshlrev_b32_e32 v25, 24, v2
	v_lshlrev_b32_e32 v24, 20, v24
	v_and_b32_e32 v24, 0x700000, v24
	v_and_b32_e32 v25, 0x80000000, v25
	v_lshl_add_u32 v16, v16, 23, v49
	v_or3_b32 v16, v25, v16, v24
.LBB2_3540:                             ;   in Loop: Header=BB2_3430 Depth=3
	s_or_b64 exec, exec, s[38:39]
.LBB2_3541:                             ;   in Loop: Header=BB2_3430 Depth=3
	s_or_b64 exec, exec, s[36:37]
.LBB2_3542:                             ;   in Loop: Header=BB2_3430 Depth=3
	s_or_b64 exec, exec, s[40:41]
	v_cmp_gt_i16_sdwa s[40:41], v9, s71 src0_sel:BYTE_0 src1_sel:DWORD
	s_mov_b64 s[28:29], 0
	s_and_saveexec_b64 s[44:45], s[40:41]
	s_xor_b64 s[40:41], exec, s[44:45]
	s_cbranch_execz .LBB2_3546
; %bb.3543:                             ;   in Loop: Header=BB2_3430 Depth=3
	v_cmp_eq_u16_sdwa s[44:45], v9, s70 src0_sel:BYTE_0 src1_sel:DWORD
	s_mov_b64 s[28:29], -1
	s_and_saveexec_b64 s[36:37], s[44:45]
; %bb.3544:                             ;   in Loop: Header=BB2_3430 Depth=3
	s_xor_b64 s[28:29], exec, -1
; %bb.3545:                             ;   in Loop: Header=BB2_3430 Depth=3
	s_or_b64 exec, exec, s[36:37]
	s_and_b64 s[28:29], s[28:29], exec
.LBB2_3546:                             ;   in Loop: Header=BB2_3430 Depth=3
	s_or_saveexec_b64 s[40:41], s[40:41]
	v_bfrev_b32_e32 v24, 1
	s_xor_b64 exec, exec, s[40:41]
; %bb.3547:                             ;   in Loop: Header=BB2_3430 Depth=3
	v_cmp_ne_u16_sdwa s[44:45], v9, v3 src0_sel:BYTE_0 src1_sel:DWORD
	s_andn2_b64 s[28:29], s[28:29], exec
	s_and_b64 s[44:45], s[44:45], exec
	v_mov_b32_e32 v24, 0
	s_or_b64 s[28:29], s[28:29], s[44:45]
; %bb.3548:                             ;   in Loop: Header=BB2_3430 Depth=3
	s_or_b64 exec, exec, s[40:41]
	v_mov_b32_e32 v57, v9
	v_mov_b32_e32 v58, v3
	s_and_saveexec_b64 s[40:41], s[28:29]
	s_cbranch_execz .LBB2_3550
; %bb.3549:                             ;   in Loop: Header=BB2_3430 Depth=3
	v_and_b32_e32 v24, 7, v9
	v_ffbh_u32_e32 v24, v24
	v_and_b32_e32 v30, 0x7f, v9
	v_min_u32_e32 v24, 32, v24
	v_bfe_u32 v25, v9, 3, 4
	v_subrev_u32_e32 v36, 28, v24
	v_sub_u32_e32 v24, 29, v24
	v_cmp_gt_u32_e64 s[28:29], 8, v30
	v_cndmask_b32_e64 v37, v25, v24, s[28:29]
	v_cndmask_b32_e64 v24, 0, v36, s[28:29]
	v_lshlrev_b64 v[24:25], v24, v[57:58]
	v_lshlrev_b32_e32 v25, 24, v57
	v_lshlrev_b32_e32 v24, 20, v24
	v_and_b32_e32 v24, 0x700000, v24
	v_and_b32_e32 v25, 0x80000000, v25
	v_lshl_add_u32 v36, v37, 23, v49
	v_or3_b32 v24, v25, v36, v24
	v_cmp_ne_u32_e64 s[28:29], s71, v30
	v_cndmask_b32_e64 v24, v5, v24, s[28:29]
.LBB2_3550:                             ;   in Loop: Header=BB2_3430 Depth=3
	s_or_b64 exec, exec, s[40:41]
	v_mul_f32_e32 v24, v16, v24
	v_and_b32_e32 v58, 0x7f800000, v24
	v_mov_b32_e32 v59, v3
	v_cmp_ne_u64_e64 s[28:29], s[62:63], v[58:59]
                                        ; implicit-def: $vgpr52
	s_and_saveexec_b64 s[40:41], s[28:29]
	s_xor_b64 s[36:37], exec, s[40:41]
	s_cbranch_execz .LBB2_3564
; %bb.3551:                             ;   in Loop: Header=BB2_3430 Depth=3
	v_and_b32_e32 v58, 0x7fffffff, v24
	v_mov_b32_e32 v59, v3
	v_cmp_gt_u64_e64 s[28:29], s[72:73], v[58:59]
	v_and_b32_sdwa v16, v24, s70 dst_sel:DWORD dst_unused:UNUSED_PAD src0_sel:BYTE_3 src1_sel:DWORD
                                        ; implicit-def: $vgpr52
	s_and_saveexec_b64 s[40:41], s[28:29]
	s_xor_b64 s[38:39], exec, s[40:41]
	s_cbranch_execz .LBB2_3561
; %bb.3552:                             ;   in Loop: Header=BB2_3430 Depth=3
	v_mov_b32_e32 v52, 0
	v_cmp_ne_u32_e64 s[28:29], 0, v24
	s_and_saveexec_b64 s[48:49], s[28:29]
	s_cbranch_execz .LBB2_3560
; %bb.3553:                             ;   in Loop: Header=BB2_3430 Depth=3
	v_and_b32_e32 v30, 0x7fffff, v24
	v_bfe_u32 v24, v24, 23, 8
	v_cmp_gt_u32_e64 s[40:41], s80, v24
	v_sub_u32_e32 v25, 0x79, v24
	v_cmp_eq_u32_e64 s[28:29], 0, v24
	v_cndmask_b32_e64 v25, 0, v25, s[40:41]
	v_or_b32_e32 v36, 0x800000, v30
	v_cndmask_b32_e64 v25, v25, v1, s[28:29]
	v_cndmask_b32_e64 v58, v36, v30, s[28:29]
	v_add_u32_e32 v30, 20, v25
	v_lshlrev_b64 v[60:61], v30, -1
	v_mov_b32_e32 v59, v3
	v_add_u32_e32 v30, 19, v25
	v_bfi_b32 v60, v60, 0, v58
	v_lshlrev_b64 v[36:37], v30, 1
	v_lshrrev_b64 v[58:59], v25, v[58:59]
	v_bfi_b32 v61, v61, 0, 0
	v_cmp_eq_u64_e64 s[40:41], v[60:61], v[36:37]
	v_mov_b32_e32 v60, v59
	v_mov_b32_e32 v59, v58
	s_and_saveexec_b64 s[50:51], s[40:41]
; %bb.3554:                             ;   in Loop: Header=BB2_3430 Depth=3
	v_bfe_u32 v30, v58, 20, 1
	v_add_co_u32_e64 v30, s[40:41], v58, v30
	v_add_co_u32_e64 v59, s[40:41], -1, v30
; %bb.3555:                             ;   in Loop: Header=BB2_3430 Depth=3
	s_or_b64 exec, exec, s[50:51]
	v_add_u32_e32 v24, 0xffffff81, v24
	v_cndmask_b32_e64 v24, v24, v0, s[28:29]
	v_lshrrev_b32_e32 v30, 23, v58
	v_add3_u32 v30, v25, v24, v30
	v_add_u32_e32 v25, 6, v30
	v_and_b32_e32 v24, 0xfffff, v59
	v_add_u32_e32 v58, v24, v58
	v_mov_b32_e32 v59, v3
	v_cmp_ne_u32_e64 s[28:29], 0, v25
                                        ; implicit-def: $vgpr24
	s_and_saveexec_b64 s[40:41], s[28:29]
	s_xor_b64 s[40:41], exec, s[40:41]
; %bb.3556:                             ;   in Loop: Header=BB2_3430 Depth=3
	v_cmp_lt_u64_e64 s[28:29], s[88:89], v[58:59]
	v_add_u32_e32 v24, 7, v30
	v_cndmask_b32_e64 v24, v25, v24, s[28:29]
	v_cndmask_b32_e64 v25, 0, 1, s[28:29]
	v_lshrrev_b64 v[58:59], v25, v[58:59]
; %bb.3557:                             ;   in Loop: Header=BB2_3430 Depth=3
	s_andn2_saveexec_b64 s[28:29], s[40:41]
; %bb.3558:                             ;   in Loop: Header=BB2_3430 Depth=3
	v_bfe_u32 v24, v58, 23, 1
; %bb.3559:                             ;   in Loop: Header=BB2_3430 Depth=3
	s_or_b64 exec, exec, s[28:29]
	v_lshrrev_b64 v[36:37], 20, v[58:59]
	v_cmp_gt_i32_e64 s[28:29], 16, v24
	v_cndmask_b32_e64 v37, 0, v37, s[28:29]
	v_cndmask_b32_e64 v36, 7, v36, s[28:29]
	v_cmp_eq_u32_e64 s[28:29], 0, v24
	v_min_i32_e32 v24, 15, v24
	v_cmp_eq_u64_e64 s[40:41], 0, v[36:37]
	v_lshlrev_b32_e32 v24, 3, v24
	v_and_b32_e32 v24, 0xf8, v24
	v_and_or_b32 v24, v36, 7, v24
	s_and_b64 s[28:29], s[28:29], s[40:41]
	v_cndmask_b32_e64 v24, v24, 0, s[28:29]
	v_or_b32_e32 v52, v24, v16
.LBB2_3560:                             ;   in Loop: Header=BB2_3430 Depth=3
	s_or_b64 exec, exec, s[48:49]
                                        ; implicit-def: $vgpr16
.LBB2_3561:                             ;   in Loop: Header=BB2_3430 Depth=3
	s_andn2_saveexec_b64 s[28:29], s[38:39]
; %bb.3562:                             ;   in Loop: Header=BB2_3430 Depth=3
	v_or_b32_e32 v52, 0x7e, v16
; %bb.3563:                             ;   in Loop: Header=BB2_3430 Depth=3
	s_or_b64 exec, exec, s[28:29]
                                        ; implicit-def: $vgpr24
.LBB2_3564:                             ;   in Loop: Header=BB2_3430 Depth=3
	s_andn2_saveexec_b64 s[28:29], s[36:37]
; %bb.3565:                             ;   in Loop: Header=BB2_3430 Depth=3
	v_or_b32_sdwa v52, v24, s71 dst_sel:DWORD dst_unused:UNUSED_PAD src0_sel:BYTE_3 src1_sel:DWORD
; %bb.3566:                             ;   in Loop: Header=BB2_3430 Depth=3
	s_or_b64 exec, exec, s[28:29]
	v_lshrrev_b16_e32 v30, 8, v2
	v_cmp_ne_u16_e64 s[28:29], 0, v30
	v_mov_b32_e32 v16, 0
	s_and_saveexec_b64 s[40:41], s[28:29]
	s_cbranch_execz .LBB2_3572
; %bb.3567:                             ;   in Loop: Header=BB2_3430 Depth=3
	v_cmp_ne_u16_e64 s[28:29], s70, v30
	v_bfrev_b32_e32 v16, 1
	s_and_saveexec_b64 s[36:37], s[28:29]
	s_cbranch_execz .LBB2_3571
; %bb.3568:                             ;   in Loop: Header=BB2_3430 Depth=3
	v_and_b32_e32 v24, 0x7f, v30
	v_cmp_ne_u32_e64 s[28:29], s71, v24
	v_mov_b32_e32 v16, 0x7f800001
	s_and_saveexec_b64 s[38:39], s[28:29]
	s_cbranch_execz .LBB2_3570
; %bb.3569:                             ;   in Loop: Header=BB2_3430 Depth=3
	v_and_b32_e32 v16, 7, v30
	v_lshrrev_b32_e32 v36, 3, v24
	v_cmp_gt_u32_e64 s[28:29], 8, v24
	v_ffbh_u32_e32 v24, v16
	v_min_u32_e32 v37, 32, v24
	v_subrev_u32_e32 v24, 28, v37
	v_lshlrev_b64 v[24:25], v24, v[30:31]
	v_sub_u32_e32 v25, 29, v37
	v_and_b32_e32 v24, 7, v24
	v_cndmask_b32_e64 v25, v36, v25, s[28:29]
	v_cndmask_b32_e64 v16, v16, v24, s[28:29]
	v_lshlrev_b32_e32 v2, 16, v2
	v_lshlrev_b32_e32 v16, 20, v16
	v_and_b32_e32 v2, 0x80000000, v2
	v_lshl_add_u32 v24, v25, 23, v49
	v_or3_b32 v16, v2, v24, v16
.LBB2_3570:                             ;   in Loop: Header=BB2_3430 Depth=3
	s_or_b64 exec, exec, s[38:39]
.LBB2_3571:                             ;   in Loop: Header=BB2_3430 Depth=3
	s_or_b64 exec, exec, s[36:37]
.LBB2_3572:                             ;   in Loop: Header=BB2_3430 Depth=3
	s_or_b64 exec, exec, s[40:41]
	v_lshrrev_b16_e32 v2, 8, v57
	v_cmp_lt_i16_e64 s[28:29], s71, v2
	s_mov_b64 s[40:41], 0
	s_and_saveexec_b64 s[44:45], s[28:29]
	s_xor_b64 s[36:37], exec, s[44:45]
	s_cbranch_execz .LBB2_3864
; %bb.3573:                             ;   in Loop: Header=BB2_3430 Depth=3
	v_cmp_eq_u16_e64 s[28:29], s70, v2
	s_mov_b64 s[40:41], -1
	s_and_saveexec_b64 s[38:39], s[28:29]
; %bb.3574:                             ;   in Loop: Header=BB2_3430 Depth=3
	s_xor_b64 s[40:41], exec, -1
; %bb.3575:                             ;   in Loop: Header=BB2_3430 Depth=3
	s_or_b64 exec, exec, s[38:39]
	s_and_b64 s[40:41], s[40:41], exec
	s_or_saveexec_b64 s[36:37], s[36:37]
	v_bfrev_b32_e32 v24, 1
	s_xor_b64 exec, exec, s[36:37]
	s_cbranch_execnz .LBB2_3865
.LBB2_3576:                             ;   in Loop: Header=BB2_3430 Depth=3
	s_or_b64 exec, exec, s[36:37]
	s_and_saveexec_b64 s[36:37], s[40:41]
	s_cbranch_execz .LBB2_3578
.LBB2_3577:                             ;   in Loop: Header=BB2_3430 Depth=3
	v_and_b32_e32 v30, 7, v2
	v_ffbh_u32_e32 v24, v30
	v_min_u32_e32 v48, 32, v24
	v_subrev_u32_e32 v24, 28, v48
	v_lshlrev_b64 v[24:25], v24, v[2:3]
	v_and_b32_e32 v36, 0x7f, v2
	v_bfe_u32 v37, v2, 3, 4
	v_sub_u32_e32 v25, 29, v48
	v_and_b32_e32 v24, 7, v24
	v_cmp_gt_u32_e64 s[28:29], 8, v36
	v_cndmask_b32_e64 v25, v37, v25, s[28:29]
	v_cndmask_b32_e64 v24, v30, v24, s[28:29]
	v_lshlrev_b32_e32 v2, 24, v2
	v_lshlrev_b32_e32 v24, 20, v24
	v_and_b32_e32 v2, 0x80000000, v2
	v_lshl_add_u32 v25, v25, 23, v49
	v_or3_b32 v2, v2, v25, v24
	v_cmp_ne_u32_e64 s[28:29], s71, v36
	v_cndmask_b32_e64 v24, v5, v2, s[28:29]
.LBB2_3578:                             ;   in Loop: Header=BB2_3430 Depth=3
	s_or_b64 exec, exec, s[36:37]
	v_mul_f32_e32 v24, v16, v24
	v_and_b32_e32 v2, 0x7f800000, v24
	v_cmp_ne_u64_e64 s[28:29], s[62:63], v[2:3]
                                        ; implicit-def: $vgpr30
	s_and_saveexec_b64 s[40:41], s[28:29]
	s_xor_b64 s[36:37], exec, s[40:41]
	s_cbranch_execz .LBB2_3592
; %bb.3579:                             ;   in Loop: Header=BB2_3430 Depth=3
	v_and_b32_e32 v2, 0x7fffffff, v24
	v_cmp_gt_u64_e64 s[28:29], s[72:73], v[2:3]
	v_and_b32_sdwa v16, v24, s70 dst_sel:DWORD dst_unused:UNUSED_PAD src0_sel:BYTE_3 src1_sel:DWORD
                                        ; implicit-def: $vgpr30
	s_and_saveexec_b64 s[40:41], s[28:29]
	s_xor_b64 s[38:39], exec, s[40:41]
	s_cbranch_execz .LBB2_3589
; %bb.3580:                             ;   in Loop: Header=BB2_3430 Depth=3
	v_mov_b32_e32 v30, 0
	v_cmp_ne_u32_e64 s[28:29], 0, v24
	s_and_saveexec_b64 s[48:49], s[28:29]
	s_cbranch_execz .LBB2_3588
; %bb.3581:                             ;   in Loop: Header=BB2_3430 Depth=3
	v_and_b32_e32 v2, 0x7fffff, v24
	v_bfe_u32 v24, v24, 23, 8
	v_cmp_gt_u32_e64 s[40:41], s80, v24
	v_sub_u32_e32 v25, 0x79, v24
	v_cmp_eq_u32_e64 s[28:29], 0, v24
	v_cndmask_b32_e64 v25, 0, v25, s[40:41]
	v_or_b32_e32 v30, 0x800000, v2
	v_cndmask_b32_e64 v25, v25, v1, s[28:29]
	v_cndmask_b32_e64 v2, v30, v2, s[28:29]
	v_add_u32_e32 v30, 20, v25
	v_lshlrev_b64 v[36:37], v30, -1
	v_add_u32_e32 v30, 19, v25
	v_lshlrev_b64 v[57:58], v30, 1
	v_bfi_b32 v37, v37, 0, 0
	v_bfi_b32 v36, v36, 0, v2
	v_cmp_eq_u64_e64 s[40:41], v[36:37], v[57:58]
	v_lshrrev_b64 v[57:58], v25, v[2:3]
	v_mov_b32_e32 v59, v58
	v_mov_b32_e32 v58, v57
	s_and_saveexec_b64 s[50:51], s[40:41]
; %bb.3582:                             ;   in Loop: Header=BB2_3430 Depth=3
	v_bfe_u32 v2, v57, 20, 1
	v_add_co_u32_e64 v2, s[40:41], v57, v2
	v_add_co_u32_e64 v58, s[40:41], -1, v2
; %bb.3583:                             ;   in Loop: Header=BB2_3430 Depth=3
	s_or_b64 exec, exec, s[50:51]
	v_add_u32_e32 v2, 0xffffff81, v24
	v_cndmask_b32_e64 v2, v2, v0, s[28:29]
	v_lshrrev_b32_e32 v24, 23, v57
	v_add3_u32 v30, v25, v2, v24
	v_add_u32_e32 v25, 6, v30
	v_and_b32_e32 v2, 0xfffff, v58
	v_add_u32_e32 v2, v2, v57
	v_cmp_ne_u32_e64 s[28:29], 0, v25
                                        ; implicit-def: $vgpr57_vgpr58
                                        ; implicit-def: $vgpr24
	s_and_saveexec_b64 s[40:41], s[28:29]
	s_xor_b64 s[40:41], exec, s[40:41]
; %bb.3584:                             ;   in Loop: Header=BB2_3430 Depth=3
	v_cmp_lt_u64_e64 s[28:29], s[88:89], v[2:3]
	v_add_u32_e32 v24, 7, v30
	v_cndmask_b32_e64 v24, v25, v24, s[28:29]
	v_cndmask_b32_e64 v25, 0, 1, s[28:29]
	v_lshrrev_b64 v[57:58], v25, v[2:3]
; %bb.3585:                             ;   in Loop: Header=BB2_3430 Depth=3
	s_andn2_saveexec_b64 s[28:29], s[40:41]
; %bb.3586:                             ;   in Loop: Header=BB2_3430 Depth=3
	v_mov_b32_e32 v58, v3
	v_bfe_u32 v24, v2, 23, 1
	v_mov_b32_e32 v57, v2
; %bb.3587:                             ;   in Loop: Header=BB2_3430 Depth=3
	s_or_b64 exec, exec, s[28:29]
	v_lshrrev_b64 v[36:37], 20, v[57:58]
	v_cmp_gt_i32_e64 s[28:29], 16, v24
	v_cndmask_b32_e64 v37, 0, v37, s[28:29]
	v_cndmask_b32_e64 v36, 7, v36, s[28:29]
	v_min_i32_e32 v2, 15, v24
	v_cmp_eq_u64_e64 s[40:41], 0, v[36:37]
	v_lshlrev_b32_e32 v2, 3, v2
	v_cmp_eq_u32_e64 s[28:29], 0, v24
	v_and_b32_e32 v2, 0xf8, v2
	v_and_or_b32 v2, v36, 7, v2
	s_and_b64 s[28:29], s[28:29], s[40:41]
	v_cndmask_b32_e64 v2, v2, 0, s[28:29]
	v_or_b32_e32 v30, v2, v16
.LBB2_3588:                             ;   in Loop: Header=BB2_3430 Depth=3
	s_or_b64 exec, exec, s[48:49]
                                        ; implicit-def: $vgpr16
.LBB2_3589:                             ;   in Loop: Header=BB2_3430 Depth=3
	s_andn2_saveexec_b64 s[28:29], s[38:39]
; %bb.3590:                             ;   in Loop: Header=BB2_3430 Depth=3
	v_or_b32_e32 v30, 0x7e, v16
; %bb.3591:                             ;   in Loop: Header=BB2_3430 Depth=3
	s_or_b64 exec, exec, s[28:29]
                                        ; implicit-def: $vgpr24
.LBB2_3592:                             ;   in Loop: Header=BB2_3430 Depth=3
	s_andn2_saveexec_b64 s[28:29], s[36:37]
; %bb.3593:                             ;   in Loop: Header=BB2_3430 Depth=3
	v_or_b32_sdwa v30, v24, s71 dst_sel:DWORD dst_unused:UNUSED_PAD src0_sel:BYTE_3 src1_sel:DWORD
; %bb.3594:                             ;   in Loop: Header=BB2_3430 Depth=3
	s_or_b64 exec, exec, s[28:29]
	v_lshrrev_b32_e32 v2, 16, v13
	v_cmp_ne_u16_sdwa s[28:29], v2, v3 src0_sel:BYTE_0 src1_sel:DWORD
	v_mov_b32_e32 v16, 0
	s_and_saveexec_b64 s[40:41], s[28:29]
	s_cbranch_execz .LBB2_3600
; %bb.3595:                             ;   in Loop: Header=BB2_3430 Depth=3
	v_cmp_ne_u16_sdwa s[28:29], v2, s70 src0_sel:BYTE_0 src1_sel:DWORD
	v_bfrev_b32_e32 v16, 1
	s_and_saveexec_b64 s[36:37], s[28:29]
	s_cbranch_execz .LBB2_3599
; %bb.3596:                             ;   in Loop: Header=BB2_3430 Depth=3
	v_bfe_u32 v24, v13, 16, 7
	v_cmp_ne_u32_e64 s[28:29], s71, v24
	v_mov_b32_e32 v16, 0x7f800001
	s_and_saveexec_b64 s[38:39], s[28:29]
	s_cbranch_execz .LBB2_3598
; %bb.3597:                             ;   in Loop: Header=BB2_3430 Depth=3
	v_and_b32_e32 v16, 7, v2
	v_lshrrev_b32_e32 v36, 3, v24
	v_cmp_gt_u32_e64 s[28:29], 8, v24
	v_ffbh_u32_e32 v24, v16
	v_min_u32_e32 v37, 32, v24
	v_subrev_u32_e32 v24, 28, v37
	v_lshlrev_b64 v[24:25], v24, v[2:3]
	v_sub_u32_e32 v25, 29, v37
	v_and_b32_e32 v24, 7, v24
	v_cndmask_b32_e64 v25, v36, v25, s[28:29]
	v_cndmask_b32_e64 v16, v16, v24, s[28:29]
	v_lshlrev_b32_e32 v2, 24, v2
	v_lshlrev_b32_e32 v16, 20, v16
	v_and_b32_e32 v2, 0x80000000, v2
	v_lshl_add_u32 v24, v25, 23, v49
	v_or3_b32 v16, v2, v24, v16
.LBB2_3598:                             ;   in Loop: Header=BB2_3430 Depth=3
	s_or_b64 exec, exec, s[38:39]
.LBB2_3599:                             ;   in Loop: Header=BB2_3430 Depth=3
	s_or_b64 exec, exec, s[36:37]
.LBB2_3600:                             ;   in Loop: Header=BB2_3430 Depth=3
	s_or_b64 exec, exec, s[40:41]
	v_lshrrev_b32_e32 v2, 16, v9
	v_cmp_gt_i16_sdwa s[40:41], v2, s71 src0_sel:BYTE_0 src1_sel:DWORD
	s_mov_b64 s[28:29], 0
	s_and_saveexec_b64 s[44:45], s[40:41]
	s_xor_b64 s[40:41], exec, s[44:45]
	s_cbranch_execz .LBB2_3866
; %bb.3601:                             ;   in Loop: Header=BB2_3430 Depth=3
	v_cmp_eq_u16_sdwa s[44:45], v2, s70 src0_sel:BYTE_0 src1_sel:DWORD
	s_mov_b64 s[28:29], -1
	s_and_saveexec_b64 s[36:37], s[44:45]
; %bb.3602:                             ;   in Loop: Header=BB2_3430 Depth=3
	s_xor_b64 s[28:29], exec, -1
; %bb.3603:                             ;   in Loop: Header=BB2_3430 Depth=3
	s_or_b64 exec, exec, s[36:37]
	s_and_b64 s[28:29], s[28:29], exec
	s_or_saveexec_b64 s[40:41], s[40:41]
	v_bfrev_b32_e32 v24, 1
	s_xor_b64 exec, exec, s[40:41]
	s_cbranch_execnz .LBB2_3867
.LBB2_3604:                             ;   in Loop: Header=BB2_3430 Depth=3
	s_or_b64 exec, exec, s[40:41]
	s_and_saveexec_b64 s[40:41], s[28:29]
	s_cbranch_execz .LBB2_3606
.LBB2_3605:                             ;   in Loop: Header=BB2_3430 Depth=3
	v_and_b32_e32 v36, 7, v2
	v_ffbh_u32_e32 v24, v36
	v_min_u32_e32 v41, 32, v24
	v_subrev_u32_e32 v24, 28, v41
	v_lshlrev_b64 v[24:25], v24, v[2:3]
	v_and_b32_e32 v37, 0x7f, v2
	v_bfe_u32 v48, v2, 3, 4
	v_sub_u32_e32 v25, 29, v41
	v_and_b32_e32 v24, 7, v24
	v_cmp_gt_u32_e64 s[28:29], 8, v37
	v_cndmask_b32_e64 v25, v48, v25, s[28:29]
	v_cndmask_b32_e64 v24, v36, v24, s[28:29]
	v_lshlrev_b32_e32 v2, 24, v2
	v_lshlrev_b32_e32 v24, 20, v24
	v_and_b32_e32 v2, 0x80000000, v2
	v_lshl_add_u32 v25, v25, 23, v49
	v_or3_b32 v2, v2, v25, v24
	v_cmp_ne_u32_e64 s[28:29], s71, v37
	v_cndmask_b32_e64 v24, v5, v2, s[28:29]
.LBB2_3606:                             ;   in Loop: Header=BB2_3430 Depth=3
	s_or_b64 exec, exec, s[40:41]
	v_mul_f32_e32 v24, v16, v24
	v_and_b32_e32 v2, 0x7f800000, v24
	v_cmp_ne_u64_e64 s[28:29], s[62:63], v[2:3]
                                        ; implicit-def: $vgpr41
	s_and_saveexec_b64 s[40:41], s[28:29]
	s_xor_b64 s[36:37], exec, s[40:41]
	s_cbranch_execz .LBB2_3620
; %bb.3607:                             ;   in Loop: Header=BB2_3430 Depth=3
	v_and_b32_e32 v2, 0x7fffffff, v24
	v_cmp_gt_u64_e64 s[28:29], s[72:73], v[2:3]
	v_and_b32_sdwa v16, v24, s70 dst_sel:DWORD dst_unused:UNUSED_PAD src0_sel:BYTE_3 src1_sel:DWORD
                                        ; implicit-def: $vgpr41
	s_and_saveexec_b64 s[40:41], s[28:29]
	s_xor_b64 s[38:39], exec, s[40:41]
	s_cbranch_execz .LBB2_3617
; %bb.3608:                             ;   in Loop: Header=BB2_3430 Depth=3
	v_mov_b32_e32 v41, 0
	v_cmp_ne_u32_e64 s[28:29], 0, v24
	s_and_saveexec_b64 s[48:49], s[28:29]
	s_cbranch_execz .LBB2_3616
; %bb.3609:                             ;   in Loop: Header=BB2_3430 Depth=3
	v_and_b32_e32 v2, 0x7fffff, v24
	v_bfe_u32 v24, v24, 23, 8
	v_cmp_gt_u32_e64 s[40:41], s80, v24
	v_sub_u32_e32 v25, 0x79, v24
	v_cmp_eq_u32_e64 s[28:29], 0, v24
	v_cndmask_b32_e64 v25, 0, v25, s[40:41]
	v_or_b32_e32 v36, 0x800000, v2
	v_cndmask_b32_e64 v25, v25, v1, s[28:29]
	v_cndmask_b32_e64 v2, v36, v2, s[28:29]
	v_add_u32_e32 v36, 20, v25
	v_lshlrev_b64 v[36:37], v36, -1
	v_add_u32_e32 v48, 19, v25
	v_lshlrev_b64 v[57:58], v48, 1
	v_bfi_b32 v37, v37, 0, 0
	v_bfi_b32 v36, v36, 0, v2
	v_cmp_eq_u64_e64 s[40:41], v[36:37], v[57:58]
	v_lshrrev_b64 v[57:58], v25, v[2:3]
	v_mov_b32_e32 v59, v58
	v_mov_b32_e32 v58, v57
	s_and_saveexec_b64 s[50:51], s[40:41]
; %bb.3610:                             ;   in Loop: Header=BB2_3430 Depth=3
	v_bfe_u32 v2, v57, 20, 1
	v_add_co_u32_e64 v2, s[40:41], v57, v2
	v_add_co_u32_e64 v58, s[40:41], -1, v2
; %bb.3611:                             ;   in Loop: Header=BB2_3430 Depth=3
	s_or_b64 exec, exec, s[50:51]
	v_add_u32_e32 v2, 0xffffff81, v24
	v_cndmask_b32_e64 v2, v2, v0, s[28:29]
	v_lshrrev_b32_e32 v24, 23, v57
	v_add3_u32 v36, v25, v2, v24
	v_add_u32_e32 v25, 6, v36
	v_and_b32_e32 v2, 0xfffff, v58
	v_add_u32_e32 v2, v2, v57
	v_cmp_ne_u32_e64 s[28:29], 0, v25
                                        ; implicit-def: $vgpr57_vgpr58
                                        ; implicit-def: $vgpr24
	s_and_saveexec_b64 s[40:41], s[28:29]
	s_xor_b64 s[40:41], exec, s[40:41]
; %bb.3612:                             ;   in Loop: Header=BB2_3430 Depth=3
	v_cmp_lt_u64_e64 s[28:29], s[88:89], v[2:3]
	v_add_u32_e32 v24, 7, v36
	v_cndmask_b32_e64 v24, v25, v24, s[28:29]
	v_cndmask_b32_e64 v25, 0, 1, s[28:29]
	v_lshrrev_b64 v[57:58], v25, v[2:3]
; %bb.3613:                             ;   in Loop: Header=BB2_3430 Depth=3
	s_andn2_saveexec_b64 s[28:29], s[40:41]
; %bb.3614:                             ;   in Loop: Header=BB2_3430 Depth=3
	v_mov_b32_e32 v58, v3
	v_bfe_u32 v24, v2, 23, 1
	v_mov_b32_e32 v57, v2
; %bb.3615:                             ;   in Loop: Header=BB2_3430 Depth=3
	s_or_b64 exec, exec, s[28:29]
	v_lshrrev_b64 v[36:37], 20, v[57:58]
	v_cmp_gt_i32_e64 s[28:29], 16, v24
	v_cndmask_b32_e64 v37, 0, v37, s[28:29]
	v_cndmask_b32_e64 v36, 7, v36, s[28:29]
	v_min_i32_e32 v2, 15, v24
	v_cmp_eq_u64_e64 s[40:41], 0, v[36:37]
	v_lshlrev_b32_e32 v2, 3, v2
	v_cmp_eq_u32_e64 s[28:29], 0, v24
	v_and_b32_e32 v2, 0xf8, v2
	v_and_or_b32 v2, v36, 7, v2
	s_and_b64 s[28:29], s[28:29], s[40:41]
	v_cndmask_b32_e64 v2, v2, 0, s[28:29]
	v_or_b32_e32 v41, v2, v16
.LBB2_3616:                             ;   in Loop: Header=BB2_3430 Depth=3
	s_or_b64 exec, exec, s[48:49]
                                        ; implicit-def: $vgpr16
.LBB2_3617:                             ;   in Loop: Header=BB2_3430 Depth=3
	s_andn2_saveexec_b64 s[28:29], s[38:39]
; %bb.3618:                             ;   in Loop: Header=BB2_3430 Depth=3
	v_or_b32_e32 v41, 0x7e, v16
; %bb.3619:                             ;   in Loop: Header=BB2_3430 Depth=3
	s_or_b64 exec, exec, s[28:29]
                                        ; implicit-def: $vgpr24
.LBB2_3620:                             ;   in Loop: Header=BB2_3430 Depth=3
	s_andn2_saveexec_b64 s[28:29], s[36:37]
; %bb.3621:                             ;   in Loop: Header=BB2_3430 Depth=3
	v_or_b32_sdwa v41, v24, s71 dst_sel:DWORD dst_unused:UNUSED_PAD src0_sel:BYTE_3 src1_sel:DWORD
; %bb.3622:                             ;   in Loop: Header=BB2_3430 Depth=3
	s_or_b64 exec, exec, s[28:29]
	v_cmp_lt_u64_e64 s[28:29], s[56:57], v[12:13]
	v_mov_b32_e32 v12, 0
	s_and_saveexec_b64 s[40:41], s[28:29]
	s_cbranch_execz .LBB2_3628
; %bb.3623:                             ;   in Loop: Header=BB2_3430 Depth=3
	v_lshrrev_b32_e32 v2, 24, v13
	v_cmp_ne_u32_e64 s[28:29], s70, v2
	v_bfrev_b32_e32 v12, 1
	s_and_saveexec_b64 s[36:37], s[28:29]
	s_cbranch_execz .LBB2_3627
; %bb.3624:                             ;   in Loop: Header=BB2_3430 Depth=3
	v_bfe_u32 v13, v13, 24, 7
	v_cmp_ne_u32_e64 s[28:29], s71, v13
	v_mov_b32_e32 v12, 0x7f800001
	s_and_saveexec_b64 s[38:39], s[28:29]
	s_cbranch_execz .LBB2_3626
; %bb.3625:                             ;   in Loop: Header=BB2_3430 Depth=3
	v_and_b32_e32 v16, 7, v2
	v_ffbh_u32_e32 v12, v16
	v_min_u32_e32 v25, 32, v12
	v_subrev_u32_e32 v12, 28, v25
	v_lshrrev_b32_e32 v24, 3, v13
	v_cmp_gt_u32_e64 s[28:29], 8, v13
	v_lshlrev_b64 v[12:13], v12, v[2:3]
	v_sub_u32_e32 v13, 29, v25
	v_and_b32_e32 v12, 7, v12
	v_cndmask_b32_e64 v13, v24, v13, s[28:29]
	v_cndmask_b32_e64 v12, v16, v12, s[28:29]
	v_lshlrev_b32_e32 v2, 24, v2
	v_lshlrev_b32_e32 v12, 20, v12
	v_and_b32_e32 v2, 0x80000000, v2
	v_lshl_add_u32 v13, v13, 23, v49
	v_or3_b32 v12, v2, v13, v12
.LBB2_3626:                             ;   in Loop: Header=BB2_3430 Depth=3
	s_or_b64 exec, exec, s[38:39]
.LBB2_3627:                             ;   in Loop: Header=BB2_3430 Depth=3
	s_or_b64 exec, exec, s[36:37]
.LBB2_3628:                             ;   in Loop: Header=BB2_3430 Depth=3
	s_or_b64 exec, exec, s[40:41]
	v_bfe_u32 v13, v9, 24, 3
	v_ffbh_u32_e32 v24, v13
	v_min_u32_e32 v37, 32, v24
	v_lshrrev_b32_e32 v2, 24, v9
	v_subrev_u32_e32 v24, 28, v37
	v_lshlrev_b64 v[24:25], v24, v[2:3]
	v_bfe_u32 v16, v9, 24, 7
	v_bfe_u32 v36, v2, 3, 4
	v_sub_u32_e32 v25, 29, v37
	v_and_b32_e32 v24, 7, v24
	v_cmp_gt_u32_e64 s[28:29], 8, v16
	v_cndmask_b32_e64 v25, v36, v25, s[28:29]
	v_cndmask_b32_e64 v13, v13, v24, s[28:29]
	v_lshlrev_b32_e32 v13, 20, v13
	v_and_b32_e32 v24, 0x80000000, v9
	v_lshl_add_u32 v25, v25, 23, v49
	v_or3_b32 v13, v24, v25, v13
	v_cmp_ne_u32_e64 s[28:29], s71, v16
	v_cndmask_b32_e64 v13, v5, v13, s[28:29]
	v_cmp_ne_u32_e64 s[28:29], s70, v2
	v_cndmask_b32_e64 v2, v35, v13, s[28:29]
	v_cmp_lt_u64_e64 s[28:29], s[56:57], v[8:9]
                                        ; implicit-def: $vgpr59
	v_cndmask_b32_e64 v2, 0, v2, s[28:29]
	v_mul_f32_e32 v8, v2, v12
	v_and_b32_e32 v2, 0x7f800000, v8
	v_cmp_ne_u64_e64 s[28:29], s[62:63], v[2:3]
	s_and_saveexec_b64 s[40:41], s[28:29]
	s_xor_b64 s[36:37], exec, s[40:41]
	s_cbranch_execz .LBB2_3642
; %bb.3629:                             ;   in Loop: Header=BB2_3430 Depth=3
	v_and_b32_e32 v2, 0x7fffffff, v8
	v_cmp_gt_u64_e64 s[28:29], s[72:73], v[2:3]
	v_and_b32_sdwa v16, v8, s70 dst_sel:DWORD dst_unused:UNUSED_PAD src0_sel:BYTE_3 src1_sel:DWORD
                                        ; implicit-def: $vgpr59
	s_and_saveexec_b64 s[40:41], s[28:29]
	s_xor_b64 s[38:39], exec, s[40:41]
	s_cbranch_execz .LBB2_3639
; %bb.3630:                             ;   in Loop: Header=BB2_3430 Depth=3
	v_mov_b32_e32 v59, 0
	v_cmp_ne_u32_e64 s[28:29], 0, v8
	s_and_saveexec_b64 s[48:49], s[28:29]
	s_cbranch_execz .LBB2_3638
; %bb.3631:                             ;   in Loop: Header=BB2_3430 Depth=3
	v_bfe_u32 v24, v8, 23, 8
	v_and_b32_e32 v2, 0x7fffff, v8
	v_cmp_gt_u32_e64 s[40:41], s80, v24
	v_sub_u32_e32 v8, 0x79, v24
	v_cmp_eq_u32_e64 s[28:29], 0, v24
	v_cndmask_b32_e64 v8, 0, v8, s[40:41]
	v_cndmask_b32_e64 v25, v8, v1, s[28:29]
	v_or_b32_e32 v9, 0x800000, v2
	v_add_u32_e32 v8, 20, v25
	v_cndmask_b32_e64 v2, v9, v2, s[28:29]
	v_lshlrev_b64 v[8:9], v8, -1
	v_add_u32_e32 v12, 19, v25
	v_lshlrev_b64 v[12:13], v12, 1
	v_bfi_b32 v9, v9, 0, 0
	v_bfi_b32 v8, v8, 0, v2
	v_cmp_eq_u64_e64 s[40:41], v[8:9], v[12:13]
	v_lshrrev_b64 v[8:9], v25, v[2:3]
	v_mov_b32_e32 v13, v9
	v_mov_b32_e32 v12, v8
	s_and_saveexec_b64 s[50:51], s[40:41]
; %bb.3632:                             ;   in Loop: Header=BB2_3430 Depth=3
	v_bfe_u32 v2, v8, 20, 1
	v_add_co_u32_e64 v2, s[40:41], v8, v2
	v_add_co_u32_e64 v12, s[40:41], -1, v2
; %bb.3633:                             ;   in Loop: Header=BB2_3430 Depth=3
	s_or_b64 exec, exec, s[50:51]
	v_add_u32_e32 v2, 0xffffff81, v24
	v_cndmask_b32_e64 v2, v2, v0, s[28:29]
	v_lshrrev_b32_e32 v9, 23, v8
	v_add3_u32 v24, v25, v2, v9
	v_add_u32_e32 v13, 6, v24
	v_and_b32_e32 v2, 0xfffff, v12
	v_add_u32_e32 v2, v2, v8
	v_cmp_ne_u32_e64 s[28:29], 0, v13
                                        ; implicit-def: $vgpr8_vgpr9
                                        ; implicit-def: $vgpr12
	s_and_saveexec_b64 s[40:41], s[28:29]
	s_xor_b64 s[40:41], exec, s[40:41]
; %bb.3634:                             ;   in Loop: Header=BB2_3430 Depth=3
	v_cmp_lt_u64_e64 s[28:29], s[88:89], v[2:3]
	v_add_u32_e32 v8, 7, v24
	v_cndmask_b32_e64 v12, v13, v8, s[28:29]
	v_cndmask_b32_e64 v8, 0, 1, s[28:29]
	v_lshrrev_b64 v[8:9], v8, v[2:3]
; %bb.3635:                             ;   in Loop: Header=BB2_3430 Depth=3
	s_andn2_saveexec_b64 s[28:29], s[40:41]
; %bb.3636:                             ;   in Loop: Header=BB2_3430 Depth=3
	v_mov_b32_e32 v9, v3
	v_bfe_u32 v12, v2, 23, 1
	v_mov_b32_e32 v8, v2
; %bb.3637:                             ;   in Loop: Header=BB2_3430 Depth=3
	s_or_b64 exec, exec, s[28:29]
	v_lshrrev_b64 v[8:9], 20, v[8:9]
	v_cmp_gt_i32_e64 s[28:29], 16, v12
	v_cndmask_b32_e64 v9, 0, v9, s[28:29]
	v_cndmask_b32_e64 v8, 7, v8, s[28:29]
	v_min_i32_e32 v2, 15, v12
	v_cmp_eq_u64_e64 s[40:41], 0, v[8:9]
	v_lshlrev_b32_e32 v2, 3, v2
	v_cmp_eq_u32_e64 s[28:29], 0, v12
	v_and_b32_e32 v2, 0xf8, v2
	v_and_or_b32 v2, v8, 7, v2
	s_and_b64 s[28:29], s[28:29], s[40:41]
	v_cndmask_b32_e64 v2, v2, 0, s[28:29]
	v_or_b32_e32 v59, v2, v16
.LBB2_3638:                             ;   in Loop: Header=BB2_3430 Depth=3
	s_or_b64 exec, exec, s[48:49]
                                        ; implicit-def: $vgpr16
.LBB2_3639:                             ;   in Loop: Header=BB2_3430 Depth=3
	s_andn2_saveexec_b64 s[28:29], s[38:39]
; %bb.3640:                             ;   in Loop: Header=BB2_3430 Depth=3
	v_or_b32_e32 v59, 0x7e, v16
; %bb.3641:                             ;   in Loop: Header=BB2_3430 Depth=3
	s_or_b64 exec, exec, s[28:29]
                                        ; implicit-def: $vgpr8
.LBB2_3642:                             ;   in Loop: Header=BB2_3430 Depth=3
	s_andn2_saveexec_b64 s[28:29], s[36:37]
; %bb.3643:                             ;   in Loop: Header=BB2_3430 Depth=3
	v_or_b32_sdwa v59, v8, s71 dst_sel:DWORD dst_unused:UNUSED_PAD src0_sel:BYTE_3 src1_sel:DWORD
; %bb.3644:                             ;   in Loop: Header=BB2_3430 Depth=3
	s_or_b64 exec, exec, s[28:29]
	v_cmp_ne_u16_sdwa s[28:29], v14, v3 src0_sel:BYTE_0 src1_sel:DWORD
	v_mov_b32_e32 v2, 0
	s_and_saveexec_b64 s[40:41], s[28:29]
	s_cbranch_execz .LBB2_3650
; %bb.3645:                             ;   in Loop: Header=BB2_3430 Depth=3
	v_cmp_ne_u16_sdwa s[28:29], v14, s70 src0_sel:BYTE_0 src1_sel:DWORD
	v_bfrev_b32_e32 v2, 1
	s_and_saveexec_b64 s[36:37], s[28:29]
	s_cbranch_execz .LBB2_3649
; %bb.3646:                             ;   in Loop: Header=BB2_3430 Depth=3
	v_and_b32_e32 v8, 0x7f, v14
	v_cmp_ne_u32_e64 s[28:29], s71, v8
	v_mov_b32_e32 v2, 0x7f800001
	s_and_saveexec_b64 s[38:39], s[28:29]
	s_cbranch_execz .LBB2_3648
; %bb.3647:                             ;   in Loop: Header=BB2_3430 Depth=3
	v_and_b32_e32 v2, 7, v14
	v_ffbh_u32_e32 v2, v2
	v_min_u32_e32 v2, 32, v2
	v_lshrrev_b32_e32 v9, 3, v8
	v_cmp_gt_u32_e64 s[28:29], 8, v8
	v_subrev_u32_e32 v8, 28, v2
	v_sub_u32_e32 v2, 29, v2
	v_cndmask_b32_e64 v8, 0, v8, s[28:29]
	v_cndmask_b32_e64 v2, v9, v2, s[28:29]
	v_lshlrev_b64 v[8:9], v8, v[14:15]
	v_lshlrev_b32_e32 v9, 24, v14
	v_lshlrev_b32_e32 v8, 20, v8
	v_and_b32_e32 v8, 0x700000, v8
	v_and_b32_e32 v9, 0x80000000, v9
	v_lshl_add_u32 v2, v2, 23, v49
	v_or3_b32 v2, v9, v2, v8
.LBB2_3648:                             ;   in Loop: Header=BB2_3430 Depth=3
	s_or_b64 exec, exec, s[38:39]
.LBB2_3649:                             ;   in Loop: Header=BB2_3430 Depth=3
	s_or_b64 exec, exec, s[36:37]
.LBB2_3650:                             ;   in Loop: Header=BB2_3430 Depth=3
	s_or_b64 exec, exec, s[40:41]
	v_cmp_gt_i16_sdwa s[40:41], v10, s71 src0_sel:BYTE_0 src1_sel:DWORD
	s_mov_b64 s[28:29], 0
	s_and_saveexec_b64 s[44:45], s[40:41]
	s_xor_b64 s[40:41], exec, s[44:45]
	s_cbranch_execz .LBB2_3868
; %bb.3651:                             ;   in Loop: Header=BB2_3430 Depth=3
	v_cmp_eq_u16_sdwa s[44:45], v10, s70 src0_sel:BYTE_0 src1_sel:DWORD
	s_mov_b64 s[28:29], -1
	s_and_saveexec_b64 s[36:37], s[44:45]
; %bb.3652:                             ;   in Loop: Header=BB2_3430 Depth=3
	s_xor_b64 s[28:29], exec, -1
; %bb.3653:                             ;   in Loop: Header=BB2_3430 Depth=3
	s_or_b64 exec, exec, s[36:37]
	s_and_b64 s[28:29], s[28:29], exec
	s_or_saveexec_b64 s[40:41], s[40:41]
	v_bfrev_b32_e32 v8, 1
	s_xor_b64 exec, exec, s[40:41]
	s_cbranch_execnz .LBB2_3869
.LBB2_3654:                             ;   in Loop: Header=BB2_3430 Depth=3
	s_or_b64 exec, exec, s[40:41]
	s_and_saveexec_b64 s[40:41], s[28:29]
	s_cbranch_execz .LBB2_3656
.LBB2_3655:                             ;   in Loop: Header=BB2_3430 Depth=3
	v_and_b32_e32 v8, 7, v10
	v_ffbh_u32_e32 v8, v8
	v_and_b32_e32 v12, 0x7f, v10
	v_min_u32_e32 v8, 32, v8
	v_bfe_u32 v9, v10, 3, 4
	v_subrev_u32_e32 v13, 28, v8
	v_sub_u32_e32 v8, 29, v8
	v_cmp_gt_u32_e64 s[28:29], 8, v12
	v_cndmask_b32_e64 v16, v9, v8, s[28:29]
	v_cndmask_b32_e64 v8, 0, v13, s[28:29]
	v_lshlrev_b64 v[8:9], v8, v[10:11]
	v_lshlrev_b32_e32 v9, 24, v10
	v_lshlrev_b32_e32 v8, 20, v8
	v_and_b32_e32 v8, 0x700000, v8
	v_and_b32_e32 v9, 0x80000000, v9
	v_lshl_add_u32 v13, v16, 23, v49
	v_or3_b32 v8, v9, v13, v8
	v_cmp_ne_u32_e64 s[28:29], s71, v12
	v_cndmask_b32_e64 v8, v5, v8, s[28:29]
.LBB2_3656:                             ;   in Loop: Header=BB2_3430 Depth=3
	s_or_b64 exec, exec, s[40:41]
	v_mul_f32_e32 v8, v2, v8
	v_and_b32_e32 v2, 0x7f800000, v8
	v_cmp_ne_u64_e64 s[28:29], s[62:63], v[2:3]
                                        ; implicit-def: $vgpr60
	s_and_saveexec_b64 s[40:41], s[28:29]
	s_xor_b64 s[36:37], exec, s[40:41]
	s_cbranch_execz .LBB2_3670
; %bb.3657:                             ;   in Loop: Header=BB2_3430 Depth=3
	v_and_b32_e32 v2, 0x7fffffff, v8
	v_cmp_gt_u64_e64 s[28:29], s[72:73], v[2:3]
	v_and_b32_sdwa v16, v8, s70 dst_sel:DWORD dst_unused:UNUSED_PAD src0_sel:BYTE_3 src1_sel:DWORD
                                        ; implicit-def: $vgpr60
	s_and_saveexec_b64 s[40:41], s[28:29]
	s_xor_b64 s[38:39], exec, s[40:41]
	s_cbranch_execz .LBB2_3667
; %bb.3658:                             ;   in Loop: Header=BB2_3430 Depth=3
	v_mov_b32_e32 v60, 0
	v_cmp_ne_u32_e64 s[28:29], 0, v8
	s_and_saveexec_b64 s[48:49], s[28:29]
	s_cbranch_execz .LBB2_3666
; %bb.3659:                             ;   in Loop: Header=BB2_3430 Depth=3
	v_bfe_u32 v24, v8, 23, 8
	v_and_b32_e32 v2, 0x7fffff, v8
	v_cmp_gt_u32_e64 s[40:41], s80, v24
	v_sub_u32_e32 v8, 0x79, v24
	v_cmp_eq_u32_e64 s[28:29], 0, v24
	v_cndmask_b32_e64 v8, 0, v8, s[40:41]
	v_cndmask_b32_e64 v25, v8, v1, s[28:29]
	v_or_b32_e32 v9, 0x800000, v2
	v_add_u32_e32 v8, 20, v25
	v_cndmask_b32_e64 v2, v9, v2, s[28:29]
	v_lshlrev_b64 v[8:9], v8, -1
	v_add_u32_e32 v12, 19, v25
	v_lshlrev_b64 v[12:13], v12, 1
	v_bfi_b32 v9, v9, 0, 0
	v_bfi_b32 v8, v8, 0, v2
	v_cmp_eq_u64_e64 s[40:41], v[8:9], v[12:13]
	v_lshrrev_b64 v[8:9], v25, v[2:3]
	v_mov_b32_e32 v13, v9
	v_mov_b32_e32 v12, v8
	s_and_saveexec_b64 s[50:51], s[40:41]
; %bb.3660:                             ;   in Loop: Header=BB2_3430 Depth=3
	v_bfe_u32 v2, v8, 20, 1
	v_add_co_u32_e64 v2, s[40:41], v8, v2
	v_add_co_u32_e64 v12, s[40:41], -1, v2
; %bb.3661:                             ;   in Loop: Header=BB2_3430 Depth=3
	s_or_b64 exec, exec, s[50:51]
	v_add_u32_e32 v2, 0xffffff81, v24
	v_cndmask_b32_e64 v2, v2, v0, s[28:29]
	v_lshrrev_b32_e32 v9, 23, v8
	v_add3_u32 v24, v25, v2, v9
	v_add_u32_e32 v13, 6, v24
	v_and_b32_e32 v2, 0xfffff, v12
	v_add_u32_e32 v2, v2, v8
	v_cmp_ne_u32_e64 s[28:29], 0, v13
                                        ; implicit-def: $vgpr8_vgpr9
                                        ; implicit-def: $vgpr12
	s_and_saveexec_b64 s[40:41], s[28:29]
	s_xor_b64 s[40:41], exec, s[40:41]
; %bb.3662:                             ;   in Loop: Header=BB2_3430 Depth=3
	v_cmp_lt_u64_e64 s[28:29], s[88:89], v[2:3]
	v_add_u32_e32 v8, 7, v24
	v_cndmask_b32_e64 v12, v13, v8, s[28:29]
	v_cndmask_b32_e64 v8, 0, 1, s[28:29]
	v_lshrrev_b64 v[8:9], v8, v[2:3]
; %bb.3663:                             ;   in Loop: Header=BB2_3430 Depth=3
	s_andn2_saveexec_b64 s[28:29], s[40:41]
; %bb.3664:                             ;   in Loop: Header=BB2_3430 Depth=3
	v_mov_b32_e32 v9, v3
	v_bfe_u32 v12, v2, 23, 1
	v_mov_b32_e32 v8, v2
; %bb.3665:                             ;   in Loop: Header=BB2_3430 Depth=3
	s_or_b64 exec, exec, s[28:29]
	v_lshrrev_b64 v[8:9], 20, v[8:9]
	v_cmp_gt_i32_e64 s[28:29], 16, v12
	v_cndmask_b32_e64 v9, 0, v9, s[28:29]
	v_cndmask_b32_e64 v8, 7, v8, s[28:29]
	v_min_i32_e32 v2, 15, v12
	v_cmp_eq_u64_e64 s[40:41], 0, v[8:9]
	v_lshlrev_b32_e32 v2, 3, v2
	v_cmp_eq_u32_e64 s[28:29], 0, v12
	v_and_b32_e32 v2, 0xf8, v2
	v_and_or_b32 v2, v8, 7, v2
	s_and_b64 s[28:29], s[28:29], s[40:41]
	v_cndmask_b32_e64 v2, v2, 0, s[28:29]
	v_or_b32_e32 v60, v2, v16
.LBB2_3666:                             ;   in Loop: Header=BB2_3430 Depth=3
	s_or_b64 exec, exec, s[48:49]
                                        ; implicit-def: $vgpr16
.LBB2_3667:                             ;   in Loop: Header=BB2_3430 Depth=3
	s_andn2_saveexec_b64 s[28:29], s[38:39]
; %bb.3668:                             ;   in Loop: Header=BB2_3430 Depth=3
	v_or_b32_e32 v60, 0x7e, v16
; %bb.3669:                             ;   in Loop: Header=BB2_3430 Depth=3
	s_or_b64 exec, exec, s[28:29]
                                        ; implicit-def: $vgpr8
.LBB2_3670:                             ;   in Loop: Header=BB2_3430 Depth=3
	s_andn2_saveexec_b64 s[28:29], s[36:37]
; %bb.3671:                             ;   in Loop: Header=BB2_3430 Depth=3
	v_or_b32_sdwa v60, v8, s71 dst_sel:DWORD dst_unused:UNUSED_PAD src0_sel:BYTE_3 src1_sel:DWORD
; %bb.3672:                             ;   in Loop: Header=BB2_3430 Depth=3
	s_or_b64 exec, exec, s[28:29]
	v_lshrrev_b16_e32 v2, 8, v14
	v_cmp_ne_u16_e64 s[28:29], 0, v2
	v_mov_b32_e32 v8, 0
	s_and_saveexec_b64 s[40:41], s[28:29]
	s_cbranch_execz .LBB2_3678
; %bb.3673:                             ;   in Loop: Header=BB2_3430 Depth=3
	v_cmp_ne_u16_e64 s[28:29], s70, v2
	v_bfrev_b32_e32 v8, 1
	s_and_saveexec_b64 s[36:37], s[28:29]
	s_cbranch_execz .LBB2_3677
; %bb.3674:                             ;   in Loop: Header=BB2_3430 Depth=3
	v_and_b32_e32 v9, 0x7f, v2
	v_cmp_ne_u32_e64 s[28:29], s71, v9
	v_mov_b32_e32 v8, 0x7f800001
	s_and_saveexec_b64 s[38:39], s[28:29]
	s_cbranch_execz .LBB2_3676
; %bb.3675:                             ;   in Loop: Header=BB2_3430 Depth=3
	v_and_b32_e32 v12, 7, v2
	v_ffbh_u32_e32 v8, v12
	v_min_u32_e32 v16, 32, v8
	v_subrev_u32_e32 v8, 28, v16
	v_lshrrev_b32_e32 v13, 3, v9
	v_cmp_gt_u32_e64 s[28:29], 8, v9
	v_lshlrev_b64 v[8:9], v8, v[2:3]
	v_sub_u32_e32 v2, 29, v16
	v_and_b32_e32 v8, 7, v8
	v_cndmask_b32_e64 v2, v13, v2, s[28:29]
	v_cndmask_b32_e64 v8, v12, v8, s[28:29]
	v_lshlrev_b32_e32 v9, 16, v14
	v_lshlrev_b32_e32 v8, 20, v8
	v_and_b32_e32 v9, 0x80000000, v9
	v_lshl_add_u32 v2, v2, 23, v49
	v_or3_b32 v8, v9, v2, v8
.LBB2_3676:                             ;   in Loop: Header=BB2_3430 Depth=3
	s_or_b64 exec, exec, s[38:39]
.LBB2_3677:                             ;   in Loop: Header=BB2_3430 Depth=3
	s_or_b64 exec, exec, s[36:37]
.LBB2_3678:                             ;   in Loop: Header=BB2_3430 Depth=3
	s_or_b64 exec, exec, s[40:41]
	v_lshrrev_b16_e32 v2, 8, v10
	v_cmp_lt_i16_e64 s[28:29], s71, v2
	s_mov_b64 s[40:41], 0
	s_and_saveexec_b64 s[44:45], s[28:29]
	s_xor_b64 s[36:37], exec, s[44:45]
	s_cbranch_execz .LBB2_3870
; %bb.3679:                             ;   in Loop: Header=BB2_3430 Depth=3
	v_cmp_eq_u16_e64 s[28:29], s70, v2
	s_mov_b64 s[40:41], -1
	s_and_saveexec_b64 s[38:39], s[28:29]
; %bb.3680:                             ;   in Loop: Header=BB2_3430 Depth=3
	s_xor_b64 s[40:41], exec, -1
; %bb.3681:                             ;   in Loop: Header=BB2_3430 Depth=3
	s_or_b64 exec, exec, s[38:39]
	s_and_b64 s[40:41], s[40:41], exec
	s_or_saveexec_b64 s[36:37], s[36:37]
	v_bfrev_b32_e32 v9, 1
	s_xor_b64 exec, exec, s[36:37]
	s_cbranch_execnz .LBB2_3871
.LBB2_3682:                             ;   in Loop: Header=BB2_3430 Depth=3
	s_or_b64 exec, exec, s[36:37]
	s_and_saveexec_b64 s[36:37], s[40:41]
	s_cbranch_execz .LBB2_3684
.LBB2_3683:                             ;   in Loop: Header=BB2_3430 Depth=3
	v_and_b32_e32 v9, 7, v2
	v_ffbh_u32_e32 v12, v9
	v_min_u32_e32 v25, 32, v12
	v_subrev_u32_e32 v12, 28, v25
	v_lshlrev_b64 v[12:13], v12, v[2:3]
	v_and_b32_e32 v16, 0x7f, v2
	v_bfe_u32 v24, v2, 3, 4
	v_sub_u32_e32 v13, 29, v25
	v_and_b32_e32 v12, 7, v12
	v_cmp_gt_u32_e64 s[28:29], 8, v16
	v_cndmask_b32_e64 v13, v24, v13, s[28:29]
	v_cndmask_b32_e64 v9, v9, v12, s[28:29]
	v_lshlrev_b32_e32 v2, 24, v2
	v_lshlrev_b32_e32 v9, 20, v9
	v_and_b32_e32 v2, 0x80000000, v2
	v_lshl_add_u32 v12, v13, 23, v49
	v_or3_b32 v2, v2, v12, v9
	v_cmp_ne_u32_e64 s[28:29], s71, v16
	v_cndmask_b32_e64 v9, v5, v2, s[28:29]
.LBB2_3684:                             ;   in Loop: Header=BB2_3430 Depth=3
	s_or_b64 exec, exec, s[36:37]
	v_mul_f32_e32 v8, v8, v9
	v_and_b32_e32 v2, 0x7f800000, v8
	v_cmp_ne_u64_e64 s[28:29], s[62:63], v[2:3]
                                        ; implicit-def: $vgpr16
	s_and_saveexec_b64 s[40:41], s[28:29]
	s_xor_b64 s[36:37], exec, s[40:41]
	s_cbranch_execz .LBB2_3698
; %bb.3685:                             ;   in Loop: Header=BB2_3430 Depth=3
	v_and_b32_e32 v2, 0x7fffffff, v8
	v_cmp_gt_u64_e64 s[28:29], s[72:73], v[2:3]
	v_and_b32_sdwa v24, v8, s70 dst_sel:DWORD dst_unused:UNUSED_PAD src0_sel:BYTE_3 src1_sel:DWORD
                                        ; implicit-def: $vgpr16
	s_and_saveexec_b64 s[40:41], s[28:29]
	s_xor_b64 s[38:39], exec, s[40:41]
	s_cbranch_execz .LBB2_3695
; %bb.3686:                             ;   in Loop: Header=BB2_3430 Depth=3
	v_mov_b32_e32 v16, 0
	v_cmp_ne_u32_e64 s[28:29], 0, v8
	s_and_saveexec_b64 s[48:49], s[28:29]
	s_cbranch_execz .LBB2_3694
; %bb.3687:                             ;   in Loop: Header=BB2_3430 Depth=3
	v_bfe_u32 v16, v8, 23, 8
	v_and_b32_e32 v2, 0x7fffff, v8
	v_cmp_gt_u32_e64 s[40:41], s80, v16
	v_sub_u32_e32 v8, 0x79, v16
	v_cmp_eq_u32_e64 s[28:29], 0, v16
	v_cndmask_b32_e64 v8, 0, v8, s[40:41]
	v_cndmask_b32_e64 v25, v8, v1, s[28:29]
	v_or_b32_e32 v9, 0x800000, v2
	v_add_u32_e32 v8, 20, v25
	v_cndmask_b32_e64 v2, v9, v2, s[28:29]
	v_lshlrev_b64 v[8:9], v8, -1
	v_add_u32_e32 v12, 19, v25
	v_lshlrev_b64 v[12:13], v12, 1
	v_bfi_b32 v9, v9, 0, 0
	v_bfi_b32 v8, v8, 0, v2
	v_cmp_eq_u64_e64 s[40:41], v[8:9], v[12:13]
	v_lshrrev_b64 v[8:9], v25, v[2:3]
	v_mov_b32_e32 v13, v9
	v_mov_b32_e32 v12, v8
	s_and_saveexec_b64 s[50:51], s[40:41]
; %bb.3688:                             ;   in Loop: Header=BB2_3430 Depth=3
	v_bfe_u32 v2, v8, 20, 1
	v_add_co_u32_e64 v2, s[40:41], v8, v2
	v_add_co_u32_e64 v12, s[40:41], -1, v2
; %bb.3689:                             ;   in Loop: Header=BB2_3430 Depth=3
	s_or_b64 exec, exec, s[50:51]
	v_add_u32_e32 v2, 0xffffff81, v16
	v_cndmask_b32_e64 v2, v2, v0, s[28:29]
	v_lshrrev_b32_e32 v9, 23, v8
	v_add3_u32 v16, v25, v2, v9
	v_add_u32_e32 v13, 6, v16
	v_and_b32_e32 v2, 0xfffff, v12
	v_add_u32_e32 v2, v2, v8
	v_cmp_ne_u32_e64 s[28:29], 0, v13
                                        ; implicit-def: $vgpr8_vgpr9
                                        ; implicit-def: $vgpr12
	s_and_saveexec_b64 s[40:41], s[28:29]
	s_xor_b64 s[40:41], exec, s[40:41]
; %bb.3690:                             ;   in Loop: Header=BB2_3430 Depth=3
	v_cmp_lt_u64_e64 s[28:29], s[88:89], v[2:3]
	v_add_u32_e32 v8, 7, v16
	v_cndmask_b32_e64 v12, v13, v8, s[28:29]
	v_cndmask_b32_e64 v8, 0, 1, s[28:29]
	v_lshrrev_b64 v[8:9], v8, v[2:3]
; %bb.3691:                             ;   in Loop: Header=BB2_3430 Depth=3
	s_andn2_saveexec_b64 s[28:29], s[40:41]
; %bb.3692:                             ;   in Loop: Header=BB2_3430 Depth=3
	v_mov_b32_e32 v9, v3
	v_bfe_u32 v12, v2, 23, 1
	v_mov_b32_e32 v8, v2
; %bb.3693:                             ;   in Loop: Header=BB2_3430 Depth=3
	s_or_b64 exec, exec, s[28:29]
	v_lshrrev_b64 v[8:9], 20, v[8:9]
	v_cmp_gt_i32_e64 s[28:29], 16, v12
	v_cndmask_b32_e64 v9, 0, v9, s[28:29]
	v_cndmask_b32_e64 v8, 7, v8, s[28:29]
	v_min_i32_e32 v2, 15, v12
	v_cmp_eq_u64_e64 s[40:41], 0, v[8:9]
	v_lshlrev_b32_e32 v2, 3, v2
	v_cmp_eq_u32_e64 s[28:29], 0, v12
	v_and_b32_e32 v2, 0xf8, v2
	v_and_or_b32 v2, v8, 7, v2
	s_and_b64 s[28:29], s[28:29], s[40:41]
	v_cndmask_b32_e64 v2, v2, 0, s[28:29]
	v_or_b32_e32 v16, v2, v24
.LBB2_3694:                             ;   in Loop: Header=BB2_3430 Depth=3
	s_or_b64 exec, exec, s[48:49]
                                        ; implicit-def: $vgpr24
.LBB2_3695:                             ;   in Loop: Header=BB2_3430 Depth=3
	s_andn2_saveexec_b64 s[28:29], s[38:39]
; %bb.3696:                             ;   in Loop: Header=BB2_3430 Depth=3
	v_or_b32_e32 v16, 0x7e, v24
; %bb.3697:                             ;   in Loop: Header=BB2_3430 Depth=3
	s_or_b64 exec, exec, s[28:29]
                                        ; implicit-def: $vgpr8
.LBB2_3698:                             ;   in Loop: Header=BB2_3430 Depth=3
	s_andn2_saveexec_b64 s[28:29], s[36:37]
; %bb.3699:                             ;   in Loop: Header=BB2_3430 Depth=3
	v_or_b32_sdwa v16, v8, s71 dst_sel:DWORD dst_unused:UNUSED_PAD src0_sel:BYTE_3 src1_sel:DWORD
; %bb.3700:                             ;   in Loop: Header=BB2_3430 Depth=3
	s_or_b64 exec, exec, s[28:29]
	v_lshrrev_b32_e32 v2, 16, v14
	v_cmp_ne_u16_sdwa s[28:29], v2, v3 src0_sel:BYTE_0 src1_sel:DWORD
	v_mov_b32_e32 v8, 0
	s_and_saveexec_b64 s[40:41], s[28:29]
	s_cbranch_execz .LBB2_3706
; %bb.3701:                             ;   in Loop: Header=BB2_3430 Depth=3
	v_cmp_ne_u16_sdwa s[28:29], v2, s70 src0_sel:BYTE_0 src1_sel:DWORD
	v_bfrev_b32_e32 v8, 1
	s_and_saveexec_b64 s[36:37], s[28:29]
	s_cbranch_execz .LBB2_3705
; %bb.3702:                             ;   in Loop: Header=BB2_3430 Depth=3
	v_bfe_u32 v9, v14, 16, 7
	v_cmp_ne_u32_e64 s[28:29], s71, v9
	v_mov_b32_e32 v8, 0x7f800001
	s_and_saveexec_b64 s[38:39], s[28:29]
	s_cbranch_execz .LBB2_3704
; %bb.3703:                             ;   in Loop: Header=BB2_3430 Depth=3
	v_and_b32_e32 v12, 7, v2
	v_ffbh_u32_e32 v8, v12
	v_min_u32_e32 v24, 32, v8
	v_subrev_u32_e32 v8, 28, v24
	v_lshrrev_b32_e32 v13, 3, v9
	v_cmp_gt_u32_e64 s[28:29], 8, v9
	v_lshlrev_b64 v[8:9], v8, v[2:3]
	v_sub_u32_e32 v9, 29, v24
	v_and_b32_e32 v8, 7, v8
	v_cndmask_b32_e64 v9, v13, v9, s[28:29]
	v_cndmask_b32_e64 v8, v12, v8, s[28:29]
	v_lshlrev_b32_e32 v2, 24, v2
	v_lshlrev_b32_e32 v8, 20, v8
	v_and_b32_e32 v2, 0x80000000, v2
	v_lshl_add_u32 v9, v9, 23, v49
	v_or3_b32 v8, v2, v9, v8
.LBB2_3704:                             ;   in Loop: Header=BB2_3430 Depth=3
	s_or_b64 exec, exec, s[38:39]
.LBB2_3705:                             ;   in Loop: Header=BB2_3430 Depth=3
	s_or_b64 exec, exec, s[36:37]
.LBB2_3706:                             ;   in Loop: Header=BB2_3430 Depth=3
	s_or_b64 exec, exec, s[40:41]
	v_lshrrev_b32_e32 v2, 16, v10
	v_cmp_gt_i16_sdwa s[40:41], v2, s71 src0_sel:BYTE_0 src1_sel:DWORD
	s_mov_b64 s[28:29], 0
	s_and_saveexec_b64 s[44:45], s[40:41]
	s_xor_b64 s[40:41], exec, s[44:45]
	s_cbranch_execz .LBB2_3872
; %bb.3707:                             ;   in Loop: Header=BB2_3430 Depth=3
	v_cmp_eq_u16_sdwa s[44:45], v2, s70 src0_sel:BYTE_0 src1_sel:DWORD
	s_mov_b64 s[28:29], -1
	s_and_saveexec_b64 s[36:37], s[44:45]
; %bb.3708:                             ;   in Loop: Header=BB2_3430 Depth=3
	s_xor_b64 s[28:29], exec, -1
; %bb.3709:                             ;   in Loop: Header=BB2_3430 Depth=3
	s_or_b64 exec, exec, s[36:37]
	s_and_b64 s[28:29], s[28:29], exec
	s_or_saveexec_b64 s[40:41], s[40:41]
	v_bfrev_b32_e32 v9, 1
	s_xor_b64 exec, exec, s[40:41]
	s_cbranch_execnz .LBB2_3873
.LBB2_3710:                             ;   in Loop: Header=BB2_3430 Depth=3
	s_or_b64 exec, exec, s[40:41]
	s_and_saveexec_b64 s[40:41], s[28:29]
	s_cbranch_execz .LBB2_3712
.LBB2_3711:                             ;   in Loop: Header=BB2_3430 Depth=3
	v_and_b32_e32 v9, 7, v2
	v_ffbh_u32_e32 v12, v9
	v_min_u32_e32 v36, 32, v12
	v_subrev_u32_e32 v12, 28, v36
	v_lshlrev_b64 v[12:13], v12, v[2:3]
	v_and_b32_e32 v24, 0x7f, v2
	v_bfe_u32 v25, v2, 3, 4
	v_sub_u32_e32 v13, 29, v36
	v_and_b32_e32 v12, 7, v12
	v_cmp_gt_u32_e64 s[28:29], 8, v24
	v_cndmask_b32_e64 v13, v25, v13, s[28:29]
	v_cndmask_b32_e64 v9, v9, v12, s[28:29]
	v_lshlrev_b32_e32 v2, 24, v2
	v_lshlrev_b32_e32 v9, 20, v9
	v_and_b32_e32 v2, 0x80000000, v2
	v_lshl_add_u32 v12, v13, 23, v49
	v_or3_b32 v2, v2, v12, v9
	v_cmp_ne_u32_e64 s[28:29], s71, v24
	v_cndmask_b32_e64 v9, v5, v2, s[28:29]
.LBB2_3712:                             ;   in Loop: Header=BB2_3430 Depth=3
	s_or_b64 exec, exec, s[40:41]
	v_mul_f32_e32 v8, v8, v9
	v_and_b32_e32 v2, 0x7f800000, v8
	v_cmp_ne_u64_e64 s[28:29], s[62:63], v[2:3]
                                        ; implicit-def: $vgpr48
	s_and_saveexec_b64 s[40:41], s[28:29]
	s_xor_b64 s[36:37], exec, s[40:41]
	s_cbranch_execz .LBB2_3726
; %bb.3713:                             ;   in Loop: Header=BB2_3430 Depth=3
	v_and_b32_e32 v2, 0x7fffffff, v8
	v_cmp_gt_u64_e64 s[28:29], s[72:73], v[2:3]
	v_and_b32_sdwa v24, v8, s70 dst_sel:DWORD dst_unused:UNUSED_PAD src0_sel:BYTE_3 src1_sel:DWORD
                                        ; implicit-def: $vgpr48
	s_and_saveexec_b64 s[40:41], s[28:29]
	s_xor_b64 s[38:39], exec, s[40:41]
	s_cbranch_execz .LBB2_3723
; %bb.3714:                             ;   in Loop: Header=BB2_3430 Depth=3
	v_mov_b32_e32 v48, 0
	v_cmp_ne_u32_e64 s[28:29], 0, v8
	s_and_saveexec_b64 s[48:49], s[28:29]
	s_cbranch_execz .LBB2_3722
; %bb.3715:                             ;   in Loop: Header=BB2_3430 Depth=3
	v_bfe_u32 v25, v8, 23, 8
	v_and_b32_e32 v2, 0x7fffff, v8
	v_cmp_gt_u32_e64 s[40:41], s80, v25
	v_sub_u32_e32 v8, 0x79, v25
	v_cmp_eq_u32_e64 s[28:29], 0, v25
	v_cndmask_b32_e64 v8, 0, v8, s[40:41]
	v_cndmask_b32_e64 v36, v8, v1, s[28:29]
	v_or_b32_e32 v9, 0x800000, v2
	v_add_u32_e32 v8, 20, v36
	v_cndmask_b32_e64 v2, v9, v2, s[28:29]
	v_lshlrev_b64 v[8:9], v8, -1
	v_add_u32_e32 v12, 19, v36
	v_lshlrev_b64 v[12:13], v12, 1
	v_bfi_b32 v9, v9, 0, 0
	v_bfi_b32 v8, v8, 0, v2
	v_cmp_eq_u64_e64 s[40:41], v[8:9], v[12:13]
	v_lshrrev_b64 v[8:9], v36, v[2:3]
	v_mov_b32_e32 v13, v9
	v_mov_b32_e32 v12, v8
	s_and_saveexec_b64 s[50:51], s[40:41]
; %bb.3716:                             ;   in Loop: Header=BB2_3430 Depth=3
	v_bfe_u32 v2, v8, 20, 1
	v_add_co_u32_e64 v2, s[40:41], v8, v2
	v_add_co_u32_e64 v12, s[40:41], -1, v2
; %bb.3717:                             ;   in Loop: Header=BB2_3430 Depth=3
	s_or_b64 exec, exec, s[50:51]
	v_add_u32_e32 v2, 0xffffff81, v25
	v_cndmask_b32_e64 v2, v2, v0, s[28:29]
	v_lshrrev_b32_e32 v9, 23, v8
	v_add3_u32 v25, v36, v2, v9
	v_add_u32_e32 v13, 6, v25
	v_and_b32_e32 v2, 0xfffff, v12
	v_add_u32_e32 v2, v2, v8
	v_cmp_ne_u32_e64 s[28:29], 0, v13
                                        ; implicit-def: $vgpr8_vgpr9
                                        ; implicit-def: $vgpr12
	s_and_saveexec_b64 s[40:41], s[28:29]
	s_xor_b64 s[40:41], exec, s[40:41]
; %bb.3718:                             ;   in Loop: Header=BB2_3430 Depth=3
	v_cmp_lt_u64_e64 s[28:29], s[88:89], v[2:3]
	v_add_u32_e32 v8, 7, v25
	v_cndmask_b32_e64 v12, v13, v8, s[28:29]
	v_cndmask_b32_e64 v8, 0, 1, s[28:29]
	v_lshrrev_b64 v[8:9], v8, v[2:3]
; %bb.3719:                             ;   in Loop: Header=BB2_3430 Depth=3
	s_andn2_saveexec_b64 s[28:29], s[40:41]
; %bb.3720:                             ;   in Loop: Header=BB2_3430 Depth=3
	v_mov_b32_e32 v9, v3
	v_bfe_u32 v12, v2, 23, 1
	v_mov_b32_e32 v8, v2
; %bb.3721:                             ;   in Loop: Header=BB2_3430 Depth=3
	s_or_b64 exec, exec, s[28:29]
	v_lshrrev_b64 v[8:9], 20, v[8:9]
	v_cmp_gt_i32_e64 s[28:29], 16, v12
	v_cndmask_b32_e64 v9, 0, v9, s[28:29]
	v_cndmask_b32_e64 v8, 7, v8, s[28:29]
	v_min_i32_e32 v2, 15, v12
	v_cmp_eq_u64_e64 s[40:41], 0, v[8:9]
	v_lshlrev_b32_e32 v2, 3, v2
	v_cmp_eq_u32_e64 s[28:29], 0, v12
	v_and_b32_e32 v2, 0xf8, v2
	v_and_or_b32 v2, v8, 7, v2
	s_and_b64 s[28:29], s[28:29], s[40:41]
	v_cndmask_b32_e64 v2, v2, 0, s[28:29]
	v_or_b32_e32 v48, v2, v24
.LBB2_3722:                             ;   in Loop: Header=BB2_3430 Depth=3
	s_or_b64 exec, exec, s[48:49]
                                        ; implicit-def: $vgpr24
.LBB2_3723:                             ;   in Loop: Header=BB2_3430 Depth=3
	s_andn2_saveexec_b64 s[28:29], s[38:39]
; %bb.3724:                             ;   in Loop: Header=BB2_3430 Depth=3
	v_or_b32_e32 v48, 0x7e, v24
; %bb.3725:                             ;   in Loop: Header=BB2_3430 Depth=3
	s_or_b64 exec, exec, s[28:29]
                                        ; implicit-def: $vgpr8
.LBB2_3726:                             ;   in Loop: Header=BB2_3430 Depth=3
	s_andn2_saveexec_b64 s[28:29], s[36:37]
; %bb.3727:                             ;   in Loop: Header=BB2_3430 Depth=3
	v_or_b32_sdwa v48, v8, s71 dst_sel:DWORD dst_unused:UNUSED_PAD src0_sel:BYTE_3 src1_sel:DWORD
; %bb.3728:                             ;   in Loop: Header=BB2_3430 Depth=3
	s_or_b64 exec, exec, s[28:29]
	v_cmp_lt_u32_e64 s[28:29], s57, v14
	v_mov_b32_e32 v8, 0
	s_and_saveexec_b64 s[40:41], s[28:29]
	s_cbranch_execz .LBB2_3734
; %bb.3729:                             ;   in Loop: Header=BB2_3430 Depth=3
	v_lshrrev_b32_e32 v2, 24, v14
	v_cmp_ne_u32_e64 s[28:29], s70, v2
	v_bfrev_b32_e32 v8, 1
	s_and_saveexec_b64 s[36:37], s[28:29]
	s_cbranch_execz .LBB2_3733
; %bb.3730:                             ;   in Loop: Header=BB2_3430 Depth=3
	v_bfe_u32 v9, v14, 24, 7
	v_cmp_ne_u32_e64 s[28:29], s71, v9
	v_mov_b32_e32 v8, 0x7f800001
	s_and_saveexec_b64 s[38:39], s[28:29]
	s_cbranch_execz .LBB2_3732
; %bb.3731:                             ;   in Loop: Header=BB2_3430 Depth=3
	v_and_b32_e32 v12, 7, v2
	v_ffbh_u32_e32 v8, v12
	v_min_u32_e32 v24, 32, v8
	v_subrev_u32_e32 v8, 28, v24
	v_lshrrev_b32_e32 v13, 3, v9
	v_cmp_gt_u32_e64 s[28:29], 8, v9
	v_lshlrev_b64 v[8:9], v8, v[2:3]
	v_sub_u32_e32 v9, 29, v24
	v_and_b32_e32 v8, 7, v8
	v_cndmask_b32_e64 v9, v13, v9, s[28:29]
	v_cndmask_b32_e64 v8, v12, v8, s[28:29]
	v_lshlrev_b32_e32 v2, 24, v2
	v_lshlrev_b32_e32 v8, 20, v8
	v_and_b32_e32 v2, 0x80000000, v2
	v_lshl_add_u32 v9, v9, 23, v49
	v_or3_b32 v8, v2, v9, v8
.LBB2_3732:                             ;   in Loop: Header=BB2_3430 Depth=3
	s_or_b64 exec, exec, s[38:39]
.LBB2_3733:                             ;   in Loop: Header=BB2_3430 Depth=3
	s_or_b64 exec, exec, s[36:37]
.LBB2_3734:                             ;   in Loop: Header=BB2_3430 Depth=3
	s_or_b64 exec, exec, s[40:41]
	v_bfe_u32 v9, v10, 24, 3
	v_ffbh_u32_e32 v12, v9
	v_min_u32_e32 v36, 32, v12
	v_lshrrev_b32_e32 v2, 24, v10
	v_subrev_u32_e32 v12, 28, v36
	v_lshlrev_b64 v[12:13], v12, v[2:3]
	v_bfe_u32 v24, v10, 24, 7
	v_bfe_u32 v25, v2, 3, 4
	v_sub_u32_e32 v13, 29, v36
	v_and_b32_e32 v12, 7, v12
	v_cmp_gt_u32_e64 s[28:29], 8, v24
	v_cndmask_b32_e64 v13, v25, v13, s[28:29]
	v_cndmask_b32_e64 v9, v9, v12, s[28:29]
	v_lshlrev_b32_e32 v9, 20, v9
	v_and_b32_e32 v12, 0x80000000, v10
	v_lshl_add_u32 v13, v13, 23, v49
	v_or3_b32 v9, v12, v13, v9
	v_cmp_ne_u32_e64 s[28:29], s71, v24
	v_cndmask_b32_e64 v9, v5, v9, s[28:29]
	v_cmp_ne_u32_e64 s[28:29], s70, v2
	v_cndmask_b32_e64 v2, v35, v9, s[28:29]
	v_cmp_lt_u32_e64 s[28:29], s57, v10
	v_cndmask_b32_e64 v2, 0, v2, s[28:29]
	v_mul_f32_e32 v8, v2, v8
	v_and_b32_e32 v2, 0x7f800000, v8
	v_cmp_ne_u64_e64 s[28:29], s[62:63], v[2:3]
                                        ; implicit-def: $vgpr61
	s_and_saveexec_b64 s[40:41], s[28:29]
	s_xor_b64 s[36:37], exec, s[40:41]
	s_cbranch_execz .LBB2_3748
; %bb.3735:                             ;   in Loop: Header=BB2_3430 Depth=3
	v_and_b32_e32 v2, 0x7fffffff, v8
	v_cmp_gt_u64_e64 s[28:29], s[72:73], v[2:3]
	v_and_b32_sdwa v24, v8, s70 dst_sel:DWORD dst_unused:UNUSED_PAD src0_sel:BYTE_3 src1_sel:DWORD
                                        ; implicit-def: $vgpr61
	s_and_saveexec_b64 s[40:41], s[28:29]
	s_xor_b64 s[38:39], exec, s[40:41]
	s_cbranch_execz .LBB2_3745
; %bb.3736:                             ;   in Loop: Header=BB2_3430 Depth=3
	v_mov_b32_e32 v61, 0
	v_cmp_ne_u32_e64 s[28:29], 0, v8
	s_and_saveexec_b64 s[48:49], s[28:29]
	s_cbranch_execz .LBB2_3744
; %bb.3737:                             ;   in Loop: Header=BB2_3430 Depth=3
	v_bfe_u32 v25, v8, 23, 8
	v_and_b32_e32 v2, 0x7fffff, v8
	v_cmp_gt_u32_e64 s[40:41], s80, v25
	v_sub_u32_e32 v8, 0x79, v25
	v_cmp_eq_u32_e64 s[28:29], 0, v25
	v_cndmask_b32_e64 v8, 0, v8, s[40:41]
	v_cndmask_b32_e64 v36, v8, v1, s[28:29]
	v_or_b32_e32 v9, 0x800000, v2
	v_add_u32_e32 v8, 20, v36
	v_cndmask_b32_e64 v2, v9, v2, s[28:29]
	v_lshlrev_b64 v[8:9], v8, -1
	v_add_u32_e32 v12, 19, v36
	v_lshlrev_b64 v[12:13], v12, 1
	v_bfi_b32 v9, v9, 0, 0
	v_bfi_b32 v8, v8, 0, v2
	v_cmp_eq_u64_e64 s[40:41], v[8:9], v[12:13]
	v_lshrrev_b64 v[8:9], v36, v[2:3]
	v_mov_b32_e32 v13, v9
	v_mov_b32_e32 v12, v8
	s_and_saveexec_b64 s[50:51], s[40:41]
; %bb.3738:                             ;   in Loop: Header=BB2_3430 Depth=3
	v_bfe_u32 v2, v8, 20, 1
	v_add_co_u32_e64 v2, s[40:41], v8, v2
	v_add_co_u32_e64 v12, s[40:41], -1, v2
; %bb.3739:                             ;   in Loop: Header=BB2_3430 Depth=3
	s_or_b64 exec, exec, s[50:51]
	v_add_u32_e32 v2, 0xffffff81, v25
	v_cndmask_b32_e64 v2, v2, v0, s[28:29]
	v_lshrrev_b32_e32 v9, 23, v8
	v_add3_u32 v25, v36, v2, v9
	v_add_u32_e32 v13, 6, v25
	v_and_b32_e32 v2, 0xfffff, v12
	v_add_u32_e32 v2, v2, v8
	v_cmp_ne_u32_e64 s[28:29], 0, v13
                                        ; implicit-def: $vgpr8_vgpr9
                                        ; implicit-def: $vgpr12
	s_and_saveexec_b64 s[40:41], s[28:29]
	s_xor_b64 s[40:41], exec, s[40:41]
; %bb.3740:                             ;   in Loop: Header=BB2_3430 Depth=3
	v_cmp_lt_u64_e64 s[28:29], s[88:89], v[2:3]
	v_add_u32_e32 v8, 7, v25
	v_cndmask_b32_e64 v12, v13, v8, s[28:29]
	v_cndmask_b32_e64 v8, 0, 1, s[28:29]
	v_lshrrev_b64 v[8:9], v8, v[2:3]
; %bb.3741:                             ;   in Loop: Header=BB2_3430 Depth=3
	s_andn2_saveexec_b64 s[28:29], s[40:41]
; %bb.3742:                             ;   in Loop: Header=BB2_3430 Depth=3
	v_mov_b32_e32 v9, v3
	v_bfe_u32 v12, v2, 23, 1
	v_mov_b32_e32 v8, v2
; %bb.3743:                             ;   in Loop: Header=BB2_3430 Depth=3
	s_or_b64 exec, exec, s[28:29]
	v_lshrrev_b64 v[8:9], 20, v[8:9]
	v_cmp_gt_i32_e64 s[28:29], 16, v12
	v_cndmask_b32_e64 v9, 0, v9, s[28:29]
	v_cndmask_b32_e64 v8, 7, v8, s[28:29]
	v_min_i32_e32 v2, 15, v12
	v_cmp_eq_u64_e64 s[40:41], 0, v[8:9]
	v_lshlrev_b32_e32 v2, 3, v2
	v_cmp_eq_u32_e64 s[28:29], 0, v12
	v_and_b32_e32 v2, 0xf8, v2
	v_and_or_b32 v2, v8, 7, v2
	s_and_b64 s[28:29], s[28:29], s[40:41]
	v_cndmask_b32_e64 v2, v2, 0, s[28:29]
	v_or_b32_e32 v61, v2, v24
.LBB2_3744:                             ;   in Loop: Header=BB2_3430 Depth=3
	s_or_b64 exec, exec, s[48:49]
                                        ; implicit-def: $vgpr24
.LBB2_3745:                             ;   in Loop: Header=BB2_3430 Depth=3
	s_andn2_saveexec_b64 s[28:29], s[38:39]
; %bb.3746:                             ;   in Loop: Header=BB2_3430 Depth=3
	v_or_b32_e32 v61, 0x7e, v24
; %bb.3747:                             ;   in Loop: Header=BB2_3430 Depth=3
	s_or_b64 exec, exec, s[28:29]
                                        ; implicit-def: $vgpr8
.LBB2_3748:                             ;   in Loop: Header=BB2_3430 Depth=3
	s_andn2_saveexec_b64 s[28:29], s[36:37]
; %bb.3749:                             ;   in Loop: Header=BB2_3430 Depth=3
	v_or_b32_sdwa v61, v8, s71 dst_sel:DWORD dst_unused:UNUSED_PAD src0_sel:BYTE_3 src1_sel:DWORD
; %bb.3750:                             ;   in Loop: Header=BB2_3430 Depth=3
	s_or_b64 exec, exec, s[28:29]
	v_mov_b32_e32 v2, v15
	v_cmp_ne_u16_sdwa s[28:29], v15, v3 src0_sel:BYTE_0 src1_sel:DWORD
	v_mov_b32_e32 v12, 0
	s_and_saveexec_b64 s[40:41], s[28:29]
	s_cbranch_execz .LBB2_3756
; %bb.3751:                             ;   in Loop: Header=BB2_3430 Depth=3
	v_cmp_ne_u16_sdwa s[28:29], v15, s70 src0_sel:BYTE_0 src1_sel:DWORD
	v_bfrev_b32_e32 v12, 1
	s_and_saveexec_b64 s[36:37], s[28:29]
	s_cbranch_execz .LBB2_3755
; %bb.3752:                             ;   in Loop: Header=BB2_3430 Depth=3
	v_and_b32_e32 v8, 0x7f, v15
	v_cmp_ne_u32_e64 s[28:29], s71, v8
	v_mov_b32_e32 v12, 0x7f800001
	s_and_saveexec_b64 s[38:39], s[28:29]
	s_cbranch_execz .LBB2_3754
; %bb.3753:                             ;   in Loop: Header=BB2_3430 Depth=3
	v_and_b32_e32 v9, 7, v15
	v_lshrrev_b32_e32 v12, 3, v8
	v_cmp_gt_u32_e64 s[28:29], 8, v8
	v_ffbh_u32_e32 v8, v9
	v_min_u32_e32 v8, 32, v8
	v_subrev_u32_e32 v9, 28, v8
	v_sub_u32_e32 v8, 29, v8
	v_cndmask_b32_e64 v12, v12, v8, s[28:29]
	v_cndmask_b32_e64 v8, 0, v9, s[28:29]
	v_lshlrev_b64 v[8:9], v8, v[2:3]
	v_lshlrev_b32_e32 v9, 24, v2
	v_lshlrev_b32_e32 v8, 20, v8
	v_and_b32_e32 v8, 0x700000, v8
	v_and_b32_e32 v9, 0x80000000, v9
	v_lshl_add_u32 v12, v12, 23, v49
	v_or3_b32 v12, v9, v12, v8
.LBB2_3754:                             ;   in Loop: Header=BB2_3430 Depth=3
	s_or_b64 exec, exec, s[38:39]
.LBB2_3755:                             ;   in Loop: Header=BB2_3430 Depth=3
	s_or_b64 exec, exec, s[36:37]
.LBB2_3756:                             ;   in Loop: Header=BB2_3430 Depth=3
	s_or_b64 exec, exec, s[40:41]
	v_cmp_gt_i16_sdwa s[40:41], v11, s71 src0_sel:BYTE_0 src1_sel:DWORD
	s_mov_b64 s[28:29], 0
	s_and_saveexec_b64 s[44:45], s[40:41]
	s_xor_b64 s[40:41], exec, s[44:45]
	s_cbranch_execz .LBB2_3760
; %bb.3757:                             ;   in Loop: Header=BB2_3430 Depth=3
	v_cmp_eq_u16_sdwa s[44:45], v11, s70 src0_sel:BYTE_0 src1_sel:DWORD
	s_mov_b64 s[28:29], -1
	s_and_saveexec_b64 s[36:37], s[44:45]
; %bb.3758:                             ;   in Loop: Header=BB2_3430 Depth=3
	s_xor_b64 s[28:29], exec, -1
; %bb.3759:                             ;   in Loop: Header=BB2_3430 Depth=3
	s_or_b64 exec, exec, s[36:37]
	s_and_b64 s[28:29], s[28:29], exec
.LBB2_3760:                             ;   in Loop: Header=BB2_3430 Depth=3
	s_or_saveexec_b64 s[40:41], s[40:41]
	v_bfrev_b32_e32 v13, 1
	s_xor_b64 exec, exec, s[40:41]
; %bb.3761:                             ;   in Loop: Header=BB2_3430 Depth=3
	v_cmp_ne_u16_sdwa s[44:45], v11, v3 src0_sel:BYTE_0 src1_sel:DWORD
	s_andn2_b64 s[28:29], s[28:29], exec
	s_and_b64 s[44:45], s[44:45], exec
	v_mov_b32_e32 v13, 0
	s_or_b64 s[28:29], s[28:29], s[44:45]
; %bb.3762:                             ;   in Loop: Header=BB2_3430 Depth=3
	s_or_b64 exec, exec, s[40:41]
	v_mov_b32_e32 v8, v11
	v_mov_b32_e32 v9, v3
	s_and_saveexec_b64 s[40:41], s[28:29]
	s_cbranch_execz .LBB2_3764
; %bb.3763:                             ;   in Loop: Header=BB2_3430 Depth=3
	v_and_b32_e32 v13, 7, v11
	v_ffbh_u32_e32 v13, v13
	v_and_b32_e32 v36, 0x7f, v11
	v_min_u32_e32 v13, 32, v13
	v_bfe_u32 v24, v11, 3, 4
	v_subrev_u32_e32 v25, 28, v13
	v_sub_u32_e32 v13, 29, v13
	v_cmp_gt_u32_e64 s[28:29], 8, v36
	v_cndmask_b32_e64 v13, v24, v13, s[28:29]
	v_cndmask_b32_e64 v24, 0, v25, s[28:29]
	v_lshlrev_b64 v[24:25], v24, v[8:9]
	v_lshl_add_u32 v13, v13, 23, v49
	v_lshlrev_b32_e32 v9, 20, v24
	v_lshlrev_b32_e32 v24, 24, v8
	v_and_b32_e32 v9, 0x700000, v9
	v_and_b32_e32 v24, 0x80000000, v24
	v_or3_b32 v9, v24, v13, v9
	v_cmp_ne_u32_e64 s[28:29], s71, v36
	v_cndmask_b32_e64 v13, v5, v9, s[28:29]
.LBB2_3764:                             ;   in Loop: Header=BB2_3430 Depth=3
	s_or_b64 exec, exec, s[40:41]
	v_mul_f32_e32 v12, v12, v13
	v_and_b32_e32 v24, 0x7f800000, v12
	v_mov_b32_e32 v25, v3
	v_cmp_ne_u64_e64 s[28:29], s[62:63], v[24:25]
                                        ; implicit-def: $vgpr24
	s_and_saveexec_b64 s[40:41], s[28:29]
	s_xor_b64 s[36:37], exec, s[40:41]
	s_cbranch_execz .LBB2_3778
; %bb.3765:                             ;   in Loop: Header=BB2_3430 Depth=3
	v_and_b32_e32 v24, 0x7fffffff, v12
	v_mov_b32_e32 v25, v3
	v_cmp_gt_u64_e64 s[28:29], s[72:73], v[24:25]
	v_and_b32_sdwa v9, v12, s70 dst_sel:DWORD dst_unused:UNUSED_PAD src0_sel:BYTE_3 src1_sel:DWORD
                                        ; implicit-def: $vgpr24
	s_and_saveexec_b64 s[40:41], s[28:29]
	s_xor_b64 s[38:39], exec, s[40:41]
	s_cbranch_execz .LBB2_3775
; %bb.3766:                             ;   in Loop: Header=BB2_3430 Depth=3
	v_mov_b32_e32 v24, 0
	v_cmp_ne_u32_e64 s[28:29], 0, v12
	s_and_saveexec_b64 s[48:49], s[28:29]
	s_cbranch_execz .LBB2_3774
; %bb.3767:                             ;   in Loop: Header=BB2_3430 Depth=3
	v_bfe_u32 v24, v12, 23, 8
	v_and_b32_e32 v13, 0x7fffff, v12
	v_cmp_gt_u32_e64 s[40:41], s80, v24
	v_sub_u32_e32 v12, 0x79, v24
	v_cmp_eq_u32_e64 s[28:29], 0, v24
	v_cndmask_b32_e64 v12, 0, v12, s[40:41]
	v_or_b32_e32 v36, 0x800000, v13
	v_cndmask_b32_e64 v25, v12, v1, s[28:29]
	v_cndmask_b32_e64 v12, v36, v13, s[28:29]
	v_add_u32_e32 v36, 20, v25
	v_lshlrev_b64 v[36:37], v36, -1
	v_mov_b32_e32 v13, v3
	v_add_u32_e32 v57, 19, v25
	v_bfi_b32 v36, v36, 0, v12
	v_lshlrev_b64 v[57:58], v57, 1
	v_lshrrev_b64 v[12:13], v25, v[12:13]
	v_bfi_b32 v37, v37, 0, 0
	v_cmp_eq_u64_e64 s[40:41], v[36:37], v[57:58]
	v_mov_b32_e32 v58, v13
	v_mov_b32_e32 v57, v12
	s_and_saveexec_b64 s[50:51], s[40:41]
; %bb.3768:                             ;   in Loop: Header=BB2_3430 Depth=3
	v_bfe_u32 v13, v12, 20, 1
	v_add_co_u32_e64 v13, s[40:41], v12, v13
	v_add_co_u32_e64 v57, s[40:41], -1, v13
; %bb.3769:                             ;   in Loop: Header=BB2_3430 Depth=3
	s_or_b64 exec, exec, s[50:51]
	v_add_u32_e32 v13, 0xffffff81, v24
	v_cndmask_b32_e64 v13, v13, v0, s[28:29]
	v_lshrrev_b32_e32 v24, 23, v12
	v_add3_u32 v36, v25, v13, v24
	v_add_u32_e32 v25, 6, v36
	v_and_b32_e32 v13, 0xfffff, v57
	v_add_u32_e32 v12, v13, v12
	v_mov_b32_e32 v13, v3
	v_cmp_ne_u32_e64 s[28:29], 0, v25
                                        ; implicit-def: $vgpr24
	s_and_saveexec_b64 s[40:41], s[28:29]
	s_xor_b64 s[40:41], exec, s[40:41]
; %bb.3770:                             ;   in Loop: Header=BB2_3430 Depth=3
	v_cmp_lt_u64_e64 s[28:29], s[88:89], v[12:13]
	v_add_u32_e32 v24, 7, v36
	v_cndmask_b32_e64 v24, v25, v24, s[28:29]
	v_cndmask_b32_e64 v25, 0, 1, s[28:29]
	v_lshrrev_b64 v[12:13], v25, v[12:13]
; %bb.3771:                             ;   in Loop: Header=BB2_3430 Depth=3
	s_andn2_saveexec_b64 s[28:29], s[40:41]
; %bb.3772:                             ;   in Loop: Header=BB2_3430 Depth=3
	v_bfe_u32 v24, v12, 23, 1
; %bb.3773:                             ;   in Loop: Header=BB2_3430 Depth=3
	s_or_b64 exec, exec, s[28:29]
	v_lshrrev_b64 v[12:13], 20, v[12:13]
	v_cmp_gt_i32_e64 s[28:29], 16, v24
	v_cndmask_b32_e64 v13, 0, v13, s[28:29]
	v_cndmask_b32_e64 v12, 7, v12, s[28:29]
	v_cmp_eq_u64_e64 s[40:41], 0, v[12:13]
	v_min_i32_e32 v13, 15, v24
	v_lshlrev_b32_e32 v13, 3, v13
	v_cmp_eq_u32_e64 s[28:29], 0, v24
	v_and_b32_e32 v13, 0xf8, v13
	v_and_or_b32 v12, v12, 7, v13
	s_and_b64 s[28:29], s[28:29], s[40:41]
	v_cndmask_b32_e64 v12, v12, 0, s[28:29]
	v_or_b32_e32 v24, v12, v9
.LBB2_3774:                             ;   in Loop: Header=BB2_3430 Depth=3
	s_or_b64 exec, exec, s[48:49]
                                        ; implicit-def: $vgpr9
.LBB2_3775:                             ;   in Loop: Header=BB2_3430 Depth=3
	s_andn2_saveexec_b64 s[28:29], s[38:39]
; %bb.3776:                             ;   in Loop: Header=BB2_3430 Depth=3
	v_or_b32_e32 v24, 0x7e, v9
; %bb.3777:                             ;   in Loop: Header=BB2_3430 Depth=3
	s_or_b64 exec, exec, s[28:29]
                                        ; implicit-def: $vgpr12
.LBB2_3778:                             ;   in Loop: Header=BB2_3430 Depth=3
	s_andn2_saveexec_b64 s[28:29], s[36:37]
; %bb.3779:                             ;   in Loop: Header=BB2_3430 Depth=3
	v_or_b32_sdwa v24, v12, s71 dst_sel:DWORD dst_unused:UNUSED_PAD src0_sel:BYTE_3 src1_sel:DWORD
; %bb.3780:                             ;   in Loop: Header=BB2_3430 Depth=3
	s_or_b64 exec, exec, s[28:29]
	v_lshrrev_b16_e32 v9, 8, v2
	v_cmp_ne_u16_e64 s[28:29], 0, v9
	v_mov_b32_e32 v12, 0
	s_and_saveexec_b64 s[40:41], s[28:29]
	s_cbranch_execz .LBB2_3786
; %bb.3781:                             ;   in Loop: Header=BB2_3430 Depth=3
	v_cmp_ne_u16_e64 s[28:29], s70, v9
	v_bfrev_b32_e32 v12, 1
	s_and_saveexec_b64 s[36:37], s[28:29]
	s_cbranch_execz .LBB2_3785
; %bb.3782:                             ;   in Loop: Header=BB2_3430 Depth=3
	v_and_b32_e32 v13, 0x7f, v9
	v_cmp_ne_u32_e64 s[28:29], s71, v13
	v_mov_b32_e32 v12, 0x7f800001
	s_and_saveexec_b64 s[38:39], s[28:29]
	s_cbranch_execz .LBB2_3784
; %bb.3783:                             ;   in Loop: Header=BB2_3430 Depth=3
	v_and_b32_e32 v25, 7, v9
	v_ffbh_u32_e32 v12, v25
	v_min_u32_e32 v37, 32, v12
	v_subrev_u32_e32 v12, 28, v37
	v_lshrrev_b32_e32 v36, 3, v13
	v_cmp_gt_u32_e64 s[28:29], 8, v13
	v_lshlrev_b64 v[12:13], v12, v[9:10]
	v_sub_u32_e32 v9, 29, v37
	v_and_b32_e32 v12, 7, v12
	v_cndmask_b32_e64 v9, v36, v9, s[28:29]
	v_cndmask_b32_e64 v12, v25, v12, s[28:29]
	v_lshlrev_b32_e32 v2, 16, v2
	v_lshlrev_b32_e32 v12, 20, v12
	v_and_b32_e32 v2, 0x80000000, v2
	v_lshl_add_u32 v9, v9, 23, v49
	v_or3_b32 v12, v2, v9, v12
.LBB2_3784:                             ;   in Loop: Header=BB2_3430 Depth=3
	s_or_b64 exec, exec, s[38:39]
.LBB2_3785:                             ;   in Loop: Header=BB2_3430 Depth=3
	s_or_b64 exec, exec, s[36:37]
.LBB2_3786:                             ;   in Loop: Header=BB2_3430 Depth=3
	s_or_b64 exec, exec, s[40:41]
	v_lshrrev_b16_e32 v2, 8, v8
	v_cmp_lt_i16_e64 s[28:29], s71, v2
	s_mov_b64 s[40:41], 0
	s_and_saveexec_b64 s[44:45], s[28:29]
	s_xor_b64 s[36:37], exec, s[44:45]
	s_cbranch_execz .LBB2_3874
; %bb.3787:                             ;   in Loop: Header=BB2_3430 Depth=3
	v_cmp_eq_u16_e64 s[28:29], s70, v2
	s_mov_b64 s[40:41], -1
	s_and_saveexec_b64 s[38:39], s[28:29]
; %bb.3788:                             ;   in Loop: Header=BB2_3430 Depth=3
	s_xor_b64 s[40:41], exec, -1
; %bb.3789:                             ;   in Loop: Header=BB2_3430 Depth=3
	s_or_b64 exec, exec, s[38:39]
	s_and_b64 s[40:41], s[40:41], exec
	s_or_saveexec_b64 s[36:37], s[36:37]
	v_bfrev_b32_e32 v8, 1
	s_xor_b64 exec, exec, s[36:37]
	s_cbranch_execnz .LBB2_3875
.LBB2_3790:                             ;   in Loop: Header=BB2_3430 Depth=3
	s_or_b64 exec, exec, s[36:37]
	s_and_saveexec_b64 s[36:37], s[40:41]
	s_cbranch_execz .LBB2_3792
.LBB2_3791:                             ;   in Loop: Header=BB2_3430 Depth=3
	v_and_b32_e32 v13, 7, v2
	v_ffbh_u32_e32 v8, v13
	v_min_u32_e32 v37, 32, v8
	v_subrev_u32_e32 v8, 28, v37
	v_lshlrev_b64 v[8:9], v8, v[2:3]
	v_and_b32_e32 v25, 0x7f, v2
	v_bfe_u32 v36, v2, 3, 4
	v_sub_u32_e32 v9, 29, v37
	v_and_b32_e32 v8, 7, v8
	v_cmp_gt_u32_e64 s[28:29], 8, v25
	v_cndmask_b32_e64 v9, v36, v9, s[28:29]
	v_cndmask_b32_e64 v8, v13, v8, s[28:29]
	v_lshlrev_b32_e32 v2, 24, v2
	v_lshlrev_b32_e32 v8, 20, v8
	v_and_b32_e32 v2, 0x80000000, v2
	v_lshl_add_u32 v9, v9, 23, v49
	v_or3_b32 v2, v2, v9, v8
	v_cmp_ne_u32_e64 s[28:29], s71, v25
	v_cndmask_b32_e64 v8, v5, v2, s[28:29]
.LBB2_3792:                             ;   in Loop: Header=BB2_3430 Depth=3
	s_or_b64 exec, exec, s[36:37]
	v_mul_f32_e32 v8, v12, v8
	v_and_b32_e32 v2, 0x7f800000, v8
	v_cmp_ne_u64_e64 s[28:29], s[62:63], v[2:3]
                                        ; implicit-def: $vgpr25
	s_and_saveexec_b64 s[40:41], s[28:29]
	s_xor_b64 s[36:37], exec, s[40:41]
	s_cbranch_execz .LBB2_3806
; %bb.3793:                             ;   in Loop: Header=BB2_3430 Depth=3
	v_and_b32_e32 v2, 0x7fffffff, v8
	v_cmp_gt_u64_e64 s[28:29], s[72:73], v[2:3]
	v_and_b32_sdwa v57, v8, s70 dst_sel:DWORD dst_unused:UNUSED_PAD src0_sel:BYTE_3 src1_sel:DWORD
                                        ; implicit-def: $vgpr25
	s_and_saveexec_b64 s[40:41], s[28:29]
	s_xor_b64 s[38:39], exec, s[40:41]
	s_cbranch_execz .LBB2_3803
; %bb.3794:                             ;   in Loop: Header=BB2_3430 Depth=3
	v_mov_b32_e32 v25, 0
	v_cmp_ne_u32_e64 s[28:29], 0, v8
	s_and_saveexec_b64 s[48:49], s[28:29]
	s_cbranch_execz .LBB2_3802
; %bb.3795:                             ;   in Loop: Header=BB2_3430 Depth=3
	v_bfe_u32 v25, v8, 23, 8
	v_and_b32_e32 v2, 0x7fffff, v8
	v_cmp_gt_u32_e64 s[40:41], s80, v25
	v_sub_u32_e32 v8, 0x79, v25
	v_cmp_eq_u32_e64 s[28:29], 0, v25
	v_cndmask_b32_e64 v8, 0, v8, s[40:41]
	v_cndmask_b32_e64 v36, v8, v1, s[28:29]
	v_or_b32_e32 v9, 0x800000, v2
	v_add_u32_e32 v8, 20, v36
	v_cndmask_b32_e64 v2, v9, v2, s[28:29]
	v_lshlrev_b64 v[8:9], v8, -1
	v_add_u32_e32 v12, 19, v36
	v_lshlrev_b64 v[12:13], v12, 1
	v_bfi_b32 v9, v9, 0, 0
	v_bfi_b32 v8, v8, 0, v2
	v_cmp_eq_u64_e64 s[40:41], v[8:9], v[12:13]
	v_lshrrev_b64 v[8:9], v36, v[2:3]
	v_mov_b32_e32 v13, v9
	v_mov_b32_e32 v12, v8
	s_and_saveexec_b64 s[50:51], s[40:41]
; %bb.3796:                             ;   in Loop: Header=BB2_3430 Depth=3
	v_bfe_u32 v2, v8, 20, 1
	v_add_co_u32_e64 v2, s[40:41], v8, v2
	v_add_co_u32_e64 v12, s[40:41], -1, v2
; %bb.3797:                             ;   in Loop: Header=BB2_3430 Depth=3
	s_or_b64 exec, exec, s[50:51]
	v_add_u32_e32 v2, 0xffffff81, v25
	v_cndmask_b32_e64 v2, v2, v0, s[28:29]
	v_lshrrev_b32_e32 v9, 23, v8
	v_add3_u32 v25, v36, v2, v9
	v_add_u32_e32 v13, 6, v25
	v_and_b32_e32 v2, 0xfffff, v12
	v_add_u32_e32 v2, v2, v8
	v_cmp_ne_u32_e64 s[28:29], 0, v13
                                        ; implicit-def: $vgpr8_vgpr9
                                        ; implicit-def: $vgpr12
	s_and_saveexec_b64 s[40:41], s[28:29]
	s_xor_b64 s[40:41], exec, s[40:41]
; %bb.3798:                             ;   in Loop: Header=BB2_3430 Depth=3
	v_cmp_lt_u64_e64 s[28:29], s[88:89], v[2:3]
	v_add_u32_e32 v8, 7, v25
	v_cndmask_b32_e64 v12, v13, v8, s[28:29]
	v_cndmask_b32_e64 v8, 0, 1, s[28:29]
	v_lshrrev_b64 v[8:9], v8, v[2:3]
; %bb.3799:                             ;   in Loop: Header=BB2_3430 Depth=3
	s_andn2_saveexec_b64 s[28:29], s[40:41]
; %bb.3800:                             ;   in Loop: Header=BB2_3430 Depth=3
	v_mov_b32_e32 v9, v3
	v_bfe_u32 v12, v2, 23, 1
	v_mov_b32_e32 v8, v2
; %bb.3801:                             ;   in Loop: Header=BB2_3430 Depth=3
	s_or_b64 exec, exec, s[28:29]
	v_lshrrev_b64 v[8:9], 20, v[8:9]
	v_cmp_gt_i32_e64 s[28:29], 16, v12
	v_cndmask_b32_e64 v9, 0, v9, s[28:29]
	v_cndmask_b32_e64 v8, 7, v8, s[28:29]
	v_min_i32_e32 v2, 15, v12
	v_cmp_eq_u64_e64 s[40:41], 0, v[8:9]
	v_lshlrev_b32_e32 v2, 3, v2
	v_cmp_eq_u32_e64 s[28:29], 0, v12
	v_and_b32_e32 v2, 0xf8, v2
	v_and_or_b32 v2, v8, 7, v2
	s_and_b64 s[28:29], s[28:29], s[40:41]
	v_cndmask_b32_e64 v2, v2, 0, s[28:29]
	v_or_b32_e32 v25, v2, v57
.LBB2_3802:                             ;   in Loop: Header=BB2_3430 Depth=3
	s_or_b64 exec, exec, s[48:49]
                                        ; implicit-def: $vgpr57
.LBB2_3803:                             ;   in Loop: Header=BB2_3430 Depth=3
	s_andn2_saveexec_b64 s[28:29], s[38:39]
; %bb.3804:                             ;   in Loop: Header=BB2_3430 Depth=3
	v_or_b32_e32 v25, 0x7e, v57
; %bb.3805:                             ;   in Loop: Header=BB2_3430 Depth=3
	s_or_b64 exec, exec, s[28:29]
                                        ; implicit-def: $vgpr8
.LBB2_3806:                             ;   in Loop: Header=BB2_3430 Depth=3
	s_andn2_saveexec_b64 s[28:29], s[36:37]
; %bb.3807:                             ;   in Loop: Header=BB2_3430 Depth=3
	v_or_b32_sdwa v25, v8, s71 dst_sel:DWORD dst_unused:UNUSED_PAD src0_sel:BYTE_3 src1_sel:DWORD
; %bb.3808:                             ;   in Loop: Header=BB2_3430 Depth=3
	s_or_b64 exec, exec, s[28:29]
	v_lshrrev_b32_e32 v2, 16, v15
	v_cmp_ne_u16_sdwa s[28:29], v2, v3 src0_sel:BYTE_0 src1_sel:DWORD
	v_mov_b32_e32 v8, 0
	s_and_saveexec_b64 s[40:41], s[28:29]
	s_cbranch_execz .LBB2_3814
; %bb.3809:                             ;   in Loop: Header=BB2_3430 Depth=3
	v_cmp_ne_u16_sdwa s[28:29], v2, s70 src0_sel:BYTE_0 src1_sel:DWORD
	v_bfrev_b32_e32 v8, 1
	s_and_saveexec_b64 s[36:37], s[28:29]
	s_cbranch_execz .LBB2_3813
; %bb.3810:                             ;   in Loop: Header=BB2_3430 Depth=3
	v_bfe_u32 v9, v15, 16, 7
	v_cmp_ne_u32_e64 s[28:29], s71, v9
	v_mov_b32_e32 v8, 0x7f800001
	s_and_saveexec_b64 s[38:39], s[28:29]
	s_cbranch_execz .LBB2_3812
; %bb.3811:                             ;   in Loop: Header=BB2_3430 Depth=3
	v_and_b32_e32 v12, 7, v2
	v_ffbh_u32_e32 v8, v12
	v_min_u32_e32 v36, 32, v8
	v_subrev_u32_e32 v8, 28, v36
	v_lshrrev_b32_e32 v13, 3, v9
	v_cmp_gt_u32_e64 s[28:29], 8, v9
	v_lshlrev_b64 v[8:9], v8, v[2:3]
	v_sub_u32_e32 v9, 29, v36
	v_and_b32_e32 v8, 7, v8
	v_cndmask_b32_e64 v9, v13, v9, s[28:29]
	v_cndmask_b32_e64 v8, v12, v8, s[28:29]
	v_lshlrev_b32_e32 v2, 24, v2
	v_lshlrev_b32_e32 v8, 20, v8
	v_and_b32_e32 v2, 0x80000000, v2
	v_lshl_add_u32 v9, v9, 23, v49
	v_or3_b32 v8, v2, v9, v8
.LBB2_3812:                             ;   in Loop: Header=BB2_3430 Depth=3
	s_or_b64 exec, exec, s[38:39]
.LBB2_3813:                             ;   in Loop: Header=BB2_3430 Depth=3
	s_or_b64 exec, exec, s[36:37]
.LBB2_3814:                             ;   in Loop: Header=BB2_3430 Depth=3
	s_or_b64 exec, exec, s[40:41]
	v_lshrrev_b32_e32 v2, 16, v11
	v_cmp_gt_i16_sdwa s[40:41], v2, s71 src0_sel:BYTE_0 src1_sel:DWORD
	s_mov_b64 s[28:29], 0
	s_and_saveexec_b64 s[44:45], s[40:41]
	s_xor_b64 s[40:41], exec, s[44:45]
	s_cbranch_execz .LBB2_3876
; %bb.3815:                             ;   in Loop: Header=BB2_3430 Depth=3
	v_cmp_eq_u16_sdwa s[44:45], v2, s70 src0_sel:BYTE_0 src1_sel:DWORD
	s_mov_b64 s[28:29], -1
	s_and_saveexec_b64 s[36:37], s[44:45]
; %bb.3816:                             ;   in Loop: Header=BB2_3430 Depth=3
	s_xor_b64 s[28:29], exec, -1
; %bb.3817:                             ;   in Loop: Header=BB2_3430 Depth=3
	s_or_b64 exec, exec, s[36:37]
	s_and_b64 s[28:29], s[28:29], exec
	s_or_saveexec_b64 s[40:41], s[40:41]
	v_bfrev_b32_e32 v9, 1
	s_xor_b64 exec, exec, s[40:41]
	s_cbranch_execnz .LBB2_3877
.LBB2_3818:                             ;   in Loop: Header=BB2_3430 Depth=3
	s_or_b64 exec, exec, s[40:41]
	s_and_saveexec_b64 s[40:41], s[28:29]
	s_cbranch_execz .LBB2_3820
.LBB2_3819:                             ;   in Loop: Header=BB2_3430 Depth=3
	v_and_b32_e32 v9, 7, v2
	v_ffbh_u32_e32 v12, v9
	v_min_u32_e32 v57, 32, v12
	v_subrev_u32_e32 v12, 28, v57
	v_lshlrev_b64 v[12:13], v12, v[2:3]
	v_and_b32_e32 v36, 0x7f, v2
	v_bfe_u32 v37, v2, 3, 4
	v_sub_u32_e32 v13, 29, v57
	v_and_b32_e32 v12, 7, v12
	v_cmp_gt_u32_e64 s[28:29], 8, v36
	v_cndmask_b32_e64 v13, v37, v13, s[28:29]
	v_cndmask_b32_e64 v9, v9, v12, s[28:29]
	v_lshlrev_b32_e32 v2, 24, v2
	v_lshlrev_b32_e32 v9, 20, v9
	v_and_b32_e32 v2, 0x80000000, v2
	v_lshl_add_u32 v12, v13, 23, v49
	v_or3_b32 v2, v2, v12, v9
	v_cmp_ne_u32_e64 s[28:29], s71, v36
	v_cndmask_b32_e64 v9, v5, v2, s[28:29]
.LBB2_3820:                             ;   in Loop: Header=BB2_3430 Depth=3
	s_or_b64 exec, exec, s[40:41]
	v_mul_f32_e32 v8, v8, v9
	v_and_b32_e32 v2, 0x7f800000, v8
	v_cmp_ne_u64_e64 s[28:29], s[62:63], v[2:3]
                                        ; implicit-def: $vgpr12
	s_and_saveexec_b64 s[40:41], s[28:29]
	s_xor_b64 s[36:37], exec, s[40:41]
	s_cbranch_execz .LBB2_3834
; %bb.3821:                             ;   in Loop: Header=BB2_3430 Depth=3
	v_and_b32_e32 v2, 0x7fffffff, v8
	v_cmp_gt_u64_e64 s[28:29], s[72:73], v[2:3]
	v_and_b32_sdwa v57, v8, s70 dst_sel:DWORD dst_unused:UNUSED_PAD src0_sel:BYTE_3 src1_sel:DWORD
                                        ; implicit-def: $vgpr12
	s_and_saveexec_b64 s[40:41], s[28:29]
	s_xor_b64 s[38:39], exec, s[40:41]
	s_cbranch_execz .LBB2_3831
; %bb.3822:                             ;   in Loop: Header=BB2_3430 Depth=3
	v_mov_b32_e32 v12, 0
	v_cmp_ne_u32_e64 s[28:29], 0, v8
	s_and_saveexec_b64 s[48:49], s[28:29]
	s_cbranch_execz .LBB2_3830
; %bb.3823:                             ;   in Loop: Header=BB2_3430 Depth=3
	v_bfe_u32 v58, v8, 23, 8
	v_and_b32_e32 v2, 0x7fffff, v8
	v_cmp_gt_u32_e64 s[40:41], s80, v58
	v_sub_u32_e32 v8, 0x79, v58
	v_cmp_eq_u32_e64 s[28:29], 0, v58
	v_cndmask_b32_e64 v8, 0, v8, s[40:41]
	v_cndmask_b32_e64 v36, v8, v1, s[28:29]
	v_or_b32_e32 v9, 0x800000, v2
	v_add_u32_e32 v8, 20, v36
	v_cndmask_b32_e64 v2, v9, v2, s[28:29]
	v_lshlrev_b64 v[8:9], v8, -1
	v_add_u32_e32 v12, 19, v36
	v_lshlrev_b64 v[12:13], v12, 1
	v_bfi_b32 v9, v9, 0, 0
	v_bfi_b32 v8, v8, 0, v2
	v_cmp_eq_u64_e64 s[40:41], v[8:9], v[12:13]
	v_lshrrev_b64 v[8:9], v36, v[2:3]
	v_mov_b32_e32 v13, v9
	v_mov_b32_e32 v12, v8
	s_and_saveexec_b64 s[50:51], s[40:41]
; %bb.3824:                             ;   in Loop: Header=BB2_3430 Depth=3
	v_bfe_u32 v2, v8, 20, 1
	v_add_co_u32_e64 v2, s[40:41], v8, v2
	v_add_co_u32_e64 v12, s[40:41], -1, v2
; %bb.3825:                             ;   in Loop: Header=BB2_3430 Depth=3
	s_or_b64 exec, exec, s[50:51]
	v_add_u32_e32 v2, 0xffffff81, v58
	v_cndmask_b32_e64 v2, v2, v0, s[28:29]
	v_lshrrev_b32_e32 v9, 23, v8
	v_add3_u32 v36, v36, v2, v9
	v_add_u32_e32 v13, 6, v36
	v_and_b32_e32 v2, 0xfffff, v12
	v_add_u32_e32 v2, v2, v8
	v_cmp_ne_u32_e64 s[28:29], 0, v13
                                        ; implicit-def: $vgpr8_vgpr9
                                        ; implicit-def: $vgpr12
	s_and_saveexec_b64 s[40:41], s[28:29]
	s_xor_b64 s[40:41], exec, s[40:41]
; %bb.3826:                             ;   in Loop: Header=BB2_3430 Depth=3
	v_cmp_lt_u64_e64 s[28:29], s[88:89], v[2:3]
	v_add_u32_e32 v8, 7, v36
	v_cndmask_b32_e64 v12, v13, v8, s[28:29]
	v_cndmask_b32_e64 v8, 0, 1, s[28:29]
	v_lshrrev_b64 v[8:9], v8, v[2:3]
; %bb.3827:                             ;   in Loop: Header=BB2_3430 Depth=3
	s_andn2_saveexec_b64 s[28:29], s[40:41]
; %bb.3828:                             ;   in Loop: Header=BB2_3430 Depth=3
	v_mov_b32_e32 v9, v3
	v_bfe_u32 v12, v2, 23, 1
	v_mov_b32_e32 v8, v2
; %bb.3829:                             ;   in Loop: Header=BB2_3430 Depth=3
	s_or_b64 exec, exec, s[28:29]
	v_lshrrev_b64 v[8:9], 20, v[8:9]
	v_cmp_gt_i32_e64 s[28:29], 16, v12
	v_cndmask_b32_e64 v9, 0, v9, s[28:29]
	v_cndmask_b32_e64 v8, 7, v8, s[28:29]
	v_min_i32_e32 v2, 15, v12
	v_cmp_eq_u64_e64 s[40:41], 0, v[8:9]
	v_lshlrev_b32_e32 v2, 3, v2
	v_cmp_eq_u32_e64 s[28:29], 0, v12
	v_and_b32_e32 v2, 0xf8, v2
	v_and_or_b32 v2, v8, 7, v2
	s_and_b64 s[28:29], s[28:29], s[40:41]
	v_cndmask_b32_e64 v2, v2, 0, s[28:29]
	v_or_b32_e32 v12, v2, v57
.LBB2_3830:                             ;   in Loop: Header=BB2_3430 Depth=3
	s_or_b64 exec, exec, s[48:49]
                                        ; implicit-def: $vgpr57
.LBB2_3831:                             ;   in Loop: Header=BB2_3430 Depth=3
	s_andn2_saveexec_b64 s[28:29], s[38:39]
; %bb.3832:                             ;   in Loop: Header=BB2_3430 Depth=3
	v_or_b32_e32 v12, 0x7e, v57
; %bb.3833:                             ;   in Loop: Header=BB2_3430 Depth=3
	s_or_b64 exec, exec, s[28:29]
                                        ; implicit-def: $vgpr8
.LBB2_3834:                             ;   in Loop: Header=BB2_3430 Depth=3
	s_andn2_saveexec_b64 s[28:29], s[36:37]
; %bb.3835:                             ;   in Loop: Header=BB2_3430 Depth=3
	v_or_b32_sdwa v12, v8, s71 dst_sel:DWORD dst_unused:UNUSED_PAD src0_sel:BYTE_3 src1_sel:DWORD
; %bb.3836:                             ;   in Loop: Header=BB2_3430 Depth=3
	s_or_b64 exec, exec, s[28:29]
	v_cmp_lt_u64_e64 s[28:29], s[56:57], v[14:15]
	v_mov_b32_e32 v8, 0
	s_and_saveexec_b64 s[40:41], s[28:29]
	s_cbranch_execz .LBB2_3842
; %bb.3837:                             ;   in Loop: Header=BB2_3430 Depth=3
	v_lshrrev_b32_e32 v2, 24, v15
	v_cmp_ne_u32_e64 s[28:29], s70, v2
	v_bfrev_b32_e32 v8, 1
	s_and_saveexec_b64 s[36:37], s[28:29]
	s_cbranch_execz .LBB2_3841
; %bb.3838:                             ;   in Loop: Header=BB2_3430 Depth=3
	v_bfe_u32 v9, v15, 24, 7
	v_cmp_ne_u32_e64 s[28:29], s71, v9
	v_mov_b32_e32 v8, 0x7f800001
	s_and_saveexec_b64 s[38:39], s[28:29]
	s_cbranch_execz .LBB2_3840
; %bb.3839:                             ;   in Loop: Header=BB2_3430 Depth=3
	v_and_b32_e32 v13, 7, v2
	v_ffbh_u32_e32 v8, v13
	v_min_u32_e32 v15, 32, v8
	v_subrev_u32_e32 v8, 28, v15
	v_lshrrev_b32_e32 v14, 3, v9
	v_cmp_gt_u32_e64 s[28:29], 8, v9
	v_lshlrev_b64 v[8:9], v8, v[2:3]
	v_sub_u32_e32 v9, 29, v15
	v_and_b32_e32 v8, 7, v8
	v_cndmask_b32_e64 v9, v14, v9, s[28:29]
	v_cndmask_b32_e64 v8, v13, v8, s[28:29]
	v_lshlrev_b32_e32 v2, 24, v2
	v_lshlrev_b32_e32 v8, 20, v8
	v_and_b32_e32 v2, 0x80000000, v2
	v_lshl_add_u32 v9, v9, 23, v49
	v_or3_b32 v8, v2, v9, v8
.LBB2_3840:                             ;   in Loop: Header=BB2_3430 Depth=3
	s_or_b64 exec, exec, s[38:39]
.LBB2_3841:                             ;   in Loop: Header=BB2_3430 Depth=3
	s_or_b64 exec, exec, s[36:37]
.LBB2_3842:                             ;   in Loop: Header=BB2_3430 Depth=3
	s_or_b64 exec, exec, s[40:41]
	v_bfe_u32 v9, v11, 24, 3
	v_ffbh_u32_e32 v13, v9
	v_min_u32_e32 v37, 32, v13
	v_lshrrev_b32_e32 v2, 24, v11
	v_subrev_u32_e32 v13, 28, v37
	v_lshlrev_b64 v[13:14], v13, v[2:3]
	v_bfe_u32 v15, v11, 24, 7
	v_bfe_u32 v36, v2, 3, 4
	v_sub_u32_e32 v14, 29, v37
	v_and_b32_e32 v13, 7, v13
	v_cmp_gt_u32_e64 s[28:29], 8, v15
	v_cndmask_b32_e64 v14, v36, v14, s[28:29]
	v_cndmask_b32_e64 v9, v9, v13, s[28:29]
	v_lshlrev_b32_e32 v9, 20, v9
	v_and_b32_e32 v13, 0x80000000, v11
	v_lshl_add_u32 v14, v14, 23, v49
	v_or3_b32 v9, v13, v14, v9
	v_cmp_ne_u32_e64 s[28:29], s71, v15
	v_cndmask_b32_e64 v9, v5, v9, s[28:29]
	v_cmp_ne_u32_e64 s[28:29], s70, v2
	v_cndmask_b32_e64 v2, v35, v9, s[28:29]
	v_cmp_lt_u64_e64 s[28:29], s[56:57], v[10:11]
	v_cndmask_b32_e64 v2, 0, v2, s[28:29]
	v_mul_f32_e32 v8, v2, v8
	v_and_b32_e32 v2, 0x7f800000, v8
	v_cmp_ne_u64_e64 s[28:29], s[62:63], v[2:3]
                                        ; implicit-def: $vgpr2
	s_and_saveexec_b64 s[40:41], s[28:29]
	s_xor_b64 s[36:37], exec, s[40:41]
	s_cbranch_execz .LBB2_3856
; %bb.3843:                             ;   in Loop: Header=BB2_3430 Depth=3
	v_and_b32_e32 v2, 0x7fffffff, v8
	v_cmp_gt_u64_e64 s[28:29], s[72:73], v[2:3]
	v_and_b32_sdwa v11, v8, s70 dst_sel:DWORD dst_unused:UNUSED_PAD src0_sel:BYTE_3 src1_sel:DWORD
                                        ; implicit-def: $vgpr2
	s_and_saveexec_b64 s[40:41], s[28:29]
	s_xor_b64 s[38:39], exec, s[40:41]
	s_cbranch_execz .LBB2_3853
; %bb.3844:                             ;   in Loop: Header=BB2_3430 Depth=3
	v_mov_b32_e32 v2, 0
	v_cmp_ne_u32_e64 s[28:29], 0, v8
	s_and_saveexec_b64 s[48:49], s[28:29]
	s_cbranch_execz .LBB2_3852
; %bb.3845:                             ;   in Loop: Header=BB2_3430 Depth=3
	v_bfe_u32 v13, v8, 23, 8
	v_and_b32_e32 v2, 0x7fffff, v8
	v_cmp_gt_u32_e64 s[40:41], s80, v13
	v_sub_u32_e32 v8, 0x79, v13
	v_cmp_eq_u32_e64 s[28:29], 0, v13
	v_cndmask_b32_e64 v8, 0, v8, s[40:41]
	v_cndmask_b32_e64 v14, v8, v1, s[28:29]
	v_or_b32_e32 v9, 0x800000, v2
	v_add_u32_e32 v8, 20, v14
	v_cndmask_b32_e64 v2, v9, v2, s[28:29]
	v_lshlrev_b64 v[8:9], v8, -1
	v_add_u32_e32 v10, 19, v14
	v_lshlrev_b64 v[36:37], v10, 1
	v_bfi_b32 v9, v9, 0, 0
	v_bfi_b32 v8, v8, 0, v2
	v_cmp_eq_u64_e64 s[40:41], v[8:9], v[36:37]
	v_lshrrev_b64 v[8:9], v14, v[2:3]
	v_mov_b32_e32 v10, v9
	v_mov_b32_e32 v9, v8
	s_and_saveexec_b64 s[50:51], s[40:41]
; %bb.3846:                             ;   in Loop: Header=BB2_3430 Depth=3
	v_bfe_u32 v2, v8, 20, 1
	v_add_co_u32_e64 v2, s[40:41], v8, v2
	v_add_co_u32_e64 v9, s[40:41], -1, v2
; %bb.3847:                             ;   in Loop: Header=BB2_3430 Depth=3
	s_or_b64 exec, exec, s[50:51]
	v_add_u32_e32 v2, 0xffffff81, v13
	v_cndmask_b32_e64 v2, v2, v0, s[28:29]
	v_lshrrev_b32_e32 v10, 23, v8
	v_add3_u32 v14, v14, v2, v10
	v_add_u32_e32 v13, 6, v14
	v_and_b32_e32 v2, 0xfffff, v9
	v_add_u32_e32 v2, v2, v8
	v_cmp_ne_u32_e64 s[28:29], 0, v13
                                        ; implicit-def: $vgpr8_vgpr9
                                        ; implicit-def: $vgpr10
	s_and_saveexec_b64 s[40:41], s[28:29]
	s_xor_b64 s[40:41], exec, s[40:41]
; %bb.3848:                             ;   in Loop: Header=BB2_3430 Depth=3
	v_cmp_lt_u64_e64 s[28:29], s[88:89], v[2:3]
	v_add_u32_e32 v8, 7, v14
	v_cndmask_b32_e64 v10, v13, v8, s[28:29]
	v_cndmask_b32_e64 v8, 0, 1, s[28:29]
	v_lshrrev_b64 v[8:9], v8, v[2:3]
; %bb.3849:                             ;   in Loop: Header=BB2_3430 Depth=3
	s_andn2_saveexec_b64 s[28:29], s[40:41]
; %bb.3850:                             ;   in Loop: Header=BB2_3430 Depth=3
	v_mov_b32_e32 v9, v3
	v_bfe_u32 v10, v2, 23, 1
	v_mov_b32_e32 v8, v2
; %bb.3851:                             ;   in Loop: Header=BB2_3430 Depth=3
	s_or_b64 exec, exec, s[28:29]
	v_lshrrev_b64 v[8:9], 20, v[8:9]
	v_cmp_gt_i32_e64 s[28:29], 16, v10
	v_cndmask_b32_e64 v9, 0, v9, s[28:29]
	v_cndmask_b32_e64 v8, 7, v8, s[28:29]
	v_min_i32_e32 v2, 15, v10
	v_cmp_eq_u64_e64 s[40:41], 0, v[8:9]
	v_lshlrev_b32_e32 v2, 3, v2
	v_cmp_eq_u32_e64 s[28:29], 0, v10
	v_and_b32_e32 v2, 0xf8, v2
	v_and_or_b32 v2, v8, 7, v2
	s_and_b64 s[28:29], s[28:29], s[40:41]
	v_cndmask_b32_e64 v2, v2, 0, s[28:29]
	v_or_b32_e32 v2, v2, v11
.LBB2_3852:                             ;   in Loop: Header=BB2_3430 Depth=3
	s_or_b64 exec, exec, s[48:49]
                                        ; implicit-def: $vgpr11
.LBB2_3853:                             ;   in Loop: Header=BB2_3430 Depth=3
	s_andn2_saveexec_b64 s[28:29], s[38:39]
; %bb.3854:                             ;   in Loop: Header=BB2_3430 Depth=3
	v_or_b32_e32 v2, 0x7e, v11
; %bb.3855:                             ;   in Loop: Header=BB2_3430 Depth=3
	s_or_b64 exec, exec, s[28:29]
                                        ; implicit-def: $vgpr8
.LBB2_3856:                             ;   in Loop: Header=BB2_3430 Depth=3
	s_andn2_saveexec_b64 s[28:29], s[36:37]
	s_cbranch_execz .LBB2_3429
; %bb.3857:                             ;   in Loop: Header=BB2_3430 Depth=3
	v_or_b32_sdwa v2, v8, s71 dst_sel:DWORD dst_unused:UNUSED_PAD src0_sel:BYTE_3 src1_sel:DWORD
	s_branch .LBB2_3429
.LBB2_3858:                             ;   in Loop: Header=BB2_3430 Depth=3
	s_or_saveexec_b64 s[40:41], s[40:41]
	v_bfrev_b32_e32 v7, 1
	s_xor_b64 exec, exec, s[40:41]
	s_cbranch_execz .LBB2_3440
.LBB2_3859:                             ;   in Loop: Header=BB2_3430 Depth=3
	v_cmp_ne_u16_sdwa s[44:45], v8, v3 src0_sel:BYTE_0 src1_sel:DWORD
	s_andn2_b64 s[28:29], s[28:29], exec
	s_and_b64 s[44:45], s[44:45], exec
	v_mov_b32_e32 v7, 0
	s_or_b64 s[28:29], s[28:29], s[44:45]
	s_or_b64 exec, exec, s[40:41]
	s_and_saveexec_b64 s[40:41], s[28:29]
	s_cbranch_execnz .LBB2_3441
	s_branch .LBB2_3442
.LBB2_3860:                             ;   in Loop: Header=BB2_3430 Depth=3
	s_or_saveexec_b64 s[36:37], s[36:37]
	v_bfrev_b32_e32 v21, 1
	s_xor_b64 exec, exec, s[36:37]
	s_cbranch_execz .LBB2_3468
.LBB2_3861:                             ;   in Loop: Header=BB2_3430 Depth=3
	v_cmp_ne_u16_e64 s[28:29], 0, v2
	s_andn2_b64 s[40:41], s[40:41], exec
	s_and_b64 s[28:29], s[28:29], exec
	v_mov_b32_e32 v21, 0
	s_or_b64 s[40:41], s[40:41], s[28:29]
	s_or_b64 exec, exec, s[36:37]
	s_and_saveexec_b64 s[36:37], s[40:41]
	s_cbranch_execnz .LBB2_3469
	s_branch .LBB2_3470
.LBB2_3862:                             ;   in Loop: Header=BB2_3430 Depth=3
	s_or_saveexec_b64 s[40:41], s[40:41]
	v_bfrev_b32_e32 v21, 1
	s_xor_b64 exec, exec, s[40:41]
	s_cbranch_execz .LBB2_3496
.LBB2_3863:                             ;   in Loop: Header=BB2_3430 Depth=3
	v_cmp_ne_u16_sdwa s[44:45], v2, v3 src0_sel:BYTE_0 src1_sel:DWORD
	s_andn2_b64 s[28:29], s[28:29], exec
	s_and_b64 s[44:45], s[44:45], exec
	v_mov_b32_e32 v21, 0
	s_or_b64 s[28:29], s[28:29], s[44:45]
	s_or_b64 exec, exec, s[40:41]
	s_and_saveexec_b64 s[40:41], s[28:29]
	s_cbranch_execnz .LBB2_3497
	s_branch .LBB2_3498
.LBB2_3864:                             ;   in Loop: Header=BB2_3430 Depth=3
	s_or_saveexec_b64 s[36:37], s[36:37]
	v_bfrev_b32_e32 v24, 1
	s_xor_b64 exec, exec, s[36:37]
	s_cbranch_execz .LBB2_3576
.LBB2_3865:                             ;   in Loop: Header=BB2_3430 Depth=3
	v_cmp_ne_u16_e64 s[28:29], 0, v2
	s_andn2_b64 s[40:41], s[40:41], exec
	s_and_b64 s[28:29], s[28:29], exec
	v_mov_b32_e32 v24, 0
	s_or_b64 s[40:41], s[40:41], s[28:29]
	s_or_b64 exec, exec, s[36:37]
	s_and_saveexec_b64 s[36:37], s[40:41]
	s_cbranch_execnz .LBB2_3577
	s_branch .LBB2_3578
.LBB2_3866:                             ;   in Loop: Header=BB2_3430 Depth=3
	s_or_saveexec_b64 s[40:41], s[40:41]
	v_bfrev_b32_e32 v24, 1
	s_xor_b64 exec, exec, s[40:41]
	s_cbranch_execz .LBB2_3604
.LBB2_3867:                             ;   in Loop: Header=BB2_3430 Depth=3
	v_cmp_ne_u16_sdwa s[44:45], v2, v3 src0_sel:BYTE_0 src1_sel:DWORD
	s_andn2_b64 s[28:29], s[28:29], exec
	s_and_b64 s[44:45], s[44:45], exec
	v_mov_b32_e32 v24, 0
	s_or_b64 s[28:29], s[28:29], s[44:45]
	s_or_b64 exec, exec, s[40:41]
	s_and_saveexec_b64 s[40:41], s[28:29]
	s_cbranch_execnz .LBB2_3605
	s_branch .LBB2_3606
.LBB2_3868:                             ;   in Loop: Header=BB2_3430 Depth=3
	s_or_saveexec_b64 s[40:41], s[40:41]
	v_bfrev_b32_e32 v8, 1
	s_xor_b64 exec, exec, s[40:41]
	s_cbranch_execz .LBB2_3654
.LBB2_3869:                             ;   in Loop: Header=BB2_3430 Depth=3
	v_cmp_ne_u16_sdwa s[44:45], v10, v3 src0_sel:BYTE_0 src1_sel:DWORD
	s_andn2_b64 s[28:29], s[28:29], exec
	s_and_b64 s[44:45], s[44:45], exec
	v_mov_b32_e32 v8, 0
	s_or_b64 s[28:29], s[28:29], s[44:45]
	s_or_b64 exec, exec, s[40:41]
	s_and_saveexec_b64 s[40:41], s[28:29]
	s_cbranch_execnz .LBB2_3655
	s_branch .LBB2_3656
.LBB2_3870:                             ;   in Loop: Header=BB2_3430 Depth=3
	s_or_saveexec_b64 s[36:37], s[36:37]
	v_bfrev_b32_e32 v9, 1
	s_xor_b64 exec, exec, s[36:37]
	s_cbranch_execz .LBB2_3682
.LBB2_3871:                             ;   in Loop: Header=BB2_3430 Depth=3
	v_cmp_ne_u16_e64 s[28:29], 0, v2
	s_andn2_b64 s[40:41], s[40:41], exec
	s_and_b64 s[28:29], s[28:29], exec
	v_mov_b32_e32 v9, 0
	s_or_b64 s[40:41], s[40:41], s[28:29]
	s_or_b64 exec, exec, s[36:37]
	s_and_saveexec_b64 s[36:37], s[40:41]
	s_cbranch_execnz .LBB2_3683
	s_branch .LBB2_3684
.LBB2_3872:                             ;   in Loop: Header=BB2_3430 Depth=3
	s_or_saveexec_b64 s[40:41], s[40:41]
	v_bfrev_b32_e32 v9, 1
	s_xor_b64 exec, exec, s[40:41]
	s_cbranch_execz .LBB2_3710
.LBB2_3873:                             ;   in Loop: Header=BB2_3430 Depth=3
	v_cmp_ne_u16_sdwa s[44:45], v2, v3 src0_sel:BYTE_0 src1_sel:DWORD
	s_andn2_b64 s[28:29], s[28:29], exec
	s_and_b64 s[44:45], s[44:45], exec
	v_mov_b32_e32 v9, 0
	s_or_b64 s[28:29], s[28:29], s[44:45]
	s_or_b64 exec, exec, s[40:41]
	s_and_saveexec_b64 s[40:41], s[28:29]
	s_cbranch_execnz .LBB2_3711
	s_branch .LBB2_3712
.LBB2_3874:                             ;   in Loop: Header=BB2_3430 Depth=3
	s_or_saveexec_b64 s[36:37], s[36:37]
	v_bfrev_b32_e32 v8, 1
	s_xor_b64 exec, exec, s[36:37]
	s_cbranch_execz .LBB2_3790
.LBB2_3875:                             ;   in Loop: Header=BB2_3430 Depth=3
	v_cmp_ne_u16_e64 s[28:29], 0, v2
	s_andn2_b64 s[40:41], s[40:41], exec
	s_and_b64 s[28:29], s[28:29], exec
	v_mov_b32_e32 v8, 0
	s_or_b64 s[40:41], s[40:41], s[28:29]
	s_or_b64 exec, exec, s[36:37]
	s_and_saveexec_b64 s[36:37], s[40:41]
	s_cbranch_execnz .LBB2_3791
	s_branch .LBB2_3792
.LBB2_3876:                             ;   in Loop: Header=BB2_3430 Depth=3
	s_or_saveexec_b64 s[40:41], s[40:41]
	v_bfrev_b32_e32 v9, 1
	s_xor_b64 exec, exec, s[40:41]
	s_cbranch_execz .LBB2_3818
.LBB2_3877:                             ;   in Loop: Header=BB2_3430 Depth=3
	v_cmp_ne_u16_sdwa s[44:45], v2, v3 src0_sel:BYTE_0 src1_sel:DWORD
	s_andn2_b64 s[28:29], s[28:29], exec
	s_and_b64 s[44:45], s[44:45], exec
	v_mov_b32_e32 v9, 0
	s_or_b64 s[28:29], s[28:29], s[44:45]
	s_or_b64 exec, exec, s[40:41]
	s_and_saveexec_b64 s[40:41], s[28:29]
	s_cbranch_execnz .LBB2_3819
	s_branch .LBB2_3820
.LBB2_3878:                             ;   in Loop: Header=BB2_1679 Depth=2
	s_or_b64 exec, exec, s[34:35]
	buffer_load_dword v56, off, s[0:3], s33 offset:148 ; 4-byte Folded Reload
	buffer_load_dword v47, off, s[0:3], s33 offset:144 ; 4-byte Folded Reload
	;; [unrolled: 1-line block ×4, first 2 shown]
.LBB2_3879:                             ;   in Loop: Header=BB2_1679 Depth=2
	s_or_b64 exec, exec, s[30:31]
	v_and_b32_e32 v8, 15, v31
	v_cndmask_b32_e32 v7, v26, v8, vcc
	v_mov_b32_e32 v6, 0
	v_cmp_ne_u32_e64 s[28:29], 0, v7
	s_mov_b64 s[30:31], 0
                                        ; implicit-def: $vgpr21
                                        ; implicit-def: $vgpr2
	s_and_saveexec_b64 s[40:41], s[28:29]
	s_cbranch_execz .LBB2_3881
; %bb.3880:                             ;   in Loop: Header=BB2_1679 Depth=2
	v_sub_u32_e32 v2, v26, v8
	v_cndmask_b32_e32 v2, 0, v2, vcc
	v_cmp_lt_i32_e32 vcc, 0, v40
	s_waitcnt vmcnt(0)
	v_add3_u32 v6, v53, v10, v2
	v_cndmask_b32_e32 v2, 0, v17, vcc
	v_sub_u32_e32 v2, v2, v40
	v_lshl_add_u32 v21, v2, 6, v4
	v_ashrrev_i32_e32 v2, 31, v21
	v_lshrrev_b32_e32 v2, 26, v2
	v_add_u32_e32 v2, v21, v2
	v_ashrrev_i32_e32 v2, 6, v2
	s_mov_b64 s[30:31], exec
.LBB2_3881:                             ;   in Loop: Header=BB2_1679 Depth=2
	s_or_b64 exec, exec, s[40:41]
	s_and_b64 s[30:31], s[30:31], exec
.LBB2_3882:                             ;   in Loop: Header=BB2_1679 Depth=2
	s_or_b64 exec, exec, s[42:43]
	s_and_saveexec_b64 s[40:41], s[30:31]
	s_cbranch_execz .LBB2_4179
.LBB2_3883:                             ;   in Loop: Header=BB2_1679 Depth=2
	v_ashrrev_i32_e32 v4, 31, v7
	v_lshrrev_b32_e32 v4, 23, v4
	v_add_u32_e32 v4, v7, v4
	v_ashrrev_i32_e32 v27, 9, v4
	s_waitcnt vmcnt(0)
	v_sub_u32_e32 v4, v27, v2
	v_ashrrev_i32_e32 v8, 31, v21
	v_cmp_lt_i32_e32 vcc, 0, v4
	v_lshrrev_b32_e32 v26, 26, v8
	s_and_saveexec_b64 s[42:43], vcc
	s_cbranch_execz .LBB2_4143
; %bb.3884:                             ;   in Loop: Header=BB2_1679 Depth=2
	s_trap 2
	ds_read_b64 v[10:11], v0
	buffer_load_dword v12, off, s[0:3], s33 offset:156 ; 4-byte Folded Reload
	buffer_load_dword v13, off, s[0:3], s33 offset:160 ; 4-byte Folded Reload
	v_add_u32_e32 v8, v21, v26
	v_and_b32_e32 v8, 0xffffffc0, v8
	v_sub_u32_e32 v8, v21, v8
	v_lshlrev_b32_e32 v2, 9, v2
	v_add3_u32 v2, v6, v8, v2
	v_ashrrev_i32_e32 v14, 31, v2
	v_add_co_u32_e32 v8, vcc, v2, v42
	v_addc_co_u32_e32 v9, vcc, v14, v43, vcc
	s_waitcnt lgkmcnt(0)
	v_add_co_u32_e32 v10, vcc, v10, v2
	v_addc_co_u32_e32 v11, vcc, v11, v14, vcc
	v_mov_b32_e32 v57, v30
	s_mov_b64 s[30:31], 0
	s_waitcnt vmcnt(1)
	v_add_co_u32_e32 v12, vcc, 0x1c0, v12
	s_waitcnt vmcnt(0)
	v_addc_co_u32_e32 v13, vcc, 0, v13, vcc
	v_add_co_u32_e32 v12, vcc, v12, v2
	v_addc_co_u32_e32 v13, vcc, v13, v14, vcc
	s_branch .LBB2_3886
.LBB2_3885:                             ;   in Loop: Header=BB2_3886 Depth=3
	s_or_b64 exec, exec, s[28:29]
	v_add_co_u32_e32 v14, vcc, 0xfffffe40, v12
	v_addc_co_u32_e32 v15, vcc, -1, v13, vcc
	flat_store_byte v[14:15], v31 glc slc
	v_add_co_u32_e32 v14, vcc, 0xfffffe80, v12
	v_addc_co_u32_e32 v15, vcc, -1, v13, vcc
	flat_store_byte v[14:15], v37 glc slc
	;; [unrolled: 3-line block ×6, first 2 shown]
	v_add_co_u32_e32 v14, vcc, s68, v12
	v_addc_co_u32_e32 v15, vcc, -1, v13, vcc
	v_add_co_u32_e32 v8, vcc, v8, v39
	v_addc_co_u32_e32 v9, vcc, 0, v9, vcc
	v_add_co_u32_e32 v10, vcc, v10, v39
	v_addc_co_u32_e32 v11, vcc, 0, v11, vcc
	v_sub_u32_e32 v4, v4, v17
	v_cmp_gt_i32_e32 vcc, 1, v4
	flat_store_byte v[14:15], v16 glc slc
	flat_store_byte v[12:13], v2 glc slc
	s_or_b64 s[30:31], vcc, s[30:31]
	v_add_co_u32_e32 v12, vcc, v12, v39
	v_addc_co_u32_e32 v13, vcc, 0, v13, vcc
	s_andn2_b64 exec, exec, s[30:31]
	s_cbranch_execz .LBB2_4142
.LBB2_3886:                             ;   Parent Loop BB2_47 Depth=1
                                        ;     Parent Loop BB2_1679 Depth=2
                                        ; =>    This Inner Loop Header: Depth=3
	flat_load_ubyte v40, v[8:9] glc slc
	flat_load_ubyte v45, v[8:9] offset:64 glc slc
	flat_load_ubyte v42, v[8:9] offset:128 glc slc
	;; [unrolled: 1-line block ×7, first 2 shown]
	flat_load_ubyte v14, v[10:11] glc slc
	flat_load_ubyte v37, v[10:11] offset:64 glc slc
	flat_load_ubyte v53, v[10:11] offset:128 glc slc
	;; [unrolled: 1-line block ×7, first 2 shown]
	v_mov_b32_e32 v15, 0
	v_mov_b32_e32 v31, 0
	s_waitcnt vmcnt(0) lgkmcnt(0)
	v_cmp_ne_u16_e32 vcc, 0, v40
	s_and_saveexec_b64 s[28:29], vcc
	s_cbranch_execz .LBB2_3892
; %bb.3887:                             ;   in Loop: Header=BB2_3886 Depth=3
	v_cmp_ne_u16_e32 vcc, s70, v40
	v_bfrev_b32_e32 v31, 1
	s_and_saveexec_b64 s[34:35], vcc
	s_cbranch_execz .LBB2_3891
; %bb.3888:                             ;   in Loop: Header=BB2_3886 Depth=3
	v_and_b32_e32 v2, 0xffff, v40
	v_and_b32_e32 v36, 0x7f, v2
	v_cmp_ne_u32_e32 vcc, s71, v36
	v_mov_b32_e32 v31, 0x7f800001
	s_and_saveexec_b64 s[36:37], vcc
	s_cbranch_execz .LBB2_3890
; %bb.3889:                             ;   in Loop: Header=BB2_3886 Depth=3
	v_and_b32_e32 v31, 7, v2
	v_lshrrev_b32_e32 v41, 3, v36
	v_cmp_gt_u32_e32 vcc, 8, v36
	v_ffbh_u32_e32 v36, v31
	v_min_u32_e32 v36, 32, v36
	v_subrev_u32_e32 v46, 28, v36
	v_lshlrev_b64 v[46:47], v46, v[2:3]
	buffer_load_dword v47, off, s[0:3], s33 offset:144 ; 4-byte Folded Reload
	v_sub_u32_e32 v2, 29, v36
	v_and_b32_e32 v36, 7, v46
	v_cndmask_b32_e32 v2, v41, v2, vcc
	v_cndmask_b32_e32 v31, v31, v36, vcc
	v_lshlrev_b32_e32 v36, 24, v40
	v_lshlrev_b32_e32 v31, 20, v31
	v_and_b32_e32 v36, 0x80000000, v36
	v_lshl_add_u32 v2, v2, 23, v49
	v_or3_b32 v31, v36, v2, v31
.LBB2_3890:                             ;   in Loop: Header=BB2_3886 Depth=3
	s_or_b64 exec, exec, s[36:37]
.LBB2_3891:                             ;   in Loop: Header=BB2_3886 Depth=3
	s_or_b64 exec, exec, s[34:35]
.LBB2_3892:                             ;   in Loop: Header=BB2_3886 Depth=3
	s_or_b64 exec, exec, s[28:29]
	v_and_b32_e32 v2, 0xff, v14
	v_cmp_ne_u16_e32 vcc, 0, v2
	s_and_saveexec_b64 s[28:29], vcc
	s_cbranch_execz .LBB2_3898
; %bb.3893:                             ;   in Loop: Header=BB2_3886 Depth=3
	v_cmp_ne_u16_e32 vcc, s70, v2
	v_bfrev_b32_e32 v15, 1
	s_and_saveexec_b64 s[34:35], vcc
	s_cbranch_execz .LBB2_3897
; %bb.3894:                             ;   in Loop: Header=BB2_3886 Depth=3
	v_and_b32_e32 v36, 0x7f, v14
	v_cmp_ne_u32_e32 vcc, s71, v36
	v_mov_b32_e32 v15, 0x7f800001
	s_and_saveexec_b64 s[36:37], vcc
	s_cbranch_execz .LBB2_3896
; %bb.3895:                             ;   in Loop: Header=BB2_3886 Depth=3
	v_and_b32_e32 v15, 7, v2
	v_lshrrev_b32_e32 v46, 3, v36
	v_cmp_gt_u32_e32 vcc, 8, v36
	v_ffbh_u32_e32 v36, v15
	v_min_u32_e32 v36, 32, v36
	v_subrev_u32_e32 v40, 28, v36
	v_lshlrev_b64 v[40:41], v40, v[2:3]
	v_sub_u32_e32 v2, 29, v36
	v_and_b32_e32 v36, 7, v40
	v_cndmask_b32_e32 v2, v46, v2, vcc
	v_cndmask_b32_e32 v15, v15, v36, vcc
	v_lshlrev_b32_e32 v14, 24, v14
	v_lshlrev_b32_e32 v15, 20, v15
	v_and_b32_e32 v14, 0x80000000, v14
	v_lshl_add_u32 v2, v2, 23, v49
	v_or3_b32 v15, v14, v2, v15
.LBB2_3896:                             ;   in Loop: Header=BB2_3886 Depth=3
	s_or_b64 exec, exec, s[36:37]
.LBB2_3897:                             ;   in Loop: Header=BB2_3886 Depth=3
	s_or_b64 exec, exec, s[34:35]
.LBB2_3898:                             ;   in Loop: Header=BB2_3886 Depth=3
	s_or_b64 exec, exec, s[28:29]
	v_mul_f32_e32 v14, v31, v15
	v_and_b32_e32 v2, 0x7f800000, v14
	v_cmp_ne_u64_e32 vcc, s[62:63], v[2:3]
                                        ; implicit-def: $vgpr31
	s_and_saveexec_b64 s[28:29], vcc
	s_xor_b64 s[34:35], exec, s[28:29]
	s_cbranch_execz .LBB2_3916
; %bb.3899:                             ;   in Loop: Header=BB2_3886 Depth=3
	v_and_b32_e32 v2, 0x7fffffff, v14
	v_cmp_gt_u64_e32 vcc, s[72:73], v[2:3]
	v_and_b32_sdwa v46, v14, s70 dst_sel:DWORD dst_unused:UNUSED_PAD src0_sel:BYTE_3 src1_sel:DWORD
                                        ; implicit-def: $vgpr31
	s_and_saveexec_b64 s[28:29], vcc
	s_xor_b64 s[36:37], exec, s[28:29]
	s_cbranch_execz .LBB2_3913
; %bb.3900:                             ;   in Loop: Header=BB2_3886 Depth=3
	v_cmp_ne_u32_e32 vcc, 0, v14
	v_mov_b32_e32 v31, 0
	s_and_saveexec_b64 s[38:39], vcc
	s_cbranch_execz .LBB2_3912
; %bb.3901:                             ;   in Loop: Header=BB2_3886 Depth=3
	v_bfe_u32 v31, v14, 23, 8
	v_and_b32_e32 v2, 0x7fffff, v14
	v_cmp_gt_u32_e64 s[28:29], s80, v31
	v_sub_u32_e32 v14, 0x79, v31
	v_cmp_eq_u32_e32 vcc, 0, v31
	v_cndmask_b32_e64 v14, 0, v14, s[28:29]
	v_cndmask_b32_e32 v36, v14, v1, vcc
	v_or_b32_e32 v15, 0x800000, v2
	v_add_u32_e32 v14, 20, v36
	v_cndmask_b32_e32 v2, v15, v2, vcc
	v_lshlrev_b64 v[14:15], v14, -1
	v_add_u32_e32 v40, 19, v36
	v_lshlrev_b64 v[40:41], v40, 1
	v_bfi_b32 v15, v15, 0, 0
	v_bfi_b32 v14, v14, 0, v2
	v_cmp_eq_u64_e64 s[28:29], v[14:15], v[40:41]
	v_lshrrev_b64 v[14:15], v36, v[2:3]
	v_mov_b32_e32 v41, v15
	v_mov_b32_e32 v40, v14
	s_and_saveexec_b64 s[48:49], s[28:29]
; %bb.3902:                             ;   in Loop: Header=BB2_3886 Depth=3
	v_bfe_u32 v2, v14, 20, 1
	v_add_co_u32_e64 v2, s[28:29], v14, v2
	v_add_co_u32_e64 v40, s[28:29], -1, v2
; %bb.3903:                             ;   in Loop: Header=BB2_3886 Depth=3
	s_or_b64 exec, exec, s[48:49]
	v_add_u32_e32 v2, 0xffffff81, v31
	v_cndmask_b32_e32 v2, v2, v0, vcc
	v_lshrrev_b32_e32 v15, 23, v14
	v_add3_u32 v41, v36, v2, v15
	v_add_u32_e32 v31, 6, v41
	v_and_b32_e32 v2, 0xfffff, v40
	v_add_u32_e32 v2, v2, v14
	v_cmp_ne_u32_e32 vcc, 0, v31
                                        ; implicit-def: $vgpr14_vgpr15
                                        ; implicit-def: $vgpr36
	s_and_saveexec_b64 s[28:29], vcc
	s_xor_b64 s[28:29], exec, s[28:29]
; %bb.3904:                             ;   in Loop: Header=BB2_3886 Depth=3
	v_cmp_lt_u64_e32 vcc, s[88:89], v[2:3]
	v_add_u32_e32 v14, 7, v41
	v_cndmask_b32_e32 v36, v31, v14, vcc
	v_cndmask_b32_e64 v14, 0, 1, vcc
	v_lshrrev_b64 v[14:15], v14, v[2:3]
; %bb.3905:                             ;   in Loop: Header=BB2_3886 Depth=3
	s_andn2_saveexec_b64 s[28:29], s[28:29]
; %bb.3906:                             ;   in Loop: Header=BB2_3886 Depth=3
	v_mov_b32_e32 v15, v3
	v_bfe_u32 v36, v2, 23, 1
	v_mov_b32_e32 v14, v2
; %bb.3907:                             ;   in Loop: Header=BB2_3886 Depth=3
	s_or_b64 exec, exec, s[28:29]
	v_lshrrev_b64 v[14:15], 20, v[14:15]
	v_cmp_gt_i32_e32 vcc, 16, v36
	v_cndmask_b32_e32 v15, 0, v15, vcc
	v_cndmask_b32_e32 v14, 7, v14, vcc
	v_cmp_ne_u64_e32 vcc, 0, v[14:15]
	v_cmp_ne_u32_e64 s[28:29], 0, v36
	s_or_b64 s[28:29], s[28:29], vcc
                                        ; implicit-def: $vgpr31
	s_and_saveexec_b64 s[44:45], s[28:29]
	s_xor_b64 s[28:29], exec, s[44:45]
; %bb.3908:                             ;   in Loop: Header=BB2_3886 Depth=3
	v_min_i32_e32 v2, 15, v36
	v_lshl_or_b32 v2, v2, 3, v46
	v_and_or_b32 v31, v14, 7, v2
                                        ; implicit-def: $vgpr46
; %bb.3909:                             ;   in Loop: Header=BB2_3886 Depth=3
	s_andn2_saveexec_b64 s[28:29], s[28:29]
; %bb.3910:                             ;   in Loop: Header=BB2_3886 Depth=3
	v_mov_b32_e32 v31, v46
; %bb.3911:                             ;   in Loop: Header=BB2_3886 Depth=3
	s_or_b64 exec, exec, s[28:29]
.LBB2_3912:                             ;   in Loop: Header=BB2_3886 Depth=3
	s_or_b64 exec, exec, s[38:39]
                                        ; implicit-def: $vgpr46
.LBB2_3913:                             ;   in Loop: Header=BB2_3886 Depth=3
	s_andn2_saveexec_b64 s[28:29], s[36:37]
; %bb.3914:                             ;   in Loop: Header=BB2_3886 Depth=3
	v_or_b32_e32 v31, 0x7e, v46
; %bb.3915:                             ;   in Loop: Header=BB2_3886 Depth=3
	s_or_b64 exec, exec, s[28:29]
                                        ; implicit-def: $vgpr14
.LBB2_3916:                             ;   in Loop: Header=BB2_3886 Depth=3
	s_andn2_saveexec_b64 s[28:29], s[34:35]
; %bb.3917:                             ;   in Loop: Header=BB2_3886 Depth=3
	v_or_b32_sdwa v31, v14, s71 dst_sel:DWORD dst_unused:UNUSED_PAD src0_sel:BYTE_3 src1_sel:DWORD
; %bb.3918:                             ;   in Loop: Header=BB2_3886 Depth=3
	s_or_b64 exec, exec, s[28:29]
	v_and_b32_e32 v2, 0xff, v45
	v_cmp_ne_u16_e32 vcc, 0, v2
	v_mov_b32_e32 v14, 0
	v_mov_b32_e32 v15, 0
	s_and_saveexec_b64 s[28:29], vcc
	s_cbranch_execz .LBB2_3924
; %bb.3919:                             ;   in Loop: Header=BB2_3886 Depth=3
	v_cmp_ne_u16_e32 vcc, s70, v2
	v_bfrev_b32_e32 v15, 1
	s_and_saveexec_b64 s[34:35], vcc
	s_cbranch_execz .LBB2_3923
; %bb.3920:                             ;   in Loop: Header=BB2_3886 Depth=3
	v_and_b32_e32 v36, 0x7f, v45
	v_cmp_ne_u32_e32 vcc, s71, v36
	v_mov_b32_e32 v15, 0x7f800001
	s_and_saveexec_b64 s[36:37], vcc
	s_cbranch_execz .LBB2_3922
; %bb.3921:                             ;   in Loop: Header=BB2_3886 Depth=3
	v_and_b32_e32 v15, 7, v2
	v_lshrrev_b32_e32 v46, 3, v36
	v_cmp_gt_u32_e32 vcc, 8, v36
	v_ffbh_u32_e32 v36, v15
	v_min_u32_e32 v36, 32, v36
	v_subrev_u32_e32 v40, 28, v36
	v_lshlrev_b64 v[40:41], v40, v[2:3]
	v_sub_u32_e32 v2, 29, v36
	v_and_b32_e32 v36, 7, v40
	v_cndmask_b32_e32 v2, v46, v2, vcc
	v_cndmask_b32_e32 v15, v15, v36, vcc
	v_lshlrev_b32_e32 v36, 24, v45
	v_lshlrev_b32_e32 v15, 20, v15
	v_and_b32_e32 v36, 0x80000000, v36
	v_lshl_add_u32 v2, v2, 23, v49
	v_or3_b32 v15, v36, v2, v15
.LBB2_3922:                             ;   in Loop: Header=BB2_3886 Depth=3
	s_or_b64 exec, exec, s[36:37]
.LBB2_3923:                             ;   in Loop: Header=BB2_3886 Depth=3
	s_or_b64 exec, exec, s[34:35]
.LBB2_3924:                             ;   in Loop: Header=BB2_3886 Depth=3
	s_or_b64 exec, exec, s[28:29]
	v_and_b32_e32 v2, 0xff, v37
	v_cmp_ne_u16_e32 vcc, 0, v2
	s_and_saveexec_b64 s[28:29], vcc
	s_cbranch_execz .LBB2_3930
; %bb.3925:                             ;   in Loop: Header=BB2_3886 Depth=3
	v_cmp_ne_u16_e32 vcc, s70, v2
	v_bfrev_b32_e32 v14, 1
	s_and_saveexec_b64 s[34:35], vcc
	s_cbranch_execz .LBB2_3929
; %bb.3926:                             ;   in Loop: Header=BB2_3886 Depth=3
	v_and_b32_e32 v36, 0x7f, v37
	v_cmp_ne_u32_e32 vcc, s71, v36
	v_mov_b32_e32 v14, 0x7f800001
	s_and_saveexec_b64 s[36:37], vcc
	s_cbranch_execz .LBB2_3928
; %bb.3927:                             ;   in Loop: Header=BB2_3886 Depth=3
	v_and_b32_e32 v14, 7, v2
	v_lshrrev_b32_e32 v45, 3, v36
	v_cmp_gt_u32_e32 vcc, 8, v36
	v_ffbh_u32_e32 v36, v14
	v_min_u32_e32 v36, 32, v36
	v_subrev_u32_e32 v40, 28, v36
	v_lshlrev_b64 v[40:41], v40, v[2:3]
	v_sub_u32_e32 v2, 29, v36
	v_and_b32_e32 v36, 7, v40
	v_cndmask_b32_e32 v2, v45, v2, vcc
	v_cndmask_b32_e32 v14, v14, v36, vcc
	v_lshlrev_b32_e32 v36, 24, v37
	v_lshlrev_b32_e32 v14, 20, v14
	v_and_b32_e32 v36, 0x80000000, v36
	v_lshl_add_u32 v2, v2, 23, v49
	v_or3_b32 v14, v36, v2, v14
.LBB2_3928:                             ;   in Loop: Header=BB2_3886 Depth=3
	s_or_b64 exec, exec, s[36:37]
.LBB2_3929:                             ;   in Loop: Header=BB2_3886 Depth=3
	s_or_b64 exec, exec, s[34:35]
.LBB2_3930:                             ;   in Loop: Header=BB2_3886 Depth=3
	s_or_b64 exec, exec, s[28:29]
	v_mul_f32_e32 v14, v15, v14
	v_and_b32_e32 v2, 0x7f800000, v14
	v_cmp_ne_u64_e32 vcc, s[62:63], v[2:3]
                                        ; implicit-def: $vgpr37
	s_and_saveexec_b64 s[28:29], vcc
	s_xor_b64 s[34:35], exec, s[28:29]
	s_cbranch_execz .LBB2_3948
; %bb.3931:                             ;   in Loop: Header=BB2_3886 Depth=3
	v_and_b32_e32 v2, 0x7fffffff, v14
	v_cmp_gt_u64_e32 vcc, s[72:73], v[2:3]
	v_and_b32_sdwa v45, v14, s70 dst_sel:DWORD dst_unused:UNUSED_PAD src0_sel:BYTE_3 src1_sel:DWORD
                                        ; implicit-def: $vgpr37
	s_and_saveexec_b64 s[28:29], vcc
	s_xor_b64 s[36:37], exec, s[28:29]
	s_cbranch_execz .LBB2_3945
; %bb.3932:                             ;   in Loop: Header=BB2_3886 Depth=3
	v_cmp_ne_u32_e32 vcc, 0, v14
	v_mov_b32_e32 v37, 0
	s_and_saveexec_b64 s[38:39], vcc
	s_cbranch_execz .LBB2_3944
; %bb.3933:                             ;   in Loop: Header=BB2_3886 Depth=3
	v_bfe_u32 v37, v14, 23, 8
	v_and_b32_e32 v2, 0x7fffff, v14
	v_cmp_gt_u32_e64 s[28:29], s80, v37
	v_sub_u32_e32 v14, 0x79, v37
	v_cmp_eq_u32_e32 vcc, 0, v37
	v_cndmask_b32_e64 v14, 0, v14, s[28:29]
	v_cndmask_b32_e32 v36, v14, v1, vcc
	v_or_b32_e32 v15, 0x800000, v2
	v_add_u32_e32 v14, 20, v36
	v_cndmask_b32_e32 v2, v15, v2, vcc
	v_lshlrev_b64 v[14:15], v14, -1
	v_add_u32_e32 v40, 19, v36
	v_lshlrev_b64 v[40:41], v40, 1
	v_bfi_b32 v15, v15, 0, 0
	v_bfi_b32 v14, v14, 0, v2
	v_cmp_eq_u64_e64 s[28:29], v[14:15], v[40:41]
	v_lshrrev_b64 v[14:15], v36, v[2:3]
	v_mov_b32_e32 v41, v15
	v_mov_b32_e32 v40, v14
	s_and_saveexec_b64 s[48:49], s[28:29]
; %bb.3934:                             ;   in Loop: Header=BB2_3886 Depth=3
	v_bfe_u32 v2, v14, 20, 1
	v_add_co_u32_e64 v2, s[28:29], v14, v2
	v_add_co_u32_e64 v40, s[28:29], -1, v2
; %bb.3935:                             ;   in Loop: Header=BB2_3886 Depth=3
	s_or_b64 exec, exec, s[48:49]
	v_add_u32_e32 v2, 0xffffff81, v37
	v_cndmask_b32_e32 v2, v2, v0, vcc
	v_lshrrev_b32_e32 v15, 23, v14
	v_add3_u32 v41, v36, v2, v15
	v_add_u32_e32 v37, 6, v41
	v_and_b32_e32 v2, 0xfffff, v40
	v_add_u32_e32 v2, v2, v14
	v_cmp_ne_u32_e32 vcc, 0, v37
                                        ; implicit-def: $vgpr14_vgpr15
                                        ; implicit-def: $vgpr36
	s_and_saveexec_b64 s[28:29], vcc
	s_xor_b64 s[28:29], exec, s[28:29]
; %bb.3936:                             ;   in Loop: Header=BB2_3886 Depth=3
	v_cmp_lt_u64_e32 vcc, s[88:89], v[2:3]
	v_add_u32_e32 v14, 7, v41
	v_cndmask_b32_e32 v36, v37, v14, vcc
	v_cndmask_b32_e64 v14, 0, 1, vcc
	v_lshrrev_b64 v[14:15], v14, v[2:3]
; %bb.3937:                             ;   in Loop: Header=BB2_3886 Depth=3
	s_andn2_saveexec_b64 s[28:29], s[28:29]
; %bb.3938:                             ;   in Loop: Header=BB2_3886 Depth=3
	v_mov_b32_e32 v15, v3
	v_bfe_u32 v36, v2, 23, 1
	v_mov_b32_e32 v14, v2
; %bb.3939:                             ;   in Loop: Header=BB2_3886 Depth=3
	s_or_b64 exec, exec, s[28:29]
	v_lshrrev_b64 v[14:15], 20, v[14:15]
	v_cmp_gt_i32_e32 vcc, 16, v36
	v_cndmask_b32_e32 v15, 0, v15, vcc
	v_cndmask_b32_e32 v14, 7, v14, vcc
	v_cmp_ne_u64_e32 vcc, 0, v[14:15]
	v_cmp_ne_u32_e64 s[28:29], 0, v36
	s_or_b64 s[28:29], s[28:29], vcc
                                        ; implicit-def: $vgpr37
	s_and_saveexec_b64 s[44:45], s[28:29]
	s_xor_b64 s[28:29], exec, s[44:45]
; %bb.3940:                             ;   in Loop: Header=BB2_3886 Depth=3
	v_min_i32_e32 v2, 15, v36
	v_lshl_or_b32 v2, v2, 3, v45
	v_and_or_b32 v37, v14, 7, v2
                                        ; implicit-def: $vgpr45
; %bb.3941:                             ;   in Loop: Header=BB2_3886 Depth=3
	s_andn2_saveexec_b64 s[28:29], s[28:29]
; %bb.3942:                             ;   in Loop: Header=BB2_3886 Depth=3
	v_mov_b32_e32 v37, v45
; %bb.3943:                             ;   in Loop: Header=BB2_3886 Depth=3
	s_or_b64 exec, exec, s[28:29]
.LBB2_3944:                             ;   in Loop: Header=BB2_3886 Depth=3
	s_or_b64 exec, exec, s[38:39]
                                        ; implicit-def: $vgpr45
.LBB2_3945:                             ;   in Loop: Header=BB2_3886 Depth=3
	s_andn2_saveexec_b64 s[28:29], s[36:37]
; %bb.3946:                             ;   in Loop: Header=BB2_3886 Depth=3
	v_or_b32_e32 v37, 0x7e, v45
; %bb.3947:                             ;   in Loop: Header=BB2_3886 Depth=3
	s_or_b64 exec, exec, s[28:29]
                                        ; implicit-def: $vgpr14
.LBB2_3948:                             ;   in Loop: Header=BB2_3886 Depth=3
	s_andn2_saveexec_b64 s[28:29], s[34:35]
; %bb.3949:                             ;   in Loop: Header=BB2_3886 Depth=3
	v_or_b32_sdwa v37, v14, s71 dst_sel:DWORD dst_unused:UNUSED_PAD src0_sel:BYTE_3 src1_sel:DWORD
; %bb.3950:                             ;   in Loop: Header=BB2_3886 Depth=3
	s_or_b64 exec, exec, s[28:29]
	v_and_b32_e32 v2, 0xff, v42
	v_cmp_ne_u16_e32 vcc, 0, v2
	v_mov_b32_e32 v14, 0
	v_mov_b32_e32 v15, 0
	s_and_saveexec_b64 s[28:29], vcc
	s_cbranch_execz .LBB2_3956
; %bb.3951:                             ;   in Loop: Header=BB2_3886 Depth=3
	v_cmp_ne_u16_e32 vcc, s70, v2
	v_bfrev_b32_e32 v15, 1
	s_and_saveexec_b64 s[34:35], vcc
	s_cbranch_execz .LBB2_3955
; %bb.3952:                             ;   in Loop: Header=BB2_3886 Depth=3
	v_and_b32_e32 v36, 0x7f, v42
	v_cmp_ne_u32_e32 vcc, s71, v36
	v_mov_b32_e32 v15, 0x7f800001
	s_and_saveexec_b64 s[36:37], vcc
	s_cbranch_execz .LBB2_3954
; %bb.3953:                             ;   in Loop: Header=BB2_3886 Depth=3
	v_and_b32_e32 v15, 7, v2
	v_lshrrev_b32_e32 v45, 3, v36
	v_cmp_gt_u32_e32 vcc, 8, v36
	v_ffbh_u32_e32 v36, v15
	v_min_u32_e32 v36, 32, v36
	v_subrev_u32_e32 v40, 28, v36
	v_lshlrev_b64 v[40:41], v40, v[2:3]
	v_sub_u32_e32 v2, 29, v36
	v_and_b32_e32 v36, 7, v40
	v_cndmask_b32_e32 v2, v45, v2, vcc
	v_cndmask_b32_e32 v15, v15, v36, vcc
	v_lshlrev_b32_e32 v36, 24, v42
	v_lshlrev_b32_e32 v15, 20, v15
	v_and_b32_e32 v36, 0x80000000, v36
	v_lshl_add_u32 v2, v2, 23, v49
	v_or3_b32 v15, v36, v2, v15
.LBB2_3954:                             ;   in Loop: Header=BB2_3886 Depth=3
	s_or_b64 exec, exec, s[36:37]
.LBB2_3955:                             ;   in Loop: Header=BB2_3886 Depth=3
	s_or_b64 exec, exec, s[34:35]
.LBB2_3956:                             ;   in Loop: Header=BB2_3886 Depth=3
	s_or_b64 exec, exec, s[28:29]
	v_and_b32_e32 v2, 0xff, v53
	v_cmp_ne_u16_e32 vcc, 0, v2
	s_and_saveexec_b64 s[28:29], vcc
	s_cbranch_execz .LBB2_3962
; %bb.3957:                             ;   in Loop: Header=BB2_3886 Depth=3
	v_cmp_ne_u16_e32 vcc, s70, v2
	v_bfrev_b32_e32 v14, 1
	s_and_saveexec_b64 s[34:35], vcc
	s_cbranch_execz .LBB2_3961
; %bb.3958:                             ;   in Loop: Header=BB2_3886 Depth=3
	v_and_b32_e32 v36, 0x7f, v53
	v_cmp_ne_u32_e32 vcc, s71, v36
	v_mov_b32_e32 v14, 0x7f800001
	s_and_saveexec_b64 s[36:37], vcc
	s_cbranch_execz .LBB2_3960
; %bb.3959:                             ;   in Loop: Header=BB2_3886 Depth=3
	v_and_b32_e32 v14, 7, v2
	v_lshrrev_b32_e32 v42, 3, v36
	v_cmp_gt_u32_e32 vcc, 8, v36
	v_ffbh_u32_e32 v36, v14
	v_min_u32_e32 v36, 32, v36
	v_subrev_u32_e32 v40, 28, v36
	v_lshlrev_b64 v[40:41], v40, v[2:3]
	v_sub_u32_e32 v2, 29, v36
	v_and_b32_e32 v36, 7, v40
	v_cndmask_b32_e32 v2, v42, v2, vcc
	v_cndmask_b32_e32 v14, v14, v36, vcc
	v_lshlrev_b32_e32 v36, 24, v53
	v_lshlrev_b32_e32 v14, 20, v14
	v_and_b32_e32 v36, 0x80000000, v36
	v_lshl_add_u32 v2, v2, 23, v49
	v_or3_b32 v14, v36, v2, v14
.LBB2_3960:                             ;   in Loop: Header=BB2_3886 Depth=3
	s_or_b64 exec, exec, s[36:37]
.LBB2_3961:                             ;   in Loop: Header=BB2_3886 Depth=3
	s_or_b64 exec, exec, s[34:35]
.LBB2_3962:                             ;   in Loop: Header=BB2_3886 Depth=3
	s_or_b64 exec, exec, s[28:29]
	v_mul_f32_e32 v14, v15, v14
	v_and_b32_e32 v2, 0x7f800000, v14
	v_cmp_ne_u64_e32 vcc, s[62:63], v[2:3]
                                        ; implicit-def: $vgpr53
	s_and_saveexec_b64 s[28:29], vcc
	s_xor_b64 s[34:35], exec, s[28:29]
	s_cbranch_execz .LBB2_3980
; %bb.3963:                             ;   in Loop: Header=BB2_3886 Depth=3
	v_and_b32_e32 v2, 0x7fffffff, v14
	v_cmp_gt_u64_e32 vcc, s[72:73], v[2:3]
	v_and_b32_sdwa v42, v14, s70 dst_sel:DWORD dst_unused:UNUSED_PAD src0_sel:BYTE_3 src1_sel:DWORD
                                        ; implicit-def: $vgpr53
	s_and_saveexec_b64 s[28:29], vcc
	s_xor_b64 s[36:37], exec, s[28:29]
	s_cbranch_execz .LBB2_3977
; %bb.3964:                             ;   in Loop: Header=BB2_3886 Depth=3
	v_cmp_ne_u32_e32 vcc, 0, v14
	v_mov_b32_e32 v53, 0
	s_and_saveexec_b64 s[38:39], vcc
	s_cbranch_execz .LBB2_3976
; %bb.3965:                             ;   in Loop: Header=BB2_3886 Depth=3
	v_bfe_u32 v53, v14, 23, 8
	v_and_b32_e32 v2, 0x7fffff, v14
	v_cmp_gt_u32_e64 s[28:29], s80, v53
	v_sub_u32_e32 v14, 0x79, v53
	v_cmp_eq_u32_e32 vcc, 0, v53
	v_cndmask_b32_e64 v14, 0, v14, s[28:29]
	v_cndmask_b32_e32 v36, v14, v1, vcc
	v_or_b32_e32 v15, 0x800000, v2
	v_add_u32_e32 v14, 20, v36
	v_cndmask_b32_e32 v2, v15, v2, vcc
	v_lshlrev_b64 v[14:15], v14, -1
	v_add_u32_e32 v40, 19, v36
	v_lshlrev_b64 v[40:41], v40, 1
	v_bfi_b32 v15, v15, 0, 0
	v_bfi_b32 v14, v14, 0, v2
	v_cmp_eq_u64_e64 s[28:29], v[14:15], v[40:41]
	v_lshrrev_b64 v[14:15], v36, v[2:3]
	v_mov_b32_e32 v41, v15
	v_mov_b32_e32 v40, v14
	s_and_saveexec_b64 s[48:49], s[28:29]
; %bb.3966:                             ;   in Loop: Header=BB2_3886 Depth=3
	v_bfe_u32 v2, v14, 20, 1
	v_add_co_u32_e64 v2, s[28:29], v14, v2
	v_add_co_u32_e64 v40, s[28:29], -1, v2
; %bb.3967:                             ;   in Loop: Header=BB2_3886 Depth=3
	s_or_b64 exec, exec, s[48:49]
	v_add_u32_e32 v2, 0xffffff81, v53
	v_cndmask_b32_e32 v2, v2, v0, vcc
	v_lshrrev_b32_e32 v15, 23, v14
	v_add3_u32 v41, v36, v2, v15
	v_add_u32_e32 v53, 6, v41
	v_and_b32_e32 v2, 0xfffff, v40
	v_add_u32_e32 v2, v2, v14
	v_cmp_ne_u32_e32 vcc, 0, v53
                                        ; implicit-def: $vgpr14_vgpr15
                                        ; implicit-def: $vgpr36
	s_and_saveexec_b64 s[28:29], vcc
	s_xor_b64 s[28:29], exec, s[28:29]
; %bb.3968:                             ;   in Loop: Header=BB2_3886 Depth=3
	v_cmp_lt_u64_e32 vcc, s[88:89], v[2:3]
	v_add_u32_e32 v14, 7, v41
	v_cndmask_b32_e32 v36, v53, v14, vcc
	v_cndmask_b32_e64 v14, 0, 1, vcc
	v_lshrrev_b64 v[14:15], v14, v[2:3]
; %bb.3969:                             ;   in Loop: Header=BB2_3886 Depth=3
	s_andn2_saveexec_b64 s[28:29], s[28:29]
; %bb.3970:                             ;   in Loop: Header=BB2_3886 Depth=3
	v_mov_b32_e32 v15, v3
	v_bfe_u32 v36, v2, 23, 1
	v_mov_b32_e32 v14, v2
; %bb.3971:                             ;   in Loop: Header=BB2_3886 Depth=3
	s_or_b64 exec, exec, s[28:29]
	v_lshrrev_b64 v[14:15], 20, v[14:15]
	v_cmp_gt_i32_e32 vcc, 16, v36
	v_cndmask_b32_e32 v15, 0, v15, vcc
	v_cndmask_b32_e32 v14, 7, v14, vcc
	v_cmp_ne_u64_e32 vcc, 0, v[14:15]
	v_cmp_ne_u32_e64 s[28:29], 0, v36
	s_or_b64 s[28:29], s[28:29], vcc
                                        ; implicit-def: $vgpr53
	s_and_saveexec_b64 s[44:45], s[28:29]
	s_xor_b64 s[28:29], exec, s[44:45]
; %bb.3972:                             ;   in Loop: Header=BB2_3886 Depth=3
	v_min_i32_e32 v2, 15, v36
	v_lshl_or_b32 v2, v2, 3, v42
	v_and_or_b32 v53, v14, 7, v2
                                        ; implicit-def: $vgpr42
; %bb.3973:                             ;   in Loop: Header=BB2_3886 Depth=3
	s_andn2_saveexec_b64 s[28:29], s[28:29]
; %bb.3974:                             ;   in Loop: Header=BB2_3886 Depth=3
	v_mov_b32_e32 v53, v42
; %bb.3975:                             ;   in Loop: Header=BB2_3886 Depth=3
	s_or_b64 exec, exec, s[28:29]
.LBB2_3976:                             ;   in Loop: Header=BB2_3886 Depth=3
	s_or_b64 exec, exec, s[38:39]
                                        ; implicit-def: $vgpr42
.LBB2_3977:                             ;   in Loop: Header=BB2_3886 Depth=3
	s_andn2_saveexec_b64 s[28:29], s[36:37]
; %bb.3978:                             ;   in Loop: Header=BB2_3886 Depth=3
	v_or_b32_e32 v53, 0x7e, v42
; %bb.3979:                             ;   in Loop: Header=BB2_3886 Depth=3
	s_or_b64 exec, exec, s[28:29]
                                        ; implicit-def: $vgpr14
.LBB2_3980:                             ;   in Loop: Header=BB2_3886 Depth=3
	s_andn2_saveexec_b64 s[28:29], s[34:35]
; %bb.3981:                             ;   in Loop: Header=BB2_3886 Depth=3
	v_or_b32_sdwa v53, v14, s71 dst_sel:DWORD dst_unused:UNUSED_PAD src0_sel:BYTE_3 src1_sel:DWORD
; %bb.3982:                             ;   in Loop: Header=BB2_3886 Depth=3
	s_or_b64 exec, exec, s[28:29]
	v_and_b32_e32 v2, 0xff, v25
	v_cmp_ne_u16_e32 vcc, 0, v2
	v_mov_b32_e32 v14, 0
	v_mov_b32_e32 v15, 0
	s_and_saveexec_b64 s[28:29], vcc
	s_cbranch_execz .LBB2_3988
; %bb.3983:                             ;   in Loop: Header=BB2_3886 Depth=3
	v_cmp_ne_u16_e32 vcc, s70, v2
	v_bfrev_b32_e32 v15, 1
	s_and_saveexec_b64 s[34:35], vcc
	s_cbranch_execz .LBB2_3987
; %bb.3984:                             ;   in Loop: Header=BB2_3886 Depth=3
	v_and_b32_e32 v36, 0x7f, v25
	v_cmp_ne_u32_e32 vcc, s71, v36
	v_mov_b32_e32 v15, 0x7f800001
	s_and_saveexec_b64 s[36:37], vcc
	s_cbranch_execz .LBB2_3986
; %bb.3985:                             ;   in Loop: Header=BB2_3886 Depth=3
	v_and_b32_e32 v15, 7, v2
	v_lshrrev_b32_e32 v42, 3, v36
	v_cmp_gt_u32_e32 vcc, 8, v36
	v_ffbh_u32_e32 v36, v15
	v_min_u32_e32 v36, 32, v36
	v_subrev_u32_e32 v40, 28, v36
	v_lshlrev_b64 v[40:41], v40, v[2:3]
	v_sub_u32_e32 v2, 29, v36
	v_and_b32_e32 v36, 7, v40
	v_cndmask_b32_e32 v2, v42, v2, vcc
	v_cndmask_b32_e32 v15, v15, v36, vcc
	v_lshlrev_b32_e32 v25, 24, v25
	v_lshlrev_b32_e32 v15, 20, v15
	v_and_b32_e32 v25, 0x80000000, v25
	v_lshl_add_u32 v2, v2, 23, v49
	v_or3_b32 v15, v25, v2, v15
.LBB2_3986:                             ;   in Loop: Header=BB2_3886 Depth=3
	s_or_b64 exec, exec, s[36:37]
.LBB2_3987:                             ;   in Loop: Header=BB2_3886 Depth=3
	s_or_b64 exec, exec, s[34:35]
.LBB2_3988:                             ;   in Loop: Header=BB2_3886 Depth=3
	s_or_b64 exec, exec, s[28:29]
	v_and_b32_e32 v2, 0xff, v24
	v_cmp_ne_u16_e32 vcc, 0, v2
	s_and_saveexec_b64 s[28:29], vcc
	s_cbranch_execz .LBB2_3994
; %bb.3989:                             ;   in Loop: Header=BB2_3886 Depth=3
	v_cmp_ne_u16_e32 vcc, s70, v2
	v_bfrev_b32_e32 v14, 1
	s_and_saveexec_b64 s[34:35], vcc
	s_cbranch_execz .LBB2_3993
; %bb.3990:                             ;   in Loop: Header=BB2_3886 Depth=3
	v_and_b32_e32 v25, 0x7f, v24
	v_cmp_ne_u32_e32 vcc, s71, v25
	v_mov_b32_e32 v14, 0x7f800001
	s_and_saveexec_b64 s[36:37], vcc
	s_cbranch_execz .LBB2_3992
; %bb.3991:                             ;   in Loop: Header=BB2_3886 Depth=3
	v_and_b32_e32 v14, 7, v2
	v_lshrrev_b32_e32 v36, 3, v25
	v_cmp_gt_u32_e32 vcc, 8, v25
	v_ffbh_u32_e32 v25, v14
	v_min_u32_e32 v25, 32, v25
	v_subrev_u32_e32 v40, 28, v25
	v_lshlrev_b64 v[40:41], v40, v[2:3]
	v_sub_u32_e32 v2, 29, v25
	v_and_b32_e32 v25, 7, v40
	v_cndmask_b32_e32 v2, v36, v2, vcc
	v_cndmask_b32_e32 v14, v14, v25, vcc
	v_lshlrev_b32_e32 v24, 24, v24
	v_lshlrev_b32_e32 v14, 20, v14
	v_and_b32_e32 v24, 0x80000000, v24
	v_lshl_add_u32 v2, v2, 23, v49
	v_or3_b32 v14, v24, v2, v14
.LBB2_3992:                             ;   in Loop: Header=BB2_3886 Depth=3
	s_or_b64 exec, exec, s[36:37]
.LBB2_3993:                             ;   in Loop: Header=BB2_3886 Depth=3
	s_or_b64 exec, exec, s[34:35]
.LBB2_3994:                             ;   in Loop: Header=BB2_3886 Depth=3
	s_or_b64 exec, exec, s[28:29]
	v_mul_f32_e32 v14, v15, v14
	v_and_b32_e32 v2, 0x7f800000, v14
	v_cmp_ne_u64_e32 vcc, s[62:63], v[2:3]
                                        ; implicit-def: $vgpr42
	s_and_saveexec_b64 s[28:29], vcc
	s_xor_b64 s[34:35], exec, s[28:29]
	s_cbranch_execz .LBB2_4012
; %bb.3995:                             ;   in Loop: Header=BB2_3886 Depth=3
	v_and_b32_e32 v2, 0x7fffffff, v14
	v_cmp_gt_u64_e32 vcc, s[72:73], v[2:3]
	v_and_b32_sdwa v24, v14, s70 dst_sel:DWORD dst_unused:UNUSED_PAD src0_sel:BYTE_3 src1_sel:DWORD
                                        ; implicit-def: $vgpr42
	s_and_saveexec_b64 s[28:29], vcc
	s_xor_b64 s[36:37], exec, s[28:29]
	s_cbranch_execz .LBB2_4009
; %bb.3996:                             ;   in Loop: Header=BB2_3886 Depth=3
	v_cmp_ne_u32_e32 vcc, 0, v14
	v_mov_b32_e32 v42, 0
	s_and_saveexec_b64 s[38:39], vcc
	s_cbranch_execz .LBB2_4008
; %bb.3997:                             ;   in Loop: Header=BB2_3886 Depth=3
	v_bfe_u32 v25, v14, 23, 8
	v_and_b32_e32 v2, 0x7fffff, v14
	v_cmp_gt_u32_e64 s[28:29], s80, v25
	v_sub_u32_e32 v14, 0x79, v25
	v_cmp_eq_u32_e32 vcc, 0, v25
	v_cndmask_b32_e64 v14, 0, v14, s[28:29]
	v_cndmask_b32_e32 v36, v14, v1, vcc
	v_or_b32_e32 v15, 0x800000, v2
	v_add_u32_e32 v14, 20, v36
	v_cndmask_b32_e32 v2, v15, v2, vcc
	v_lshlrev_b64 v[14:15], v14, -1
	v_add_u32_e32 v40, 19, v36
	v_lshlrev_b64 v[40:41], v40, 1
	v_bfi_b32 v15, v15, 0, 0
	v_bfi_b32 v14, v14, 0, v2
	v_cmp_eq_u64_e64 s[28:29], v[14:15], v[40:41]
	v_lshrrev_b64 v[14:15], v36, v[2:3]
	v_mov_b32_e32 v41, v15
	v_mov_b32_e32 v40, v14
	s_and_saveexec_b64 s[48:49], s[28:29]
; %bb.3998:                             ;   in Loop: Header=BB2_3886 Depth=3
	v_bfe_u32 v2, v14, 20, 1
	v_add_co_u32_e64 v2, s[28:29], v14, v2
	v_add_co_u32_e64 v40, s[28:29], -1, v2
; %bb.3999:                             ;   in Loop: Header=BB2_3886 Depth=3
	s_or_b64 exec, exec, s[48:49]
	v_add_u32_e32 v2, 0xffffff81, v25
	v_cndmask_b32_e32 v2, v2, v0, vcc
	v_lshrrev_b32_e32 v15, 23, v14
	v_add3_u32 v41, v36, v2, v15
	v_add_u32_e32 v36, 6, v41
	v_and_b32_e32 v2, 0xfffff, v40
	v_add_u32_e32 v2, v2, v14
	v_cmp_ne_u32_e32 vcc, 0, v36
                                        ; implicit-def: $vgpr14_vgpr15
                                        ; implicit-def: $vgpr25
	s_and_saveexec_b64 s[28:29], vcc
	s_xor_b64 s[28:29], exec, s[28:29]
; %bb.4000:                             ;   in Loop: Header=BB2_3886 Depth=3
	v_cmp_lt_u64_e32 vcc, s[88:89], v[2:3]
	v_add_u32_e32 v14, 7, v41
	v_cndmask_b32_e32 v25, v36, v14, vcc
	v_cndmask_b32_e64 v14, 0, 1, vcc
	v_lshrrev_b64 v[14:15], v14, v[2:3]
; %bb.4001:                             ;   in Loop: Header=BB2_3886 Depth=3
	s_andn2_saveexec_b64 s[28:29], s[28:29]
; %bb.4002:                             ;   in Loop: Header=BB2_3886 Depth=3
	v_mov_b32_e32 v15, v3
	v_bfe_u32 v25, v2, 23, 1
	v_mov_b32_e32 v14, v2
; %bb.4003:                             ;   in Loop: Header=BB2_3886 Depth=3
	s_or_b64 exec, exec, s[28:29]
	v_lshrrev_b64 v[14:15], 20, v[14:15]
	v_cmp_gt_i32_e32 vcc, 16, v25
	v_cndmask_b32_e32 v15, 0, v15, vcc
	v_cndmask_b32_e32 v14, 7, v14, vcc
	v_cmp_ne_u64_e32 vcc, 0, v[14:15]
	v_cmp_ne_u32_e64 s[28:29], 0, v25
	s_or_b64 s[28:29], s[28:29], vcc
                                        ; implicit-def: $vgpr42
	s_and_saveexec_b64 s[44:45], s[28:29]
	s_xor_b64 s[28:29], exec, s[44:45]
; %bb.4004:                             ;   in Loop: Header=BB2_3886 Depth=3
	v_min_i32_e32 v2, 15, v25
	v_lshl_or_b32 v2, v2, 3, v24
	v_and_or_b32 v42, v14, 7, v2
                                        ; implicit-def: $vgpr24
; %bb.4005:                             ;   in Loop: Header=BB2_3886 Depth=3
	s_andn2_saveexec_b64 s[28:29], s[28:29]
; %bb.4006:                             ;   in Loop: Header=BB2_3886 Depth=3
	v_mov_b32_e32 v42, v24
; %bb.4007:                             ;   in Loop: Header=BB2_3886 Depth=3
	s_or_b64 exec, exec, s[28:29]
.LBB2_4008:                             ;   in Loop: Header=BB2_3886 Depth=3
	s_or_b64 exec, exec, s[38:39]
                                        ; implicit-def: $vgpr24
.LBB2_4009:                             ;   in Loop: Header=BB2_3886 Depth=3
	s_andn2_saveexec_b64 s[28:29], s[36:37]
; %bb.4010:                             ;   in Loop: Header=BB2_3886 Depth=3
	v_or_b32_e32 v42, 0x7e, v24
; %bb.4011:                             ;   in Loop: Header=BB2_3886 Depth=3
	s_or_b64 exec, exec, s[28:29]
                                        ; implicit-def: $vgpr14
.LBB2_4012:                             ;   in Loop: Header=BB2_3886 Depth=3
	s_andn2_saveexec_b64 s[28:29], s[34:35]
; %bb.4013:                             ;   in Loop: Header=BB2_3886 Depth=3
	v_or_b32_sdwa v42, v14, s71 dst_sel:DWORD dst_unused:UNUSED_PAD src0_sel:BYTE_3 src1_sel:DWORD
; %bb.4014:                             ;   in Loop: Header=BB2_3886 Depth=3
	s_or_b64 exec, exec, s[28:29]
	v_and_b32_e32 v2, 0xff, v44
	v_cmp_ne_u16_e32 vcc, 0, v2
	v_mov_b32_e32 v14, 0
	v_mov_b32_e32 v15, 0
	s_and_saveexec_b64 s[28:29], vcc
	s_cbranch_execz .LBB2_4020
; %bb.4015:                             ;   in Loop: Header=BB2_3886 Depth=3
	v_cmp_ne_u16_e32 vcc, s70, v2
	v_bfrev_b32_e32 v15, 1
	s_and_saveexec_b64 s[34:35], vcc
	s_cbranch_execz .LBB2_4019
; %bb.4016:                             ;   in Loop: Header=BB2_3886 Depth=3
	v_and_b32_e32 v24, 0x7f, v44
	v_cmp_ne_u32_e32 vcc, s71, v24
	v_mov_b32_e32 v15, 0x7f800001
	s_and_saveexec_b64 s[36:37], vcc
	s_cbranch_execz .LBB2_4018
; %bb.4017:                             ;   in Loop: Header=BB2_3886 Depth=3
	v_and_b32_e32 v15, 7, v2
	v_lshrrev_b32_e32 v36, 3, v24
	v_cmp_gt_u32_e32 vcc, 8, v24
	v_ffbh_u32_e32 v24, v15
	v_min_u32_e32 v40, 32, v24
	v_subrev_u32_e32 v24, 28, v40
	v_lshlrev_b64 v[24:25], v24, v[2:3]
	v_sub_u32_e32 v2, 29, v40
	v_and_b32_e32 v24, 7, v24
	v_cndmask_b32_e32 v2, v36, v2, vcc
	v_cndmask_b32_e32 v15, v15, v24, vcc
	v_lshlrev_b32_e32 v24, 24, v44
	v_lshlrev_b32_e32 v15, 20, v15
	v_and_b32_e32 v24, 0x80000000, v24
	v_lshl_add_u32 v2, v2, 23, v49
	v_or3_b32 v15, v24, v2, v15
.LBB2_4018:                             ;   in Loop: Header=BB2_3886 Depth=3
	s_or_b64 exec, exec, s[36:37]
.LBB2_4019:                             ;   in Loop: Header=BB2_3886 Depth=3
	s_or_b64 exec, exec, s[34:35]
.LBB2_4020:                             ;   in Loop: Header=BB2_3886 Depth=3
	s_or_b64 exec, exec, s[28:29]
	v_and_b32_e32 v2, 0xff, v43
	v_cmp_ne_u16_e32 vcc, 0, v2
	s_and_saveexec_b64 s[28:29], vcc
	s_cbranch_execz .LBB2_4026
; %bb.4021:                             ;   in Loop: Header=BB2_3886 Depth=3
	v_cmp_ne_u16_e32 vcc, s70, v2
	v_bfrev_b32_e32 v14, 1
	s_and_saveexec_b64 s[34:35], vcc
	s_cbranch_execz .LBB2_4025
; %bb.4022:                             ;   in Loop: Header=BB2_3886 Depth=3
	v_and_b32_e32 v24, 0x7f, v43
	v_cmp_ne_u32_e32 vcc, s71, v24
	v_mov_b32_e32 v14, 0x7f800001
	s_and_saveexec_b64 s[36:37], vcc
	s_cbranch_execz .LBB2_4024
; %bb.4023:                             ;   in Loop: Header=BB2_3886 Depth=3
	v_and_b32_e32 v14, 7, v2
	v_lshrrev_b32_e32 v36, 3, v24
	v_cmp_gt_u32_e32 vcc, 8, v24
	v_ffbh_u32_e32 v24, v14
	v_min_u32_e32 v40, 32, v24
	v_subrev_u32_e32 v24, 28, v40
	v_lshlrev_b64 v[24:25], v24, v[2:3]
	v_sub_u32_e32 v2, 29, v40
	v_and_b32_e32 v24, 7, v24
	v_cndmask_b32_e32 v2, v36, v2, vcc
	v_cndmask_b32_e32 v14, v14, v24, vcc
	v_lshlrev_b32_e32 v24, 24, v43
	v_lshlrev_b32_e32 v14, 20, v14
	v_and_b32_e32 v24, 0x80000000, v24
	v_lshl_add_u32 v2, v2, 23, v49
	v_or3_b32 v14, v24, v2, v14
.LBB2_4024:                             ;   in Loop: Header=BB2_3886 Depth=3
	s_or_b64 exec, exec, s[36:37]
.LBB2_4025:                             ;   in Loop: Header=BB2_3886 Depth=3
	s_or_b64 exec, exec, s[34:35]
.LBB2_4026:                             ;   in Loop: Header=BB2_3886 Depth=3
	s_or_b64 exec, exec, s[28:29]
	v_mul_f32_e32 v14, v15, v14
	v_and_b32_e32 v2, 0x7f800000, v14
	v_cmp_ne_u64_e32 vcc, s[62:63], v[2:3]
                                        ; implicit-def: $vgpr24
	s_and_saveexec_b64 s[28:29], vcc
	s_xor_b64 s[34:35], exec, s[28:29]
	s_cbranch_execz .LBB2_4044
; %bb.4027:                             ;   in Loop: Header=BB2_3886 Depth=3
	v_and_b32_e32 v2, 0x7fffffff, v14
	v_cmp_gt_u64_e32 vcc, s[72:73], v[2:3]
	v_and_b32_sdwa v25, v14, s70 dst_sel:DWORD dst_unused:UNUSED_PAD src0_sel:BYTE_3 src1_sel:DWORD
                                        ; implicit-def: $vgpr24
	s_and_saveexec_b64 s[28:29], vcc
	s_xor_b64 s[36:37], exec, s[28:29]
	s_cbranch_execz .LBB2_4041
; %bb.4028:                             ;   in Loop: Header=BB2_3886 Depth=3
	v_cmp_ne_u32_e32 vcc, 0, v14
	v_mov_b32_e32 v24, 0
	s_and_saveexec_b64 s[38:39], vcc
	s_cbranch_execz .LBB2_4040
; %bb.4029:                             ;   in Loop: Header=BB2_3886 Depth=3
	v_bfe_u32 v24, v14, 23, 8
	v_and_b32_e32 v2, 0x7fffff, v14
	v_cmp_gt_u32_e64 s[28:29], s80, v24
	v_sub_u32_e32 v14, 0x79, v24
	v_cmp_eq_u32_e32 vcc, 0, v24
	v_cndmask_b32_e64 v14, 0, v14, s[28:29]
	v_cndmask_b32_e32 v36, v14, v1, vcc
	v_or_b32_e32 v15, 0x800000, v2
	v_add_u32_e32 v14, 20, v36
	v_cndmask_b32_e32 v2, v15, v2, vcc
	v_lshlrev_b64 v[14:15], v14, -1
	v_add_u32_e32 v40, 19, v36
	v_lshlrev_b64 v[40:41], v40, 1
	v_bfi_b32 v15, v15, 0, 0
	v_bfi_b32 v14, v14, 0, v2
	v_cmp_eq_u64_e64 s[28:29], v[14:15], v[40:41]
	v_lshrrev_b64 v[14:15], v36, v[2:3]
	v_mov_b32_e32 v41, v15
	v_mov_b32_e32 v40, v14
	s_and_saveexec_b64 s[48:49], s[28:29]
; %bb.4030:                             ;   in Loop: Header=BB2_3886 Depth=3
	v_bfe_u32 v2, v14, 20, 1
	v_add_co_u32_e64 v2, s[28:29], v14, v2
	v_add_co_u32_e64 v40, s[28:29], -1, v2
; %bb.4031:                             ;   in Loop: Header=BB2_3886 Depth=3
	s_or_b64 exec, exec, s[48:49]
	v_add_u32_e32 v2, 0xffffff81, v24
	v_cndmask_b32_e32 v2, v2, v0, vcc
	v_lshrrev_b32_e32 v15, 23, v14
	v_add3_u32 v41, v36, v2, v15
	v_add_u32_e32 v24, 6, v41
	v_and_b32_e32 v2, 0xfffff, v40
	v_add_u32_e32 v2, v2, v14
	v_cmp_ne_u32_e32 vcc, 0, v24
                                        ; implicit-def: $vgpr14_vgpr15
                                        ; implicit-def: $vgpr36
	s_and_saveexec_b64 s[28:29], vcc
	s_xor_b64 s[28:29], exec, s[28:29]
; %bb.4032:                             ;   in Loop: Header=BB2_3886 Depth=3
	v_cmp_lt_u64_e32 vcc, s[88:89], v[2:3]
	v_add_u32_e32 v14, 7, v41
	v_cndmask_b32_e32 v36, v24, v14, vcc
	v_cndmask_b32_e64 v14, 0, 1, vcc
	v_lshrrev_b64 v[14:15], v14, v[2:3]
; %bb.4033:                             ;   in Loop: Header=BB2_3886 Depth=3
	s_andn2_saveexec_b64 s[28:29], s[28:29]
; %bb.4034:                             ;   in Loop: Header=BB2_3886 Depth=3
	v_mov_b32_e32 v15, v3
	v_bfe_u32 v36, v2, 23, 1
	v_mov_b32_e32 v14, v2
; %bb.4035:                             ;   in Loop: Header=BB2_3886 Depth=3
	s_or_b64 exec, exec, s[28:29]
	v_lshrrev_b64 v[14:15], 20, v[14:15]
	v_cmp_gt_i32_e32 vcc, 16, v36
	v_cndmask_b32_e32 v15, 0, v15, vcc
	v_cndmask_b32_e32 v14, 7, v14, vcc
	v_cmp_ne_u64_e32 vcc, 0, v[14:15]
	v_cmp_ne_u32_e64 s[28:29], 0, v36
	s_or_b64 s[28:29], s[28:29], vcc
                                        ; implicit-def: $vgpr24
	s_and_saveexec_b64 s[44:45], s[28:29]
	s_xor_b64 s[28:29], exec, s[44:45]
; %bb.4036:                             ;   in Loop: Header=BB2_3886 Depth=3
	v_min_i32_e32 v2, 15, v36
	v_lshl_or_b32 v2, v2, 3, v25
	v_and_or_b32 v24, v14, 7, v2
                                        ; implicit-def: $vgpr25
; %bb.4037:                             ;   in Loop: Header=BB2_3886 Depth=3
	s_andn2_saveexec_b64 s[28:29], s[28:29]
; %bb.4038:                             ;   in Loop: Header=BB2_3886 Depth=3
	v_mov_b32_e32 v24, v25
; %bb.4039:                             ;   in Loop: Header=BB2_3886 Depth=3
	s_or_b64 exec, exec, s[28:29]
.LBB2_4040:                             ;   in Loop: Header=BB2_3886 Depth=3
	s_or_b64 exec, exec, s[38:39]
                                        ; implicit-def: $vgpr25
.LBB2_4041:                             ;   in Loop: Header=BB2_3886 Depth=3
	s_andn2_saveexec_b64 s[28:29], s[36:37]
; %bb.4042:                             ;   in Loop: Header=BB2_3886 Depth=3
	v_or_b32_e32 v24, 0x7e, v25
; %bb.4043:                             ;   in Loop: Header=BB2_3886 Depth=3
	s_or_b64 exec, exec, s[28:29]
                                        ; implicit-def: $vgpr14
.LBB2_4044:                             ;   in Loop: Header=BB2_3886 Depth=3
	s_andn2_saveexec_b64 s[28:29], s[34:35]
; %bb.4045:                             ;   in Loop: Header=BB2_3886 Depth=3
	v_or_b32_sdwa v24, v14, s71 dst_sel:DWORD dst_unused:UNUSED_PAD src0_sel:BYTE_3 src1_sel:DWORD
; %bb.4046:                             ;   in Loop: Header=BB2_3886 Depth=3
	s_or_b64 exec, exec, s[28:29]
	v_and_b32_e32 v2, 0xff, v55
	v_cmp_ne_u16_e32 vcc, 0, v2
	v_mov_b32_e32 v14, 0
	v_mov_b32_e32 v15, 0
	s_and_saveexec_b64 s[28:29], vcc
	s_cbranch_execz .LBB2_4052
; %bb.4047:                             ;   in Loop: Header=BB2_3886 Depth=3
	v_cmp_ne_u16_e32 vcc, s70, v2
	v_bfrev_b32_e32 v15, 1
	s_and_saveexec_b64 s[34:35], vcc
	s_cbranch_execz .LBB2_4051
; %bb.4048:                             ;   in Loop: Header=BB2_3886 Depth=3
	v_and_b32_e32 v25, 0x7f, v55
	v_cmp_ne_u32_e32 vcc, s71, v25
	v_mov_b32_e32 v15, 0x7f800001
	s_and_saveexec_b64 s[36:37], vcc
	s_cbranch_execz .LBB2_4050
; %bb.4049:                             ;   in Loop: Header=BB2_3886 Depth=3
	v_and_b32_e32 v15, 7, v2
	v_lshrrev_b32_e32 v36, 3, v25
	v_cmp_gt_u32_e32 vcc, 8, v25
	v_ffbh_u32_e32 v25, v15
	v_min_u32_e32 v25, 32, v25
	v_subrev_u32_e32 v40, 28, v25
	v_lshlrev_b64 v[40:41], v40, v[2:3]
	v_sub_u32_e32 v2, 29, v25
	v_and_b32_e32 v25, 7, v40
	v_cndmask_b32_e32 v2, v36, v2, vcc
	v_cndmask_b32_e32 v15, v15, v25, vcc
	v_lshlrev_b32_e32 v25, 24, v55
	v_lshlrev_b32_e32 v15, 20, v15
	v_and_b32_e32 v25, 0x80000000, v25
	v_lshl_add_u32 v2, v2, 23, v49
	v_or3_b32 v15, v25, v2, v15
.LBB2_4050:                             ;   in Loop: Header=BB2_3886 Depth=3
	s_or_b64 exec, exec, s[36:37]
.LBB2_4051:                             ;   in Loop: Header=BB2_3886 Depth=3
	s_or_b64 exec, exec, s[34:35]
.LBB2_4052:                             ;   in Loop: Header=BB2_3886 Depth=3
	s_or_b64 exec, exec, s[28:29]
	v_and_b32_e32 v2, 0xff, v48
	v_cmp_ne_u16_e32 vcc, 0, v2
	s_and_saveexec_b64 s[28:29], vcc
	s_cbranch_execz .LBB2_4058
; %bb.4053:                             ;   in Loop: Header=BB2_3886 Depth=3
	v_cmp_ne_u16_e32 vcc, s70, v2
	v_bfrev_b32_e32 v14, 1
	s_and_saveexec_b64 s[34:35], vcc
	s_cbranch_execz .LBB2_4057
; %bb.4054:                             ;   in Loop: Header=BB2_3886 Depth=3
	v_and_b32_e32 v25, 0x7f, v48
	v_cmp_ne_u32_e32 vcc, s71, v25
	v_mov_b32_e32 v14, 0x7f800001
	s_and_saveexec_b64 s[36:37], vcc
	s_cbranch_execz .LBB2_4056
; %bb.4055:                             ;   in Loop: Header=BB2_3886 Depth=3
	v_and_b32_e32 v14, 7, v2
	v_lshrrev_b32_e32 v36, 3, v25
	v_cmp_gt_u32_e32 vcc, 8, v25
	v_ffbh_u32_e32 v25, v14
	v_min_u32_e32 v25, 32, v25
	v_subrev_u32_e32 v55, 28, v25
	v_lshlrev_b64 v[40:41], v55, v[2:3]
	v_sub_u32_e32 v2, 29, v25
	v_and_b32_e32 v25, 7, v40
	v_cndmask_b32_e32 v2, v36, v2, vcc
	v_cndmask_b32_e32 v14, v14, v25, vcc
	v_lshlrev_b32_e32 v25, 24, v48
	v_lshlrev_b32_e32 v14, 20, v14
	v_and_b32_e32 v25, 0x80000000, v25
	v_lshl_add_u32 v2, v2, 23, v49
	v_or3_b32 v14, v25, v2, v14
.LBB2_4056:                             ;   in Loop: Header=BB2_3886 Depth=3
	s_or_b64 exec, exec, s[36:37]
.LBB2_4057:                             ;   in Loop: Header=BB2_3886 Depth=3
	s_or_b64 exec, exec, s[34:35]
.LBB2_4058:                             ;   in Loop: Header=BB2_3886 Depth=3
	s_or_b64 exec, exec, s[28:29]
	v_mul_f32_e32 v14, v15, v14
	v_and_b32_e32 v2, 0x7f800000, v14
	v_cmp_ne_u64_e32 vcc, s[62:63], v[2:3]
                                        ; implicit-def: $vgpr25
	s_and_saveexec_b64 s[28:29], vcc
	s_xor_b64 s[34:35], exec, s[28:29]
	s_cbranch_execz .LBB2_4076
; %bb.4059:                             ;   in Loop: Header=BB2_3886 Depth=3
	v_and_b32_e32 v2, 0x7fffffff, v14
	v_cmp_gt_u64_e32 vcc, s[72:73], v[2:3]
	v_and_b32_sdwa v48, v14, s70 dst_sel:DWORD dst_unused:UNUSED_PAD src0_sel:BYTE_3 src1_sel:DWORD
                                        ; implicit-def: $vgpr25
	s_and_saveexec_b64 s[28:29], vcc
	s_xor_b64 s[36:37], exec, s[28:29]
	s_cbranch_execz .LBB2_4073
; %bb.4060:                             ;   in Loop: Header=BB2_3886 Depth=3
	v_cmp_ne_u32_e32 vcc, 0, v14
	v_mov_b32_e32 v25, 0
	s_and_saveexec_b64 s[38:39], vcc
	s_cbranch_execz .LBB2_4072
; %bb.4061:                             ;   in Loop: Header=BB2_3886 Depth=3
	v_bfe_u32 v25, v14, 23, 8
	v_and_b32_e32 v2, 0x7fffff, v14
	v_cmp_gt_u32_e64 s[28:29], s80, v25
	v_sub_u32_e32 v14, 0x79, v25
	v_cmp_eq_u32_e32 vcc, 0, v25
	v_cndmask_b32_e64 v14, 0, v14, s[28:29]
	v_cndmask_b32_e32 v36, v14, v1, vcc
	v_or_b32_e32 v15, 0x800000, v2
	v_add_u32_e32 v14, 20, v36
	v_cndmask_b32_e32 v2, v15, v2, vcc
	v_lshlrev_b64 v[14:15], v14, -1
	v_add_u32_e32 v55, 19, v36
	v_lshlrev_b64 v[40:41], v55, 1
	v_bfi_b32 v15, v15, 0, 0
	v_bfi_b32 v14, v14, 0, v2
	v_cmp_eq_u64_e64 s[28:29], v[14:15], v[40:41]
	v_lshrrev_b64 v[14:15], v36, v[2:3]
	v_mov_b32_e32 v41, v15
	v_mov_b32_e32 v40, v14
	s_and_saveexec_b64 s[48:49], s[28:29]
; %bb.4062:                             ;   in Loop: Header=BB2_3886 Depth=3
	v_bfe_u32 v2, v14, 20, 1
	v_add_co_u32_e64 v2, s[28:29], v14, v2
	v_add_co_u32_e64 v40, s[28:29], -1, v2
; %bb.4063:                             ;   in Loop: Header=BB2_3886 Depth=3
	s_or_b64 exec, exec, s[48:49]
	v_add_u32_e32 v2, 0xffffff81, v25
	v_cndmask_b32_e32 v2, v2, v0, vcc
	v_lshrrev_b32_e32 v15, 23, v14
	v_add3_u32 v55, v36, v2, v15
	v_add_u32_e32 v25, 6, v55
	v_and_b32_e32 v2, 0xfffff, v40
	v_add_u32_e32 v2, v2, v14
	v_cmp_ne_u32_e32 vcc, 0, v25
                                        ; implicit-def: $vgpr14_vgpr15
                                        ; implicit-def: $vgpr36
	s_and_saveexec_b64 s[28:29], vcc
	s_xor_b64 s[28:29], exec, s[28:29]
; %bb.4064:                             ;   in Loop: Header=BB2_3886 Depth=3
	v_cmp_lt_u64_e32 vcc, s[88:89], v[2:3]
	v_add_u32_e32 v14, 7, v55
	v_cndmask_b32_e32 v36, v25, v14, vcc
	v_cndmask_b32_e64 v14, 0, 1, vcc
	v_lshrrev_b64 v[14:15], v14, v[2:3]
; %bb.4065:                             ;   in Loop: Header=BB2_3886 Depth=3
	s_andn2_saveexec_b64 s[28:29], s[28:29]
; %bb.4066:                             ;   in Loop: Header=BB2_3886 Depth=3
	v_mov_b32_e32 v15, v3
	v_bfe_u32 v36, v2, 23, 1
	v_mov_b32_e32 v14, v2
; %bb.4067:                             ;   in Loop: Header=BB2_3886 Depth=3
	s_or_b64 exec, exec, s[28:29]
	v_lshrrev_b64 v[14:15], 20, v[14:15]
	v_cmp_gt_i32_e32 vcc, 16, v36
	v_cndmask_b32_e32 v15, 0, v15, vcc
	v_cndmask_b32_e32 v14, 7, v14, vcc
	v_cmp_ne_u64_e32 vcc, 0, v[14:15]
	v_cmp_ne_u32_e64 s[28:29], 0, v36
	s_or_b64 s[28:29], s[28:29], vcc
                                        ; implicit-def: $vgpr25
	s_and_saveexec_b64 s[44:45], s[28:29]
	s_xor_b64 s[28:29], exec, s[44:45]
; %bb.4068:                             ;   in Loop: Header=BB2_3886 Depth=3
	v_min_i32_e32 v2, 15, v36
	v_lshl_or_b32 v2, v2, 3, v48
	v_and_or_b32 v25, v14, 7, v2
                                        ; implicit-def: $vgpr48
; %bb.4069:                             ;   in Loop: Header=BB2_3886 Depth=3
	s_andn2_saveexec_b64 s[28:29], s[28:29]
; %bb.4070:                             ;   in Loop: Header=BB2_3886 Depth=3
	v_mov_b32_e32 v25, v48
; %bb.4071:                             ;   in Loop: Header=BB2_3886 Depth=3
	s_or_b64 exec, exec, s[28:29]
.LBB2_4072:                             ;   in Loop: Header=BB2_3886 Depth=3
	s_or_b64 exec, exec, s[38:39]
                                        ; implicit-def: $vgpr48
.LBB2_4073:                             ;   in Loop: Header=BB2_3886 Depth=3
	s_andn2_saveexec_b64 s[28:29], s[36:37]
; %bb.4074:                             ;   in Loop: Header=BB2_3886 Depth=3
	v_or_b32_e32 v25, 0x7e, v48
; %bb.4075:                             ;   in Loop: Header=BB2_3886 Depth=3
	s_or_b64 exec, exec, s[28:29]
                                        ; implicit-def: $vgpr14
.LBB2_4076:                             ;   in Loop: Header=BB2_3886 Depth=3
	s_andn2_saveexec_b64 s[28:29], s[34:35]
; %bb.4077:                             ;   in Loop: Header=BB2_3886 Depth=3
	v_or_b32_sdwa v25, v14, s71 dst_sel:DWORD dst_unused:UNUSED_PAD src0_sel:BYTE_3 src1_sel:DWORD
; %bb.4078:                             ;   in Loop: Header=BB2_3886 Depth=3
	s_or_b64 exec, exec, s[28:29]
	v_and_b32_e32 v2, 0xff, v52
	v_cmp_ne_u16_e32 vcc, 0, v2
	v_mov_b32_e32 v14, 0
	v_mov_b32_e32 v15, 0
	s_and_saveexec_b64 s[28:29], vcc
	s_cbranch_execz .LBB2_4084
; %bb.4079:                             ;   in Loop: Header=BB2_3886 Depth=3
	v_cmp_ne_u16_e32 vcc, s70, v2
	v_bfrev_b32_e32 v15, 1
	s_and_saveexec_b64 s[34:35], vcc
	s_cbranch_execz .LBB2_4083
; %bb.4080:                             ;   in Loop: Header=BB2_3886 Depth=3
	v_and_b32_e32 v36, 0x7f, v52
	v_cmp_ne_u32_e32 vcc, s71, v36
	v_mov_b32_e32 v15, 0x7f800001
	s_and_saveexec_b64 s[36:37], vcc
	s_cbranch_execz .LBB2_4082
; %bb.4081:                             ;   in Loop: Header=BB2_3886 Depth=3
	v_and_b32_e32 v15, 7, v2
	v_lshrrev_b32_e32 v48, 3, v36
	v_cmp_gt_u32_e32 vcc, 8, v36
	v_ffbh_u32_e32 v36, v15
	v_min_u32_e32 v36, 32, v36
	v_subrev_u32_e32 v55, 28, v36
	v_lshlrev_b64 v[40:41], v55, v[2:3]
	v_sub_u32_e32 v2, 29, v36
	v_and_b32_e32 v36, 7, v40
	v_cndmask_b32_e32 v2, v48, v2, vcc
	v_cndmask_b32_e32 v15, v15, v36, vcc
	v_lshlrev_b32_e32 v36, 24, v52
	v_lshlrev_b32_e32 v15, 20, v15
	v_and_b32_e32 v36, 0x80000000, v36
	v_lshl_add_u32 v2, v2, 23, v49
	v_or3_b32 v15, v36, v2, v15
.LBB2_4082:                             ;   in Loop: Header=BB2_3886 Depth=3
	s_or_b64 exec, exec, s[36:37]
.LBB2_4083:                             ;   in Loop: Header=BB2_3886 Depth=3
	s_or_b64 exec, exec, s[34:35]
.LBB2_4084:                             ;   in Loop: Header=BB2_3886 Depth=3
	s_or_b64 exec, exec, s[28:29]
	v_and_b32_e32 v2, 0xff, v16
	v_cmp_ne_u16_e32 vcc, 0, v2
	s_and_saveexec_b64 s[28:29], vcc
	s_cbranch_execz .LBB2_4090
; %bb.4085:                             ;   in Loop: Header=BB2_3886 Depth=3
	v_cmp_ne_u16_e32 vcc, s70, v2
	v_bfrev_b32_e32 v14, 1
	s_and_saveexec_b64 s[34:35], vcc
	s_cbranch_execz .LBB2_4089
; %bb.4086:                             ;   in Loop: Header=BB2_3886 Depth=3
	v_and_b32_e32 v36, 0x7f, v16
	v_cmp_ne_u32_e32 vcc, s71, v36
	v_mov_b32_e32 v14, 0x7f800001
	s_and_saveexec_b64 s[36:37], vcc
	s_cbranch_execz .LBB2_4088
; %bb.4087:                             ;   in Loop: Header=BB2_3886 Depth=3
	v_and_b32_e32 v14, 7, v2
	v_lshrrev_b32_e32 v48, 3, v36
	v_cmp_gt_u32_e32 vcc, 8, v36
	v_ffbh_u32_e32 v36, v14
	v_min_u32_e32 v36, 32, v36
	v_subrev_u32_e32 v52, 28, v36
	v_lshlrev_b64 v[40:41], v52, v[2:3]
	v_sub_u32_e32 v2, 29, v36
	v_and_b32_e32 v36, 7, v40
	v_cndmask_b32_e32 v2, v48, v2, vcc
	v_cndmask_b32_e32 v14, v14, v36, vcc
	v_lshlrev_b32_e32 v16, 24, v16
	v_lshlrev_b32_e32 v14, 20, v14
	v_and_b32_e32 v16, 0x80000000, v16
	v_lshl_add_u32 v2, v2, 23, v49
	v_or3_b32 v14, v16, v2, v14
.LBB2_4088:                             ;   in Loop: Header=BB2_3886 Depth=3
	s_or_b64 exec, exec, s[36:37]
.LBB2_4089:                             ;   in Loop: Header=BB2_3886 Depth=3
	s_or_b64 exec, exec, s[34:35]
.LBB2_4090:                             ;   in Loop: Header=BB2_3886 Depth=3
	s_or_b64 exec, exec, s[28:29]
	v_mul_f32_e32 v14, v15, v14
	v_and_b32_e32 v2, 0x7f800000, v14
	v_cmp_ne_u64_e32 vcc, s[62:63], v[2:3]
                                        ; implicit-def: $vgpr16
	s_and_saveexec_b64 s[28:29], vcc
	s_xor_b64 s[34:35], exec, s[28:29]
	s_cbranch_execz .LBB2_4108
; %bb.4091:                             ;   in Loop: Header=BB2_3886 Depth=3
	v_and_b32_e32 v2, 0x7fffffff, v14
	v_cmp_gt_u64_e32 vcc, s[72:73], v[2:3]
	v_and_b32_sdwa v48, v14, s70 dst_sel:DWORD dst_unused:UNUSED_PAD src0_sel:BYTE_3 src1_sel:DWORD
                                        ; implicit-def: $vgpr16
	s_and_saveexec_b64 s[28:29], vcc
	s_xor_b64 s[36:37], exec, s[28:29]
	s_cbranch_execz .LBB2_4105
; %bb.4092:                             ;   in Loop: Header=BB2_3886 Depth=3
	v_cmp_ne_u32_e32 vcc, 0, v14
	v_mov_b32_e32 v16, 0
	s_and_saveexec_b64 s[38:39], vcc
	s_cbranch_execz .LBB2_4104
; %bb.4093:                             ;   in Loop: Header=BB2_3886 Depth=3
	v_bfe_u32 v16, v14, 23, 8
	v_and_b32_e32 v2, 0x7fffff, v14
	v_cmp_gt_u32_e64 s[28:29], s80, v16
	v_sub_u32_e32 v14, 0x79, v16
	v_cmp_eq_u32_e32 vcc, 0, v16
	v_cndmask_b32_e64 v14, 0, v14, s[28:29]
	v_cndmask_b32_e32 v36, v14, v1, vcc
	v_or_b32_e32 v15, 0x800000, v2
	v_add_u32_e32 v14, 20, v36
	v_cndmask_b32_e32 v2, v15, v2, vcc
	v_lshlrev_b64 v[14:15], v14, -1
	v_add_u32_e32 v52, 19, v36
	v_lshlrev_b64 v[40:41], v52, 1
	v_bfi_b32 v15, v15, 0, 0
	v_bfi_b32 v14, v14, 0, v2
	v_cmp_eq_u64_e64 s[28:29], v[14:15], v[40:41]
	v_lshrrev_b64 v[14:15], v36, v[2:3]
	v_mov_b32_e32 v41, v15
	v_mov_b32_e32 v40, v14
	s_and_saveexec_b64 s[48:49], s[28:29]
; %bb.4094:                             ;   in Loop: Header=BB2_3886 Depth=3
	v_bfe_u32 v2, v14, 20, 1
	v_add_co_u32_e64 v2, s[28:29], v14, v2
	v_add_co_u32_e64 v40, s[28:29], -1, v2
; %bb.4095:                             ;   in Loop: Header=BB2_3886 Depth=3
	s_or_b64 exec, exec, s[48:49]
	v_add_u32_e32 v2, 0xffffff81, v16
	v_cndmask_b32_e32 v2, v2, v0, vcc
	v_lshrrev_b32_e32 v15, 23, v14
	v_add3_u32 v52, v36, v2, v15
	v_add_u32_e32 v16, 6, v52
	v_and_b32_e32 v2, 0xfffff, v40
	v_add_u32_e32 v2, v2, v14
	v_cmp_ne_u32_e32 vcc, 0, v16
                                        ; implicit-def: $vgpr14_vgpr15
                                        ; implicit-def: $vgpr36
	s_and_saveexec_b64 s[28:29], vcc
	s_xor_b64 s[28:29], exec, s[28:29]
; %bb.4096:                             ;   in Loop: Header=BB2_3886 Depth=3
	v_cmp_lt_u64_e32 vcc, s[88:89], v[2:3]
	v_add_u32_e32 v14, 7, v52
	v_cndmask_b32_e32 v36, v16, v14, vcc
	v_cndmask_b32_e64 v14, 0, 1, vcc
	v_lshrrev_b64 v[14:15], v14, v[2:3]
; %bb.4097:                             ;   in Loop: Header=BB2_3886 Depth=3
	s_andn2_saveexec_b64 s[28:29], s[28:29]
; %bb.4098:                             ;   in Loop: Header=BB2_3886 Depth=3
	v_mov_b32_e32 v15, v3
	v_bfe_u32 v36, v2, 23, 1
	v_mov_b32_e32 v14, v2
; %bb.4099:                             ;   in Loop: Header=BB2_3886 Depth=3
	s_or_b64 exec, exec, s[28:29]
	v_lshrrev_b64 v[14:15], 20, v[14:15]
	v_cmp_gt_i32_e32 vcc, 16, v36
	v_cndmask_b32_e32 v15, 0, v15, vcc
	v_cndmask_b32_e32 v14, 7, v14, vcc
	v_cmp_ne_u64_e32 vcc, 0, v[14:15]
	v_cmp_ne_u32_e64 s[28:29], 0, v36
	s_or_b64 s[28:29], s[28:29], vcc
                                        ; implicit-def: $vgpr16
	s_and_saveexec_b64 s[44:45], s[28:29]
	s_xor_b64 s[28:29], exec, s[44:45]
; %bb.4100:                             ;   in Loop: Header=BB2_3886 Depth=3
	v_min_i32_e32 v2, 15, v36
	v_lshl_or_b32 v2, v2, 3, v48
	v_and_or_b32 v16, v14, 7, v2
                                        ; implicit-def: $vgpr48
; %bb.4101:                             ;   in Loop: Header=BB2_3886 Depth=3
	s_andn2_saveexec_b64 s[28:29], s[28:29]
; %bb.4102:                             ;   in Loop: Header=BB2_3886 Depth=3
	v_mov_b32_e32 v16, v48
; %bb.4103:                             ;   in Loop: Header=BB2_3886 Depth=3
	s_or_b64 exec, exec, s[28:29]
.LBB2_4104:                             ;   in Loop: Header=BB2_3886 Depth=3
	s_or_b64 exec, exec, s[38:39]
                                        ; implicit-def: $vgpr48
.LBB2_4105:                             ;   in Loop: Header=BB2_3886 Depth=3
	s_andn2_saveexec_b64 s[28:29], s[36:37]
; %bb.4106:                             ;   in Loop: Header=BB2_3886 Depth=3
	v_or_b32_e32 v16, 0x7e, v48
; %bb.4107:                             ;   in Loop: Header=BB2_3886 Depth=3
	s_or_b64 exec, exec, s[28:29]
                                        ; implicit-def: $vgpr14
.LBB2_4108:                             ;   in Loop: Header=BB2_3886 Depth=3
	s_andn2_saveexec_b64 s[28:29], s[34:35]
; %bb.4109:                             ;   in Loop: Header=BB2_3886 Depth=3
	v_or_b32_sdwa v16, v14, s71 dst_sel:DWORD dst_unused:UNUSED_PAD src0_sel:BYTE_3 src1_sel:DWORD
; %bb.4110:                             ;   in Loop: Header=BB2_3886 Depth=3
	s_or_b64 exec, exec, s[28:29]
	v_and_b32_e32 v2, 0xff, v34
	v_cmp_ne_u16_e32 vcc, 0, v2
	v_mov_b32_e32 v14, 0
	v_mov_b32_e32 v15, 0
	s_and_saveexec_b64 s[28:29], vcc
	s_cbranch_execz .LBB2_4116
; %bb.4111:                             ;   in Loop: Header=BB2_3886 Depth=3
	v_cmp_ne_u16_e32 vcc, s70, v2
	v_bfrev_b32_e32 v15, 1
	s_and_saveexec_b64 s[34:35], vcc
	s_cbranch_execz .LBB2_4115
; %bb.4112:                             ;   in Loop: Header=BB2_3886 Depth=3
	v_and_b32_e32 v36, 0x7f, v34
	v_cmp_ne_u32_e32 vcc, s71, v36
	v_mov_b32_e32 v15, 0x7f800001
	s_and_saveexec_b64 s[36:37], vcc
	s_cbranch_execz .LBB2_4114
; %bb.4113:                             ;   in Loop: Header=BB2_3886 Depth=3
	v_and_b32_e32 v15, 7, v2
	v_lshrrev_b32_e32 v48, 3, v36
	v_cmp_gt_u32_e32 vcc, 8, v36
	v_ffbh_u32_e32 v36, v15
	v_min_u32_e32 v36, 32, v36
	v_subrev_u32_e32 v52, 28, v36
	v_lshlrev_b64 v[40:41], v52, v[2:3]
	v_sub_u32_e32 v2, 29, v36
	v_and_b32_e32 v36, 7, v40
	v_cndmask_b32_e32 v2, v48, v2, vcc
	v_cndmask_b32_e32 v15, v15, v36, vcc
	v_lshlrev_b32_e32 v34, 24, v34
	v_lshlrev_b32_e32 v15, 20, v15
	v_and_b32_e32 v34, 0x80000000, v34
	v_lshl_add_u32 v2, v2, 23, v49
	v_or3_b32 v15, v34, v2, v15
.LBB2_4114:                             ;   in Loop: Header=BB2_3886 Depth=3
	s_or_b64 exec, exec, s[36:37]
.LBB2_4115:                             ;   in Loop: Header=BB2_3886 Depth=3
	s_or_b64 exec, exec, s[34:35]
.LBB2_4116:                             ;   in Loop: Header=BB2_3886 Depth=3
	s_or_b64 exec, exec, s[28:29]
	v_and_b32_e32 v2, 0xff, v30
	v_cmp_ne_u16_e32 vcc, 0, v2
	s_and_saveexec_b64 s[28:29], vcc
	s_cbranch_execz .LBB2_4122
; %bb.4117:                             ;   in Loop: Header=BB2_3886 Depth=3
	v_cmp_ne_u16_e32 vcc, s70, v2
	v_bfrev_b32_e32 v14, 1
	s_and_saveexec_b64 s[34:35], vcc
	s_cbranch_execz .LBB2_4121
; %bb.4118:                             ;   in Loop: Header=BB2_3886 Depth=3
	v_and_b32_e32 v34, 0x7f, v30
	v_cmp_ne_u32_e32 vcc, s71, v34
	v_mov_b32_e32 v14, 0x7f800001
	s_and_saveexec_b64 s[36:37], vcc
	s_cbranch_execz .LBB2_4120
; %bb.4119:                             ;   in Loop: Header=BB2_3886 Depth=3
	v_and_b32_e32 v14, 7, v2
	v_lshrrev_b32_e32 v36, 3, v34
	v_cmp_gt_u32_e32 vcc, 8, v34
	v_ffbh_u32_e32 v34, v14
	v_min_u32_e32 v34, 32, v34
	v_subrev_u32_e32 v48, 28, v34
	v_lshlrev_b64 v[40:41], v48, v[2:3]
	v_sub_u32_e32 v2, 29, v34
	v_and_b32_e32 v34, 7, v40
	v_cndmask_b32_e32 v2, v36, v2, vcc
	v_cndmask_b32_e32 v14, v14, v34, vcc
	v_lshlrev_b32_e32 v30, 24, v30
	v_lshlrev_b32_e32 v14, 20, v14
	v_and_b32_e32 v30, 0x80000000, v30
	v_lshl_add_u32 v2, v2, 23, v49
	v_or3_b32 v14, v30, v2, v14
.LBB2_4120:                             ;   in Loop: Header=BB2_3886 Depth=3
	s_or_b64 exec, exec, s[36:37]
.LBB2_4121:                             ;   in Loop: Header=BB2_3886 Depth=3
	s_or_b64 exec, exec, s[34:35]
.LBB2_4122:                             ;   in Loop: Header=BB2_3886 Depth=3
	s_or_b64 exec, exec, s[28:29]
	v_mul_f32_e32 v14, v15, v14
	v_and_b32_e32 v2, 0x7f800000, v14
	v_cmp_ne_u64_e32 vcc, s[62:63], v[2:3]
                                        ; implicit-def: $vgpr2
	s_and_saveexec_b64 s[28:29], vcc
	s_xor_b64 s[34:35], exec, s[28:29]
	s_cbranch_execz .LBB2_4140
; %bb.4123:                             ;   in Loop: Header=BB2_3886 Depth=3
	v_and_b32_e32 v2, 0x7fffffff, v14
	v_cmp_gt_u64_e32 vcc, s[72:73], v[2:3]
	v_and_b32_sdwa v30, v14, s70 dst_sel:DWORD dst_unused:UNUSED_PAD src0_sel:BYTE_3 src1_sel:DWORD
                                        ; implicit-def: $vgpr2
	s_and_saveexec_b64 s[28:29], vcc
	s_xor_b64 s[36:37], exec, s[28:29]
	s_cbranch_execz .LBB2_4137
; %bb.4124:                             ;   in Loop: Header=BB2_3886 Depth=3
	v_cmp_ne_u32_e32 vcc, 0, v14
	v_mov_b32_e32 v2, 0
	s_and_saveexec_b64 s[38:39], vcc
	s_cbranch_execz .LBB2_4136
; %bb.4125:                             ;   in Loop: Header=BB2_3886 Depth=3
	v_bfe_u32 v34, v14, 23, 8
	v_and_b32_e32 v2, 0x7fffff, v14
	v_cmp_gt_u32_e64 s[28:29], s80, v34
	v_sub_u32_e32 v14, 0x79, v34
	v_cmp_eq_u32_e32 vcc, 0, v34
	v_cndmask_b32_e64 v14, 0, v14, s[28:29]
	v_cndmask_b32_e32 v36, v14, v1, vcc
	v_or_b32_e32 v15, 0x800000, v2
	v_add_u32_e32 v14, 20, v36
	v_cndmask_b32_e32 v2, v15, v2, vcc
	v_lshlrev_b64 v[14:15], v14, -1
	v_add_u32_e32 v48, 19, v36
	v_lshlrev_b64 v[40:41], v48, 1
	v_bfi_b32 v15, v15, 0, 0
	v_bfi_b32 v14, v14, 0, v2
	v_cmp_eq_u64_e64 s[28:29], v[14:15], v[40:41]
	v_lshrrev_b64 v[14:15], v36, v[2:3]
	v_mov_b32_e32 v41, v15
	v_mov_b32_e32 v40, v14
	s_and_saveexec_b64 s[48:49], s[28:29]
; %bb.4126:                             ;   in Loop: Header=BB2_3886 Depth=3
	v_bfe_u32 v2, v14, 20, 1
	v_add_co_u32_e64 v2, s[28:29], v14, v2
	v_add_co_u32_e64 v40, s[28:29], -1, v2
; %bb.4127:                             ;   in Loop: Header=BB2_3886 Depth=3
	s_or_b64 exec, exec, s[48:49]
	v_add_u32_e32 v2, 0xffffff81, v34
	v_cndmask_b32_e32 v2, v2, v0, vcc
	v_lshrrev_b32_e32 v15, 23, v14
	v_add3_u32 v48, v36, v2, v15
	v_add_u32_e32 v36, 6, v48
	v_and_b32_e32 v2, 0xfffff, v40
	v_add_u32_e32 v2, v2, v14
	v_cmp_ne_u32_e32 vcc, 0, v36
                                        ; implicit-def: $vgpr14_vgpr15
                                        ; implicit-def: $vgpr34
	s_and_saveexec_b64 s[28:29], vcc
	s_xor_b64 s[28:29], exec, s[28:29]
; %bb.4128:                             ;   in Loop: Header=BB2_3886 Depth=3
	v_cmp_lt_u64_e32 vcc, s[88:89], v[2:3]
	v_add_u32_e32 v14, 7, v48
	v_cndmask_b32_e32 v34, v36, v14, vcc
	v_cndmask_b32_e64 v14, 0, 1, vcc
	v_lshrrev_b64 v[14:15], v14, v[2:3]
; %bb.4129:                             ;   in Loop: Header=BB2_3886 Depth=3
	s_andn2_saveexec_b64 s[28:29], s[28:29]
; %bb.4130:                             ;   in Loop: Header=BB2_3886 Depth=3
	v_mov_b32_e32 v15, v3
	v_bfe_u32 v34, v2, 23, 1
	v_mov_b32_e32 v14, v2
; %bb.4131:                             ;   in Loop: Header=BB2_3886 Depth=3
	s_or_b64 exec, exec, s[28:29]
	v_lshrrev_b64 v[14:15], 20, v[14:15]
	v_cmp_gt_i32_e32 vcc, 16, v34
	v_cndmask_b32_e32 v15, 0, v15, vcc
	v_cndmask_b32_e32 v14, 7, v14, vcc
	v_cmp_ne_u64_e32 vcc, 0, v[14:15]
	v_cmp_ne_u32_e64 s[28:29], 0, v34
	s_or_b64 s[28:29], s[28:29], vcc
                                        ; implicit-def: $vgpr2
	s_and_saveexec_b64 s[44:45], s[28:29]
	s_xor_b64 s[28:29], exec, s[44:45]
; %bb.4132:                             ;   in Loop: Header=BB2_3886 Depth=3
	v_min_i32_e32 v2, 15, v34
	v_lshl_or_b32 v2, v2, 3, v30
	v_and_or_b32 v2, v14, 7, v2
                                        ; implicit-def: $vgpr30
; %bb.4133:                             ;   in Loop: Header=BB2_3886 Depth=3
	s_andn2_saveexec_b64 s[28:29], s[28:29]
; %bb.4134:                             ;   in Loop: Header=BB2_3886 Depth=3
	v_mov_b32_e32 v2, v30
; %bb.4135:                             ;   in Loop: Header=BB2_3886 Depth=3
	s_or_b64 exec, exec, s[28:29]
.LBB2_4136:                             ;   in Loop: Header=BB2_3886 Depth=3
	s_or_b64 exec, exec, s[38:39]
                                        ; implicit-def: $vgpr30
.LBB2_4137:                             ;   in Loop: Header=BB2_3886 Depth=3
	s_andn2_saveexec_b64 s[28:29], s[36:37]
; %bb.4138:                             ;   in Loop: Header=BB2_3886 Depth=3
	v_or_b32_e32 v2, 0x7e, v30
; %bb.4139:                             ;   in Loop: Header=BB2_3886 Depth=3
	s_or_b64 exec, exec, s[28:29]
                                        ; implicit-def: $vgpr14
.LBB2_4140:                             ;   in Loop: Header=BB2_3886 Depth=3
	s_andn2_saveexec_b64 s[28:29], s[34:35]
	s_cbranch_execz .LBB2_3885
; %bb.4141:                             ;   in Loop: Header=BB2_3886 Depth=3
	v_or_b32_sdwa v2, v14, s71 dst_sel:DWORD dst_unused:UNUSED_PAD src0_sel:BYTE_3 src1_sel:DWORD
	s_branch .LBB2_3885
.LBB2_4142:                             ;   in Loop: Header=BB2_1679 Depth=2
	s_or_b64 exec, exec, s[30:31]
	v_mov_b32_e32 v30, v57
.LBB2_4143:                             ;   in Loop: Header=BB2_1679 Depth=2
	s_or_b64 exec, exec, s[42:43]
	v_lshlrev_b32_e32 v2, 9, v27
	v_cmp_ne_u32_e32 vcc, v7, v2
	s_and_b64 exec, exec, vcc
	s_cbranch_execz .LBB2_4179
; %bb.4144:                             ;   in Loop: Header=BB2_1679 Depth=2
	v_add_u32_e32 v8, v21, v26
	v_and_b32_e32 v8, 0xffffffc0, v8
	v_sub_u32_e32 v8, v21, v8
	v_lshlrev_b32_e32 v4, 6, v4
	v_sub_u32_e32 v4, v8, v4
	v_add_u32_e32 v2, v2, v4
	v_sub_u32_e32 v4, v7, v2
	v_cmp_lt_i32_e32 vcc, 0, v4
	s_and_b64 exec, exec, vcc
	s_cbranch_execz .LBB2_4179
; %bb.4145:                             ;   in Loop: Header=BB2_1679 Depth=2
	s_trap 2
	ds_read_b128 v[8:11], v0
	v_add_u32_e32 v2, v2, v6
	ds_read_b64 v[6:7], v0
	v_ashrrev_i32_e32 v13, 31, v2
	s_mov_b64 s[42:43], 0
	s_waitcnt lgkmcnt(0)
	v_add_co_u32_e32 v8, vcc, v8, v2
	v_addc_co_u32_e32 v9, vcc, v9, v13, vcc
	v_add_co_u32_e32 v10, vcc, v10, v2
	v_addc_co_u32_e32 v11, vcc, v11, v13, vcc
	;; [unrolled: 2-line block ×3, first 2 shown]
	s_branch .LBB2_4147
.LBB2_4146:                             ;   in Loop: Header=BB2_4147 Depth=3
	s_or_b64 exec, exec, s[28:29]
	flat_store_byte v[12:13], v2 glc slc
	buffer_load_dword v2, off, s[0:3], s33 offset:56 ; 4-byte Folded Reload
	s_waitcnt vmcnt(0)
	v_add_co_u32_e32 v8, vcc, v8, v2
	v_addc_co_u32_e32 v9, vcc, 0, v9, vcc
	v_add_co_u32_e32 v10, vcc, v10, v2
	v_addc_co_u32_e32 v11, vcc, 0, v11, vcc
	v_sub_u32_e32 v4, v4, v2
	v_cmp_gt_i32_e32 vcc, 1, v4
	s_or_b64 s[42:43], vcc, s[42:43]
	v_add_co_u32_e32 v12, vcc, v12, v2
	v_addc_co_u32_e32 v13, vcc, 0, v13, vcc
	s_andn2_b64 exec, exec, s[42:43]
	s_cbranch_execz .LBB2_4179
.LBB2_4147:                             ;   Parent Loop BB2_47 Depth=1
                                        ;     Parent Loop BB2_1679 Depth=2
                                        ; =>    This Inner Loop Header: Depth=3
	flat_load_ubyte v15, v[8:9] glc slc
	flat_load_ubyte v7, v[10:11] glc slc
	v_mov_b32_e32 v6, 0
	v_mov_b32_e32 v14, 0
	s_waitcnt vmcnt(0) lgkmcnt(0)
	v_cmp_ne_u16_e32 vcc, 0, v15
	s_and_saveexec_b64 s[28:29], vcc
	s_cbranch_execz .LBB2_4153
; %bb.4148:                             ;   in Loop: Header=BB2_4147 Depth=3
	v_cmp_ne_u16_e32 vcc, s70, v15
	v_bfrev_b32_e32 v14, 1
	s_and_saveexec_b64 s[30:31], vcc
	s_cbranch_execz .LBB2_4152
; %bb.4149:                             ;   in Loop: Header=BB2_4147 Depth=3
	v_and_b32_e32 v2, 0xffff, v15
	v_and_b32_e32 v16, 0x7f, v2
	v_cmp_ne_u32_e32 vcc, s71, v16
	v_mov_b32_e32 v14, 0x7f800001
	s_and_saveexec_b64 s[34:35], vcc
	s_cbranch_execz .LBB2_4151
; %bb.4150:                             ;   in Loop: Header=BB2_4147 Depth=3
	v_and_b32_e32 v14, 7, v2
	v_lshrrev_b32_e32 v21, 3, v16
	v_cmp_gt_u32_e32 vcc, 8, v16
	v_ffbh_u32_e32 v16, v14
	v_min_u32_e32 v16, 32, v16
	v_subrev_u32_e32 v24, 28, v16
	v_lshlrev_b64 v[24:25], v24, v[2:3]
	v_sub_u32_e32 v2, 29, v16
	v_and_b32_e32 v16, 7, v24
	v_cndmask_b32_e32 v2, v21, v2, vcc
	v_cndmask_b32_e32 v14, v14, v16, vcc
	v_lshlrev_b32_e32 v15, 24, v15
	v_lshlrev_b32_e32 v14, 20, v14
	v_and_b32_e32 v15, 0x80000000, v15
	v_lshl_add_u32 v2, v2, 23, v49
	v_or3_b32 v14, v15, v2, v14
.LBB2_4151:                             ;   in Loop: Header=BB2_4147 Depth=3
	s_or_b64 exec, exec, s[34:35]
.LBB2_4152:                             ;   in Loop: Header=BB2_4147 Depth=3
	s_or_b64 exec, exec, s[30:31]
.LBB2_4153:                             ;   in Loop: Header=BB2_4147 Depth=3
	s_or_b64 exec, exec, s[28:29]
	v_and_b32_e32 v2, 0xff, v7
	v_cmp_ne_u16_e32 vcc, 0, v2
	s_and_saveexec_b64 s[28:29], vcc
	s_cbranch_execz .LBB2_4159
; %bb.4154:                             ;   in Loop: Header=BB2_4147 Depth=3
	v_cmp_ne_u16_e32 vcc, s70, v2
	v_bfrev_b32_e32 v6, 1
	s_and_saveexec_b64 s[30:31], vcc
	s_cbranch_execz .LBB2_4158
; %bb.4155:                             ;   in Loop: Header=BB2_4147 Depth=3
	v_and_b32_e32 v15, 0x7f, v7
	v_cmp_ne_u32_e32 vcc, s71, v15
	v_mov_b32_e32 v6, 0x7f800001
	s_and_saveexec_b64 s[34:35], vcc
	s_cbranch_execz .LBB2_4157
; %bb.4156:                             ;   in Loop: Header=BB2_4147 Depth=3
	v_and_b32_e32 v16, 7, v2
	v_lshlrev_b32_e32 v6, 24, v7
	v_and_b32_e32 v24, 0x80000000, v6
	v_ffbh_u32_e32 v6, v16
	v_lshrrev_b32_e32 v21, 3, v15
	v_cmp_gt_u32_e32 vcc, 8, v15
	v_min_u32_e32 v15, 32, v6
	v_subrev_u32_e32 v6, 28, v15
	v_lshlrev_b64 v[6:7], v6, v[2:3]
	v_sub_u32_e32 v2, 29, v15
	v_and_b32_e32 v6, 7, v6
	v_cndmask_b32_e32 v2, v21, v2, vcc
	v_cndmask_b32_e32 v6, v16, v6, vcc
	v_lshlrev_b32_e32 v6, 20, v6
	v_lshl_add_u32 v2, v2, 23, v49
	v_or3_b32 v6, v24, v2, v6
.LBB2_4157:                             ;   in Loop: Header=BB2_4147 Depth=3
	s_or_b64 exec, exec, s[34:35]
.LBB2_4158:                             ;   in Loop: Header=BB2_4147 Depth=3
	s_or_b64 exec, exec, s[30:31]
.LBB2_4159:                             ;   in Loop: Header=BB2_4147 Depth=3
	s_or_b64 exec, exec, s[28:29]
	v_mul_f32_e32 v7, v14, v6
	v_and_b32_e32 v2, 0x7f800000, v7
	v_cmp_ne_u64_e32 vcc, s[62:63], v[2:3]
                                        ; implicit-def: $vgpr2
	s_and_saveexec_b64 s[28:29], vcc
	s_xor_b64 s[30:31], exec, s[28:29]
	s_cbranch_execz .LBB2_4177
; %bb.4160:                             ;   in Loop: Header=BB2_4147 Depth=3
	v_and_b32_e32 v2, 0x7fffffff, v7
	v_cmp_gt_u64_e32 vcc, s[72:73], v[2:3]
	v_and_b32_sdwa v6, v7, s70 dst_sel:DWORD dst_unused:UNUSED_PAD src0_sel:BYTE_3 src1_sel:DWORD
                                        ; implicit-def: $vgpr2
	s_and_saveexec_b64 s[28:29], vcc
	s_xor_b64 s[34:35], exec, s[28:29]
	s_cbranch_execz .LBB2_4174
; %bb.4161:                             ;   in Loop: Header=BB2_4147 Depth=3
	v_cmp_ne_u32_e32 vcc, 0, v7
	v_mov_b32_e32 v2, 0
	s_and_saveexec_b64 s[36:37], vcc
	s_cbranch_execz .LBB2_4173
; %bb.4162:                             ;   in Loop: Header=BB2_4147 Depth=3
	v_and_b32_e32 v2, 0x7fffff, v7
	v_bfe_u32 v7, v7, 23, 8
	v_cmp_gt_u32_e64 s[28:29], s80, v7
	v_sub_u32_e32 v14, 0x79, v7
	v_cmp_eq_u32_e32 vcc, 0, v7
	v_cndmask_b32_e64 v14, 0, v14, s[28:29]
	v_cndmask_b32_e32 v16, v14, v1, vcc
	v_or_b32_e32 v15, 0x800000, v2
	v_add_u32_e32 v14, 20, v16
	v_cndmask_b32_e32 v2, v15, v2, vcc
	v_lshlrev_b64 v[14:15], v14, -1
	v_add_u32_e32 v21, 19, v16
	v_lshlrev_b64 v[24:25], v21, 1
	v_bfi_b32 v15, v15, 0, 0
	v_bfi_b32 v14, v14, 0, v2
	v_cmp_eq_u64_e64 s[28:29], v[14:15], v[24:25]
	v_lshrrev_b64 v[14:15], v16, v[2:3]
	v_mov_b32_e32 v41, v15
	v_mov_b32_e32 v40, v14
	s_and_saveexec_b64 s[38:39], s[28:29]
; %bb.4163:                             ;   in Loop: Header=BB2_4147 Depth=3
	v_bfe_u32 v2, v14, 20, 1
	v_add_co_u32_e64 v2, s[28:29], v14, v2
	v_add_co_u32_e64 v40, s[28:29], -1, v2
; %bb.4164:                             ;   in Loop: Header=BB2_4147 Depth=3
	s_or_b64 exec, exec, s[38:39]
	v_add_u32_e32 v2, 0xffffff81, v7
	v_cndmask_b32_e32 v2, v2, v0, vcc
	v_lshrrev_b32_e32 v7, 23, v14
	v_add3_u32 v21, v16, v2, v7
	v_add_u32_e32 v16, 6, v21
	v_and_b32_e32 v2, 0xfffff, v40
	v_add_u32_e32 v2, v2, v14
	v_cmp_ne_u32_e32 vcc, 0, v16
                                        ; implicit-def: $vgpr14_vgpr15
                                        ; implicit-def: $vgpr7
	s_and_saveexec_b64 s[28:29], vcc
	s_xor_b64 s[28:29], exec, s[28:29]
; %bb.4165:                             ;   in Loop: Header=BB2_4147 Depth=3
	v_cmp_lt_u64_e32 vcc, s[88:89], v[2:3]
	v_add_u32_e32 v7, 7, v21
	v_cndmask_b32_e64 v14, 0, 1, vcc
	v_cndmask_b32_e32 v7, v16, v7, vcc
	v_lshrrev_b64 v[14:15], v14, v[2:3]
; %bb.4166:                             ;   in Loop: Header=BB2_4147 Depth=3
	s_andn2_saveexec_b64 s[28:29], s[28:29]
; %bb.4167:                             ;   in Loop: Header=BB2_4147 Depth=3
	v_mov_b32_e32 v15, v3
	v_bfe_u32 v7, v2, 23, 1
	v_mov_b32_e32 v14, v2
; %bb.4168:                             ;   in Loop: Header=BB2_4147 Depth=3
	s_or_b64 exec, exec, s[28:29]
	v_lshrrev_b64 v[14:15], 20, v[14:15]
	v_cmp_gt_i32_e32 vcc, 16, v7
	v_cndmask_b32_e32 v15, 0, v15, vcc
	v_cndmask_b32_e32 v14, 7, v14, vcc
	v_cmp_ne_u64_e32 vcc, 0, v[14:15]
	v_cmp_ne_u32_e64 s[28:29], 0, v7
	s_or_b64 s[28:29], s[28:29], vcc
                                        ; implicit-def: $vgpr2
	s_and_saveexec_b64 s[44:45], s[28:29]
	s_xor_b64 s[28:29], exec, s[44:45]
; %bb.4169:                             ;   in Loop: Header=BB2_4147 Depth=3
	v_min_i32_e32 v2, 15, v7
	v_lshl_or_b32 v2, v2, 3, v6
	v_and_or_b32 v2, v14, 7, v2
                                        ; implicit-def: $vgpr6
; %bb.4170:                             ;   in Loop: Header=BB2_4147 Depth=3
	s_andn2_saveexec_b64 s[28:29], s[28:29]
; %bb.4171:                             ;   in Loop: Header=BB2_4147 Depth=3
	v_mov_b32_e32 v2, v6
; %bb.4172:                             ;   in Loop: Header=BB2_4147 Depth=3
	s_or_b64 exec, exec, s[28:29]
.LBB2_4173:                             ;   in Loop: Header=BB2_4147 Depth=3
	s_or_b64 exec, exec, s[36:37]
                                        ; implicit-def: $vgpr6
.LBB2_4174:                             ;   in Loop: Header=BB2_4147 Depth=3
	s_andn2_saveexec_b64 s[28:29], s[34:35]
; %bb.4175:                             ;   in Loop: Header=BB2_4147 Depth=3
	v_or_b32_e32 v2, 0x7e, v6
; %bb.4176:                             ;   in Loop: Header=BB2_4147 Depth=3
	s_or_b64 exec, exec, s[28:29]
                                        ; implicit-def: $vgpr7
.LBB2_4177:                             ;   in Loop: Header=BB2_4147 Depth=3
	s_andn2_saveexec_b64 s[28:29], s[30:31]
	s_cbranch_execz .LBB2_4146
; %bb.4178:                             ;   in Loop: Header=BB2_4147 Depth=3
	v_or_b32_sdwa v2, v7, s71 dst_sel:DWORD dst_unused:UNUSED_PAD src0_sel:BYTE_3 src1_sel:DWORD
	s_branch .LBB2_4146
.LBB2_4179:                             ;   in Loop: Header=BB2_1679 Depth=2
	s_or_b64 exec, exec, s[40:41]
	buffer_load_dword v24, off, s[0:3], s33 offset:112 ; 4-byte Folded Reload
	buffer_load_dword v25, off, s[0:3], s33 offset:116 ; 4-byte Folded Reload
	;; [unrolled: 1-line block ×4, first 2 shown]
.LBB2_4180:                             ;   in Loop: Header=BB2_1679 Depth=2
	s_waitcnt vmcnt(0)
	v_cmp_lt_i32_e64 s[28:29], 0, v30
	s_and_saveexec_b64 s[40:41], s[10:11]
	s_cbranch_execz .LBB2_4199
.LBB2_4181:                             ;   in Loop: Header=BB2_1679 Depth=2
	s_and_saveexec_b64 s[42:43], s[58:59]
	s_xor_b64 s[42:43], exec, s[42:43]
	s_cbranch_execz .LBB2_4196
; %bb.4182:                             ;   in Loop: Header=BB2_1679 Depth=2
	s_and_saveexec_b64 s[30:31], s[16:17]
	s_cbranch_execz .LBB2_4195
; %bb.4183:                             ;   in Loop: Header=BB2_1679 Depth=2
	s_mov_b64 s[36:37], exec
	v_mbcnt_lo_u32_b32 v2, s36, 0
	v_mbcnt_hi_u32_b32 v2, s37, v2
	v_cmp_eq_u32_e32 vcc, 0, v2
	s_waitcnt vmcnt(0) lgkmcnt(0)
	buffer_wbinvl1_vol
	s_and_saveexec_b64 s[34:35], vcc
	s_cbranch_execz .LBB2_4185
; %bb.4184:                             ;   in Loop: Header=BB2_1679 Depth=2
	s_bcnt1_i32_b64 s44, s[36:37]
	v_mov_b32_e32 v2, s44
	ds_add_u64 v0, v[2:3]
	s_trap 2
.LBB2_4185:                             ;   in Loop: Header=BB2_1679 Depth=2
	s_or_b64 exec, exec, s[34:35]
	s_trap 2
	ds_read_b64 v[6:7], v0
	s_waitcnt lgkmcnt(0)
	v_add_co_u32_e32 v28, vcc, v28, v17
	v_addc_co_u32_e32 v29, vcc, 0, v29, vcc
	v_cmp_lt_u64_e32 vcc, v[6:7], v[28:29]
	s_and_saveexec_b64 s[34:35], vcc
	s_cbranch_execz .LBB2_4194
; %bb.4186:                             ;   in Loop: Header=BB2_1679 Depth=2
	s_mov_b32 s44, 0
	s_mov_b64 s[36:37], 0
                                        ; implicit-def: $sgpr38_sgpr39
                                        ; implicit-def: $sgpr48_sgpr49
	s_branch .LBB2_4188
.LBB2_4187:                             ;   in Loop: Header=BB2_4188 Depth=3
	s_or_b64 exec, exec, s[52:53]
	s_and_b64 vcc, exec, vcc
	s_or_b64 s[36:37], vcc, s[36:37]
	s_andn2_b64 vcc, s[38:39], exec
	s_and_b64 s[38:39], s[48:49], exec
	s_or_b64 s[38:39], vcc, s[38:39]
	s_andn2_b64 exec, exec, s[36:37]
	s_cbranch_execz .LBB2_4192
.LBB2_4188:                             ;   Parent Loop BB2_47 Depth=1
                                        ;     Parent Loop BB2_1679 Depth=2
                                        ; =>    This Inner Loop Header: Depth=3
	s_add_i32 s44, s44, 1
	s_cmpk_lg_i32 s44, 0x2710
	s_cselect_b64 s[50:51], -1, 0
	s_and_b64 vcc, exec, s[50:51]
	s_cbranch_vccz .LBB2_4190
; %bb.4189:                             ;   in Loop: Header=BB2_4188 Depth=3
	s_mov_b64 vcc, -1
	s_or_b64 s[48:49], s[48:49], exec
	s_and_saveexec_b64 s[52:53], s[50:51]
	s_cbranch_execz .LBB2_4187
	s_branch .LBB2_4191
.LBB2_4190:                             ;   in Loop: Header=BB2_4188 Depth=3
	s_trap 2
	ds_read_b64 v[6:7], v0
	s_andn2_b64 s[50:51], s[50:51], exec
	s_mov_b32 s44, 0
	s_waitcnt lgkmcnt(0)
	flat_load_dword v2, v[6:7] glc
	s_waitcnt vmcnt(0) lgkmcnt(0)
	buffer_wbinvl1_vol
	v_cmp_eq_u32_e32 vcc, 0, v2
	s_and_b64 vcc, vcc, exec
	s_or_b64 s[50:51], s[50:51], vcc
	s_mov_b64 vcc, -1
	s_or_b64 s[48:49], s[48:49], exec
	s_and_saveexec_b64 s[52:53], s[50:51]
	s_cbranch_execz .LBB2_4187
.LBB2_4191:                             ;   in Loop: Header=BB2_4188 Depth=3
	s_sleep 1
	s_trap 2
	ds_read_b64 v[6:7], v0
	s_waitcnt lgkmcnt(0)
	s_andn2_b64 s[48:49], s[48:49], exec
	v_cmp_ge_u64_e32 vcc, v[6:7], v[28:29]
	s_orn2_b64 vcc, vcc, exec
	s_branch .LBB2_4187
.LBB2_4192:                             ;   in Loop: Header=BB2_1679 Depth=2
	s_or_b64 exec, exec, s[36:37]
	s_and_saveexec_b64 s[44:45], s[38:39]
	s_xor_b64 s[44:45], exec, s[44:45]
	s_cbranch_execz .LBB2_4194
; %bb.4193:                             ;   in Loop: Header=BB2_1679 Depth=2
	v_mov_b32_e32 v2, 1
	ds_write_b32 v0, v2
	s_trap 2
.LBB2_4194:                             ;   in Loop: Header=BB2_1679 Depth=2
	s_or_b64 exec, exec, s[34:35]
	;;#ASMSTART
	s_wakeup
	;;#ASMEND
.LBB2_4195:                             ;   in Loop: Header=BB2_1679 Depth=2
	s_or_b64 exec, exec, s[30:31]
.LBB2_4196:                             ;   in Loop: Header=BB2_1679 Depth=2
	s_andn2_saveexec_b64 s[42:43], s[42:43]
	s_cbranch_execz .LBB2_4198
; %bb.4197:                             ;   in Loop: Header=BB2_1679 Depth=2
	s_waitcnt vmcnt(0) lgkmcnt(0)
	buffer_wbinvl1_vol
	s_barrier
.LBB2_4198:                             ;   in Loop: Header=BB2_1679 Depth=2
	s_or_b64 exec, exec, s[42:43]
.LBB2_4199:                             ;   in Loop: Header=BB2_1679 Depth=2
	s_or_b64 exec, exec, s[40:41]
	v_and_b32_e32 v4, 16, v20
	s_and_saveexec_b64 s[40:41], s[24:25]
	s_xor_b64 s[40:41], exec, s[40:41]
	s_cbranch_execz .LBB2_4203
; %bb.4200:                             ;   in Loop: Header=BB2_1679 Depth=2
	v_and_b32_e32 v2, 16, v20
	v_cmp_ne_u32_e32 vcc, 0, v2
	v_and_b32_e32 v4, 16, v20
	s_and_b64 s[42:43], vcc, s[28:29]
	s_and_saveexec_b64 s[28:29], s[42:43]
	s_cbranch_execz .LBB2_4202
; %bb.4201:                             ;   in Loop: Header=BB2_1679 Depth=2
	v_mov_b32_e32 v4, 1
	s_waitcnt vmcnt(0) lgkmcnt(0)
	buffer_wbinvl1_vol
.LBB2_4202:                             ;   in Loop: Header=BB2_1679 Depth=2
	s_or_b64 exec, exec, s[28:29]
.LBB2_4203:                             ;   in Loop: Header=BB2_1679 Depth=2
	s_andn2_saveexec_b64 s[28:29], s[40:41]
	s_cbranch_execz .LBB2_4222
; %bb.4204:                             ;   in Loop: Header=BB2_1679 Depth=2
	s_and_saveexec_b64 s[40:41], s[58:59]
	s_xor_b64 s[40:41], exec, s[40:41]
	s_cbranch_execz .LBB2_4219
; %bb.4205:                             ;   in Loop: Header=BB2_1679 Depth=2
	s_and_saveexec_b64 s[42:43], s[16:17]
	s_cbranch_execz .LBB2_4218
; %bb.4206:                             ;   in Loop: Header=BB2_1679 Depth=2
	s_mov_b64 s[34:35], exec
	v_mbcnt_lo_u32_b32 v2, s34, 0
	v_mbcnt_hi_u32_b32 v2, s35, v2
	v_cmp_eq_u32_e32 vcc, 0, v2
	;;#ASMSTART
	s_waitcnt lgkmcnt(0) vmcnt(0)
	;;#ASMEND
	s_and_saveexec_b64 s[30:31], vcc
	s_cbranch_execz .LBB2_4208
; %bb.4207:                             ;   in Loop: Header=BB2_1679 Depth=2
	s_bcnt1_i32_b64 s44, s[34:35]
	v_mov_b32_e32 v2, s44
	s_waitcnt lgkmcnt(0)
	ds_add_u64 v0, v[2:3]
	s_trap 2
.LBB2_4208:                             ;   in Loop: Header=BB2_1679 Depth=2
	s_or_b64 exec, exec, s[30:31]
	s_trap 2
	ds_read_b64 v[6:7], v0
	s_waitcnt lgkmcnt(0)
	v_add_co_u32_e32 v28, vcc, v28, v17
	v_addc_co_u32_e32 v29, vcc, 0, v29, vcc
	v_cmp_lt_u64_e32 vcc, v[6:7], v[28:29]
	s_and_saveexec_b64 s[30:31], vcc
	s_cbranch_execz .LBB2_4217
; %bb.4209:                             ;   in Loop: Header=BB2_1679 Depth=2
	s_mov_b32 s44, 0
	s_mov_b64 s[34:35], 0
                                        ; implicit-def: $sgpr36_sgpr37
                                        ; implicit-def: $sgpr38_sgpr39
	s_branch .LBB2_4211
.LBB2_4210:                             ;   in Loop: Header=BB2_4211 Depth=3
	s_or_b64 exec, exec, s[50:51]
	s_and_b64 vcc, exec, vcc
	s_or_b64 s[34:35], vcc, s[34:35]
	s_andn2_b64 vcc, s[36:37], exec
	s_and_b64 s[36:37], s[38:39], exec
	s_or_b64 s[36:37], vcc, s[36:37]
	s_andn2_b64 exec, exec, s[34:35]
	s_cbranch_execz .LBB2_4215
.LBB2_4211:                             ;   Parent Loop BB2_47 Depth=1
                                        ;     Parent Loop BB2_1679 Depth=2
                                        ; =>    This Inner Loop Header: Depth=3
	s_add_i32 s44, s44, 1
	s_cmpk_lg_i32 s44, 0x2710
	s_cselect_b64 s[48:49], -1, 0
	s_and_b64 vcc, exec, s[48:49]
	s_cbranch_vccz .LBB2_4213
; %bb.4212:                             ;   in Loop: Header=BB2_4211 Depth=3
	s_mov_b64 vcc, -1
	s_or_b64 s[38:39], s[38:39], exec
	s_and_saveexec_b64 s[50:51], s[48:49]
	s_cbranch_execz .LBB2_4210
	s_branch .LBB2_4214
.LBB2_4213:                             ;   in Loop: Header=BB2_4211 Depth=3
	s_trap 2
	ds_read_b64 v[6:7], v0
	s_andn2_b64 s[48:49], s[48:49], exec
	s_mov_b32 s44, 0
	s_waitcnt vmcnt(0) lgkmcnt(0)
	flat_load_dword v2, v[6:7] glc
	s_waitcnt vmcnt(0) lgkmcnt(0)
	buffer_wbinvl1_vol
	v_cmp_eq_u32_e32 vcc, 0, v2
	s_and_b64 vcc, vcc, exec
	s_or_b64 s[48:49], s[48:49], vcc
	s_mov_b64 vcc, -1
	s_or_b64 s[38:39], s[38:39], exec
	s_and_saveexec_b64 s[50:51], s[48:49]
	s_cbranch_execz .LBB2_4210
.LBB2_4214:                             ;   in Loop: Header=BB2_4211 Depth=3
	s_sleep 1
	s_trap 2
	ds_read_b64 v[6:7], v0
	s_waitcnt lgkmcnt(0)
	s_andn2_b64 s[38:39], s[38:39], exec
	v_cmp_ge_u64_e32 vcc, v[6:7], v[28:29]
	s_orn2_b64 vcc, vcc, exec
	s_branch .LBB2_4210
.LBB2_4215:                             ;   in Loop: Header=BB2_1679 Depth=2
	s_or_b64 exec, exec, s[34:35]
	s_and_saveexec_b64 s[44:45], s[36:37]
	s_xor_b64 s[44:45], exec, s[44:45]
	s_cbranch_execz .LBB2_4217
; %bb.4216:                             ;   in Loop: Header=BB2_1679 Depth=2
	v_mov_b32_e32 v2, 1
	ds_write_b32 v0, v2
	s_trap 2
.LBB2_4217:                             ;   in Loop: Header=BB2_1679 Depth=2
	s_or_b64 exec, exec, s[30:31]
	;;#ASMSTART
	s_wakeup
	;;#ASMEND
.LBB2_4218:                             ;   in Loop: Header=BB2_1679 Depth=2
	s_or_b64 exec, exec, s[42:43]
.LBB2_4219:                             ;   in Loop: Header=BB2_1679 Depth=2
	s_andn2_saveexec_b64 s[40:41], s[40:41]
	s_cbranch_execz .LBB2_4221
; %bb.4220:                             ;   in Loop: Header=BB2_1679 Depth=2
	;;#ASMSTART
	s_waitcnt lgkmcnt(0) vmcnt(0)
	;;#ASMEND
	s_waitcnt vmcnt(0) lgkmcnt(0)
	s_barrier
.LBB2_4221:                             ;   in Loop: Header=BB2_1679 Depth=2
	s_or_b64 exec, exec, s[40:41]
.LBB2_4222:                             ;   in Loop: Header=BB2_1679 Depth=2
	s_or_b64 exec, exec, s[28:29]
	v_cmp_ne_u32_e32 vcc, 0, v4
	s_xor_b64 s[28:29], s[12:13], -1
	s_and_b64 s[40:41], vcc, s[28:29]
	s_and_saveexec_b64 s[28:29], s[40:41]
	s_cbranch_execz .LBB2_4224
; %bb.4223:                             ;   in Loop: Header=BB2_1679 Depth=2
	buffer_load_dword v6, off, s[0:3], s33 offset:80 ; 4-byte Folded Reload
	buffer_load_dword v7, off, s[0:3], s33 offset:84 ; 4-byte Folded Reload
	v_mov_b32_e32 v2, 1
	s_waitcnt vmcnt(0)
	flat_store_dword v[6:7], v2
.LBB2_4224:                             ;   in Loop: Header=BB2_1679 Depth=2
	s_or_b64 exec, exec, s[28:29]
	v_and_b32_e32 v2, 48, v20
	v_cmp_ne_u32_e32 vcc, 0, v2
	s_and_saveexec_b64 s[28:29], vcc
	s_cbranch_execz .LBB2_1678
; %bb.4225:                             ;   in Loop: Header=BB2_1679 Depth=2
	v_add_co_u32_e32 v50, vcc, 2, v50
	v_addc_co_u32_e32 v51, vcc, 0, v51, vcc
	flat_store_dwordx2 v[22:23], v[50:51]
	s_branch .LBB2_1678
.LBB2_4226:                             ;   in Loop: Header=BB2_47 Depth=1
	s_or_b64 exec, exec, s[90:91]
	v_cmp_gt_i32_e32 vcc, 2, v2
	s_and_saveexec_b64 s[40:41], vcc
	s_cbranch_execz .LBB2_4302
.LBB2_4227:                             ;   in Loop: Header=BB2_47 Depth=1
	v_cmp_eq_u32_e64 s[90:91], 0, v2
	s_mov_b64 s[42:43], 0
	s_branch .LBB2_4229
.LBB2_4228:                             ;   in Loop: Header=BB2_4229 Depth=2
	s_or_b64 exec, exec, s[28:29]
	v_add_u32_e32 v19, v54, v19
	s_mov_b64 s[90:91], 0
	s_andn2_b64 exec, exec, s[42:43]
	s_cbranch_execz .LBB2_4303
.LBB2_4229:                             ;   Parent Loop BB2_47 Depth=1
                                        ; =>  This Loop Header: Depth=2
                                        ;       Child Loop BB2_4235 Depth 3
                                        ;       Child Loop BB2_4263 Depth 3
	;; [unrolled: 1-line block ×3, first 2 shown]
	v_sub_u32_e32 v2, v18, v19
	v_min_i32_e32 v54, v54, v2
	v_and_b32_e32 v2, 12, v20
	v_cmp_ne_u32_e32 vcc, 0, v2
	s_and_saveexec_b64 s[92:93], vcc
	s_cbranch_execz .LBB2_4255
; %bb.4230:                             ;   in Loop: Header=BB2_4229 Depth=2
	v_and_b32_e32 v2, 8, v20
	s_waitcnt lgkmcnt(0)
	v_add_co_u32_e32 v6, vcc, v32, v2
	v_addc_co_u32_e32 v7, vcc, 0, v33, vcc
	v_add_co_u32_e32 v8, vcc, 2, v50
	v_addc_co_u32_e32 v9, vcc, 0, v51, vcc
	v_cmp_lt_u64_e32 vcc, v[6:7], v[8:9]
	s_and_saveexec_b64 s[94:95], vcc
	s_cbranch_execz .LBB2_4242
; %bb.4231:                             ;   in Loop: Header=BB2_4229 Depth=2
	v_and_b32_e32 v4, 64, v20
	s_mov_b32 s46, 0
	v_cmp_eq_u32_e32 vcc, 0, v4
	s_mov_b64 s[30:31], 0
                                        ; implicit-def: $sgpr34_sgpr35
                                        ; implicit-def: $sgpr36_sgpr37
                                        ; implicit-def: $sgpr38_sgpr39
	s_branch .LBB2_4235
.LBB2_4232:                             ;   in Loop: Header=BB2_4235 Depth=3
	s_waitcnt vmcnt(0) lgkmcnt(0)
	v_add_co_u32_e64 v6, s[28:29], v32, v2
	v_addc_co_u32_e64 v7, s[28:29], 0, v33, s[28:29]
	v_cmp_ge_u64_e64 s[28:29], v[6:7], v[8:9]
	s_or_b64 s[52:53], s[52:53], exec
	s_orn2_b64 s[50:51], s[28:29], exec
.LBB2_4233:                             ;   in Loop: Header=BB2_4235 Depth=3
	s_or_b64 exec, exec, s[64:65]
	s_andn2_b64 s[28:29], s[38:39], exec
	s_and_b64 s[44:45], s[52:53], exec
	s_or_b64 s[38:39], s[28:29], s[44:45]
	s_andn2_b64 s[28:29], s[36:37], exec
	s_and_b64 s[44:45], s[50:51], exec
	s_or_b64 s[36:37], s[28:29], s[44:45]
.LBB2_4234:                             ;   in Loop: Header=BB2_4235 Depth=3
	s_or_b64 exec, exec, s[48:49]
	s_and_b64 s[28:29], exec, s[36:37]
	s_or_b64 s[30:31], s[28:29], s[30:31]
	s_andn2_b64 s[28:29], s[34:35], exec
	s_and_b64 s[44:45], s[38:39], exec
	s_or_b64 s[34:35], s[28:29], s[44:45]
	s_andn2_b64 exec, exec, s[30:31]
	s_cbranch_execz .LBB2_4239
.LBB2_4235:                             ;   Parent Loop BB2_47 Depth=1
                                        ;     Parent Loop BB2_4229 Depth=2
                                        ; =>    This Inner Loop Header: Depth=3
	s_sleep 1
	s_waitcnt vmcnt(0) lgkmcnt(0)
	flat_load_dwordx2 v[32:33], v[22:23] glc
	s_or_b64 s[38:39], s[38:39], exec
	s_or_b64 s[36:37], s[36:37], exec
                                        ; implicit-def: $vgpr4
	s_and_saveexec_b64 s[48:49], vcc
	s_cbranch_execz .LBB2_4234
; %bb.4236:                             ;   in Loop: Header=BB2_4235 Depth=3
	s_cmpk_lt_i32 s46, 0x270f
	s_cselect_b64 s[54:55], -1, 0
	s_cmpk_gt_i32 s46, 0x270e
	s_mov_b64 s[50:51], -1
	s_cbranch_scc0 .LBB2_4238
; %bb.4237:                             ;   in Loop: Header=BB2_4235 Depth=3
	s_trap 2
	ds_read_b64 v[6:7], v0
	s_andn2_b64 s[44:45], s[54:55], exec
	s_mov_b32 s46, 0
	s_mov_b64 s[52:53], 0
	s_waitcnt vmcnt(0) lgkmcnt(0)
	flat_load_dword v4, v[6:7] glc
	s_waitcnt vmcnt(0) lgkmcnt(0)
	buffer_wbinvl1_vol
	v_cmp_eq_u32_e64 s[28:29], 0, v4
	s_and_b64 s[28:29], s[28:29], exec
	s_or_b64 s[54:55], s[44:45], s[28:29]
	s_and_saveexec_b64 s[64:65], s[54:55]
	s_cbranch_execz .LBB2_4233
	s_branch .LBB2_4232
.LBB2_4238:                             ;   in Loop: Header=BB2_4235 Depth=3
	s_add_i32 s46, s46, 1
	s_mov_b64 s[52:53], -1
                                        ; implicit-def: $vgpr4
	s_and_saveexec_b64 s[64:65], s[54:55]
	s_cbranch_execz .LBB2_4233
	s_branch .LBB2_4232
.LBB2_4239:                             ;   in Loop: Header=BB2_4229 Depth=2
	s_or_b64 exec, exec, s[30:31]
	s_xor_b64 s[28:29], s[34:35], -1
	s_and_saveexec_b64 s[44:45], s[28:29]
	s_xor_b64 s[28:29], exec, s[44:45]
	s_cbranch_execz .LBB2_4241
; %bb.4240:                             ;   in Loop: Header=BB2_4229 Depth=2
	v_or_b32_e32 v20, 64, v20
	s_waitcnt lgkmcnt(0)
	ds_write_b32 v0, v4
	s_trap 2
.LBB2_4241:                             ;   in Loop: Header=BB2_4229 Depth=2
	s_or_b64 exec, exec, s[28:29]
.LBB2_4242:                             ;   in Loop: Header=BB2_4229 Depth=2
	s_or_b64 exec, exec, s[94:95]
	v_and_b32_e32 v4, 0x108, v20
	v_cmp_ne_u32_e32 vcc, s69, v4
	;;#ASMSTART
	s_wakeup
	;;#ASMEND
	s_and_saveexec_b64 s[28:29], vcc
	s_xor_b64 s[28:29], exec, s[28:29]
                                        ; implicit-def: $vgpr4
; %bb.4243:                             ;   in Loop: Header=BB2_4229 Depth=2
	v_and_b32_e32 v4, 7, v50
                                        ; implicit-def: $vgpr50_vgpr51
; %bb.4244:                             ;   in Loop: Header=BB2_4229 Depth=2
	s_andn2_saveexec_b64 s[28:29], s[28:29]
	s_cbranch_execz .LBB2_4246
; %bb.4245:                             ;   in Loop: Header=BB2_4229 Depth=2
	v_and_b32_e32 v4, 7, v50
	v_mad_u64_u32 v[6:7], s[44:45], v4, 24, v[24:25]
	v_ashrrev_i32_e32 v55, 31, v54
	flat_store_dwordx2 v[6:7], v[54:55] offset:8
.LBB2_4246:                             ;   in Loop: Header=BB2_4229 Depth=2
	s_or_b64 exec, exec, s[28:29]
	v_and_b32_e32 v6, 0x100, v20
	v_cmp_ne_u32_e32 vcc, 0, v6
	s_mov_b64 s[28:29], -1
                                        ; implicit-def: $vgpr10_vgpr11
	s_and_saveexec_b64 s[94:95], vcc
	s_cbranch_execz .LBB2_4250
; %bb.4247:                             ;   in Loop: Header=BB2_4229 Depth=2
	v_mad_u64_u32 v[12:13], s[28:29], v4, 24, v[24:25]
                                        ; implicit-def: $vgpr10_vgpr11
	v_mov_b32_e32 v6, v13
	v_mad_u64_u32 v[6:7], s[28:29], v3, 24, v[6:7]
	v_mov_b32_e32 v13, v6
	flat_load_dword v6, v[12:13]
	s_waitcnt vmcnt(0) lgkmcnt(0)
	v_cmp_ne_u32_e32 vcc, 1, v6
	v_cmp_eq_u32_e64 s[28:29], 1, v6
	s_and_saveexec_b64 s[30:31], s[28:29]
	s_cbranch_execz .LBB2_4249
; %bb.4248:                             ;   in Loop: Header=BB2_4229 Depth=2
	flat_load_dword v10, v[12:13] offset:4 glc
	s_waitcnt vmcnt(0) lgkmcnt(0)
	v_ashrrev_i32_e32 v11, 31, v10
.LBB2_4249:                             ;   in Loop: Header=BB2_4229 Depth=2
	s_or_b64 exec, exec, s[30:31]
	s_orn2_b64 s[28:29], vcc, exec
.LBB2_4250:                             ;   in Loop: Header=BB2_4229 Depth=2
	s_or_b64 exec, exec, s[94:95]
	s_and_saveexec_b64 s[94:95], s[28:29]
	s_cbranch_execz .LBB2_4252
; %bb.4251:                             ;   in Loop: Header=BB2_4229 Depth=2
	buffer_load_dword v7, off, s[0:3], s33 offset:104 ; 4-byte Folded Reload
	v_mul_lo_u32 v6, v3, v47
	v_mad_u64_u32 v[10:11], s[28:29], v4, v47, 0
	s_waitcnt vmcnt(0)
	v_mul_lo_u32 v7, v4, v7
	v_add3_u32 v11, v11, v7, v6
.LBB2_4252:                             ;   in Loop: Header=BB2_4229 Depth=2
	s_or_b64 exec, exec, s[94:95]
	buffer_load_dword v6, off, s[0:3], s33 offset:72 ; 4-byte Folded Reload
	buffer_load_dword v7, off, s[0:3], s33 offset:76 ; 4-byte Folded Reload
	v_cmp_eq_u32_e32 vcc, 0, v2
	v_mov_b32_e32 v2, 0x90
	v_mov_b32_e32 v4, 0xd0
	v_cndmask_b32_e32 v2, v4, v2, vcc
	v_add_u32_e32 v2, v0, v2
	s_waitcnt vmcnt(0)
	v_add_co_u32_e32 v6, vcc, v6, v10
	v_addc_co_u32_e32 v7, vcc, v7, v11, vcc
	ds_write_b64 v2, v[6:7] offset:584
	v_and_b32_e32 v2, 0x2000, v20
	v_cmp_ne_u32_e32 vcc, 0, v2
	s_and_saveexec_b64 s[28:29], vcc
	s_cbranch_execz .LBB2_4254
; %bb.4253:                             ;   in Loop: Header=BB2_4229 Depth=2
	ds_read_b64 v[6:7], v0 offset:872
	s_waitcnt lgkmcnt(0)
	v_add_co_u32_e32 v6, vcc, 1, v6
	v_addc_co_u32_e32 v7, vcc, 0, v7, vcc
	ds_write_b64 v0, v[6:7] offset:872
.LBB2_4254:                             ;   in Loop: Header=BB2_4229 Depth=2
	s_or_b64 exec, exec, s[28:29]
	v_mov_b32_e32 v51, v9
	v_mov_b32_e32 v50, v8
.LBB2_4255:                             ;   in Loop: Header=BB2_4229 Depth=2
	s_or_b64 exec, exec, s[92:93]
	s_xor_b64 s[28:29], s[90:91], -1
	s_and_b64 s[28:29], exec, s[28:29]
	s_or_b64 s[42:43], s[28:29], s[42:43]
	s_and_saveexec_b64 s[28:29], s[10:11]
	s_cbranch_execz .LBB2_4274
; %bb.4256:                             ;   in Loop: Header=BB2_4229 Depth=2
	s_and_saveexec_b64 s[44:45], s[58:59]
	s_xor_b64 s[90:91], exec, s[44:45]
	s_cbranch_execz .LBB2_4271
; %bb.4257:                             ;   in Loop: Header=BB2_4229 Depth=2
	s_and_saveexec_b64 s[92:93], s[16:17]
	s_cbranch_execz .LBB2_4270
; %bb.4258:                             ;   in Loop: Header=BB2_4229 Depth=2
	s_mov_b64 s[30:31], exec
	v_mbcnt_lo_u32_b32 v2, s30, 0
	v_mbcnt_hi_u32_b32 v2, s31, v2
	v_cmp_eq_u32_e32 vcc, 0, v2
	s_waitcnt vmcnt(0) lgkmcnt(0)
	buffer_wbinvl1_vol
	s_and_saveexec_b64 s[94:95], vcc
	s_cbranch_execz .LBB2_4260
; %bb.4259:                             ;   in Loop: Header=BB2_4229 Depth=2
	s_bcnt1_i32_b64 s44, s[30:31]
	v_mov_b32_e32 v2, s44
	ds_add_u64 v0, v[2:3]
	s_trap 2
.LBB2_4260:                             ;   in Loop: Header=BB2_4229 Depth=2
	s_or_b64 exec, exec, s[94:95]
	s_trap 2
	ds_read_b64 v[6:7], v0
	s_waitcnt lgkmcnt(0)
	v_add_co_u32_e32 v28, vcc, v28, v17
	v_addc_co_u32_e32 v29, vcc, 0, v29, vcc
	v_cmp_lt_u64_e32 vcc, v[6:7], v[28:29]
	s_and_saveexec_b64 s[94:95], vcc
	s_cbranch_execz .LBB2_4269
; %bb.4261:                             ;   in Loop: Header=BB2_4229 Depth=2
	s_mov_b32 s44, 0
	s_mov_b64 s[30:31], 0
                                        ; implicit-def: $sgpr34_sgpr35
                                        ; implicit-def: $sgpr36_sgpr37
	s_branch .LBB2_4263
.LBB2_4262:                             ;   in Loop: Header=BB2_4263 Depth=3
	s_or_b64 exec, exec, s[48:49]
	s_and_b64 s[46:47], exec, vcc
	s_or_b64 s[30:31], s[46:47], s[30:31]
	s_andn2_b64 s[46:47], s[34:35], exec
	s_and_b64 vcc, s[36:37], exec
	s_or_b64 s[34:35], s[46:47], vcc
	s_andn2_b64 exec, exec, s[30:31]
	s_cbranch_execz .LBB2_4267
.LBB2_4263:                             ;   Parent Loop BB2_47 Depth=1
                                        ;     Parent Loop BB2_4229 Depth=2
                                        ; =>    This Inner Loop Header: Depth=3
	s_add_i32 s44, s44, 1
	s_cmpk_lg_i32 s44, 0x2710
	s_cselect_b64 s[38:39], -1, 0
	s_and_b64 vcc, exec, s[38:39]
	s_cbranch_vccz .LBB2_4265
; %bb.4264:                             ;   in Loop: Header=BB2_4263 Depth=3
	s_mov_b64 vcc, -1
	s_or_b64 s[36:37], s[36:37], exec
	s_and_saveexec_b64 s[48:49], s[38:39]
	s_cbranch_execz .LBB2_4262
	s_branch .LBB2_4266
.LBB2_4265:                             ;   in Loop: Header=BB2_4263 Depth=3
	s_trap 2
	ds_read_b64 v[6:7], v0
	s_andn2_b64 s[46:47], s[38:39], exec
	s_mov_b32 s44, 0
	s_waitcnt lgkmcnt(0)
	flat_load_dword v2, v[6:7] glc
	s_waitcnt vmcnt(0) lgkmcnt(0)
	buffer_wbinvl1_vol
	v_cmp_eq_u32_e32 vcc, 0, v2
	s_and_b64 vcc, vcc, exec
	s_or_b64 s[38:39], s[46:47], vcc
	s_mov_b64 vcc, -1
	s_or_b64 s[36:37], s[36:37], exec
	s_and_saveexec_b64 s[48:49], s[38:39]
	s_cbranch_execz .LBB2_4262
.LBB2_4266:                             ;   in Loop: Header=BB2_4263 Depth=3
	s_sleep 1
	s_trap 2
	ds_read_b64 v[6:7], v0
	s_waitcnt lgkmcnt(0)
	s_andn2_b64 s[36:37], s[36:37], exec
	v_cmp_ge_u64_e32 vcc, v[6:7], v[28:29]
	s_orn2_b64 vcc, vcc, exec
	s_branch .LBB2_4262
.LBB2_4267:                             ;   in Loop: Header=BB2_4229 Depth=2
	s_or_b64 exec, exec, s[30:31]
	s_and_saveexec_b64 s[44:45], s[34:35]
	s_xor_b64 s[44:45], exec, s[44:45]
	s_cbranch_execz .LBB2_4269
; %bb.4268:                             ;   in Loop: Header=BB2_4229 Depth=2
	v_mov_b32_e32 v2, 1
	ds_write_b32 v0, v2
	s_trap 2
.LBB2_4269:                             ;   in Loop: Header=BB2_4229 Depth=2
	s_or_b64 exec, exec, s[94:95]
	;;#ASMSTART
	s_wakeup
	;;#ASMEND
.LBB2_4270:                             ;   in Loop: Header=BB2_4229 Depth=2
	s_or_b64 exec, exec, s[92:93]
.LBB2_4271:                             ;   in Loop: Header=BB2_4229 Depth=2
	s_andn2_saveexec_b64 s[90:91], s[90:91]
	s_cbranch_execz .LBB2_4273
; %bb.4272:                             ;   in Loop: Header=BB2_4229 Depth=2
	s_waitcnt vmcnt(0) lgkmcnt(0)
	buffer_wbinvl1_vol
	s_barrier
.LBB2_4273:                             ;   in Loop: Header=BB2_4229 Depth=2
	s_or_b64 exec, exec, s[90:91]
.LBB2_4274:                             ;   in Loop: Header=BB2_4229 Depth=2
	s_or_b64 exec, exec, s[28:29]
	v_and_b32_e32 v4, 16, v20
	s_and_saveexec_b64 s[28:29], s[24:25]
	s_xor_b64 s[28:29], exec, s[28:29]
	s_cbranch_execz .LBB2_4278
; %bb.4275:                             ;   in Loop: Header=BB2_4229 Depth=2
	s_trap 2
	ds_read_b32 v2, v0
	v_cmp_lt_i32_e32 vcc, 0, v54
	v_and_b32_e32 v4, 16, v20
	s_waitcnt lgkmcnt(0)
	v_readfirstlane_b32 s44, v2
	s_cmp_eq_u32 s44, 0
	s_cselect_b64 s[44:45], -1, 0
	v_and_b32_e32 v2, 16, v20
	s_and_b64 s[44:45], vcc, s[44:45]
	v_cmp_ne_u32_e32 vcc, 0, v2
	s_and_b64 s[44:45], vcc, s[44:45]
	s_and_saveexec_b64 s[90:91], s[44:45]
	s_cbranch_execz .LBB2_4277
; %bb.4276:                             ;   in Loop: Header=BB2_4229 Depth=2
	v_mov_b32_e32 v4, 1
	s_waitcnt vmcnt(0)
	buffer_wbinvl1_vol
.LBB2_4277:                             ;   in Loop: Header=BB2_4229 Depth=2
	s_or_b64 exec, exec, s[90:91]
.LBB2_4278:                             ;   in Loop: Header=BB2_4229 Depth=2
	s_andn2_saveexec_b64 s[28:29], s[28:29]
	s_cbranch_execz .LBB2_4297
; %bb.4279:                             ;   in Loop: Header=BB2_4229 Depth=2
	s_and_saveexec_b64 s[44:45], s[58:59]
	s_xor_b64 s[90:91], exec, s[44:45]
	s_cbranch_execz .LBB2_4294
; %bb.4280:                             ;   in Loop: Header=BB2_4229 Depth=2
	s_and_saveexec_b64 s[92:93], s[16:17]
	s_cbranch_execz .LBB2_4293
; %bb.4281:                             ;   in Loop: Header=BB2_4229 Depth=2
	s_mov_b64 s[30:31], exec
	v_mbcnt_lo_u32_b32 v2, s30, 0
	v_mbcnt_hi_u32_b32 v2, s31, v2
	v_cmp_eq_u32_e32 vcc, 0, v2
	;;#ASMSTART
	s_waitcnt lgkmcnt(0) vmcnt(0)
	;;#ASMEND
	s_and_saveexec_b64 s[94:95], vcc
	s_cbranch_execz .LBB2_4283
; %bb.4282:                             ;   in Loop: Header=BB2_4229 Depth=2
	s_bcnt1_i32_b64 s44, s[30:31]
	v_mov_b32_e32 v2, s44
	s_waitcnt lgkmcnt(0)
	ds_add_u64 v0, v[2:3]
	s_trap 2
.LBB2_4283:                             ;   in Loop: Header=BB2_4229 Depth=2
	s_or_b64 exec, exec, s[94:95]
	s_trap 2
	ds_read_b64 v[6:7], v0
	s_waitcnt lgkmcnt(0)
	v_add_co_u32_e32 v28, vcc, v28, v17
	v_addc_co_u32_e32 v29, vcc, 0, v29, vcc
	v_cmp_lt_u64_e32 vcc, v[6:7], v[28:29]
	s_and_saveexec_b64 s[94:95], vcc
	s_cbranch_execz .LBB2_4292
; %bb.4284:                             ;   in Loop: Header=BB2_4229 Depth=2
	s_mov_b32 s44, 0
	s_mov_b64 s[30:31], 0
                                        ; implicit-def: $sgpr34_sgpr35
                                        ; implicit-def: $sgpr36_sgpr37
	s_branch .LBB2_4286
.LBB2_4285:                             ;   in Loop: Header=BB2_4286 Depth=3
	s_or_b64 exec, exec, s[48:49]
	s_and_b64 s[46:47], exec, vcc
	s_or_b64 s[30:31], s[46:47], s[30:31]
	s_andn2_b64 s[46:47], s[34:35], exec
	s_and_b64 vcc, s[36:37], exec
	s_or_b64 s[34:35], s[46:47], vcc
	s_andn2_b64 exec, exec, s[30:31]
	s_cbranch_execz .LBB2_4290
.LBB2_4286:                             ;   Parent Loop BB2_47 Depth=1
                                        ;     Parent Loop BB2_4229 Depth=2
                                        ; =>    This Inner Loop Header: Depth=3
	s_add_i32 s44, s44, 1
	s_cmpk_lg_i32 s44, 0x2710
	s_cselect_b64 s[38:39], -1, 0
	s_and_b64 vcc, exec, s[38:39]
	s_cbranch_vccz .LBB2_4288
; %bb.4287:                             ;   in Loop: Header=BB2_4286 Depth=3
	s_mov_b64 vcc, -1
	s_or_b64 s[36:37], s[36:37], exec
	s_and_saveexec_b64 s[48:49], s[38:39]
	s_cbranch_execz .LBB2_4285
	s_branch .LBB2_4289
.LBB2_4288:                             ;   in Loop: Header=BB2_4286 Depth=3
	s_trap 2
	ds_read_b64 v[6:7], v0
	s_andn2_b64 s[46:47], s[38:39], exec
	s_mov_b32 s44, 0
	s_waitcnt vmcnt(0) lgkmcnt(0)
	flat_load_dword v2, v[6:7] glc
	s_waitcnt vmcnt(0) lgkmcnt(0)
	buffer_wbinvl1_vol
	v_cmp_eq_u32_e32 vcc, 0, v2
	s_and_b64 vcc, vcc, exec
	s_or_b64 s[38:39], s[46:47], vcc
	s_mov_b64 vcc, -1
	s_or_b64 s[36:37], s[36:37], exec
	s_and_saveexec_b64 s[48:49], s[38:39]
	s_cbranch_execz .LBB2_4285
.LBB2_4289:                             ;   in Loop: Header=BB2_4286 Depth=3
	s_sleep 1
	s_trap 2
	ds_read_b64 v[6:7], v0
	s_waitcnt lgkmcnt(0)
	s_andn2_b64 s[36:37], s[36:37], exec
	v_cmp_ge_u64_e32 vcc, v[6:7], v[28:29]
	s_orn2_b64 vcc, vcc, exec
	s_branch .LBB2_4285
.LBB2_4290:                             ;   in Loop: Header=BB2_4229 Depth=2
	s_or_b64 exec, exec, s[30:31]
	s_and_saveexec_b64 s[44:45], s[34:35]
	s_xor_b64 s[44:45], exec, s[44:45]
	s_cbranch_execz .LBB2_4292
; %bb.4291:                             ;   in Loop: Header=BB2_4229 Depth=2
	v_mov_b32_e32 v2, 1
	ds_write_b32 v0, v2
	s_trap 2
.LBB2_4292:                             ;   in Loop: Header=BB2_4229 Depth=2
	s_or_b64 exec, exec, s[94:95]
	;;#ASMSTART
	s_wakeup
	;;#ASMEND
.LBB2_4293:                             ;   in Loop: Header=BB2_4229 Depth=2
	s_or_b64 exec, exec, s[92:93]
.LBB2_4294:                             ;   in Loop: Header=BB2_4229 Depth=2
	s_andn2_saveexec_b64 s[90:91], s[90:91]
	s_cbranch_execz .LBB2_4296
; %bb.4295:                             ;   in Loop: Header=BB2_4229 Depth=2
	;;#ASMSTART
	s_waitcnt lgkmcnt(0) vmcnt(0)
	;;#ASMEND
	s_waitcnt vmcnt(0) lgkmcnt(0)
	s_barrier
.LBB2_4296:                             ;   in Loop: Header=BB2_4229 Depth=2
	s_or_b64 exec, exec, s[90:91]
.LBB2_4297:                             ;   in Loop: Header=BB2_4229 Depth=2
	s_or_b64 exec, exec, s[28:29]
	v_cmp_ne_u32_e32 vcc, 0, v4
	s_xor_b64 s[28:29], s[12:13], -1
	s_and_b64 s[44:45], vcc, s[28:29]
	s_and_saveexec_b64 s[28:29], s[44:45]
	s_cbranch_execz .LBB2_4299
; %bb.4298:                             ;   in Loop: Header=BB2_4229 Depth=2
	buffer_load_dword v6, off, s[0:3], s33 offset:80 ; 4-byte Folded Reload
	buffer_load_dword v7, off, s[0:3], s33 offset:84 ; 4-byte Folded Reload
	v_mov_b32_e32 v2, 1
	s_waitcnt vmcnt(0)
	flat_store_dword v[6:7], v2
.LBB2_4299:                             ;   in Loop: Header=BB2_4229 Depth=2
	s_or_b64 exec, exec, s[28:29]
	v_and_b32_e32 v2, 48, v20
	v_cmp_ne_u32_e32 vcc, 0, v2
	s_and_saveexec_b64 s[28:29], vcc
	s_cbranch_execz .LBB2_4228
; %bb.4300:                             ;   in Loop: Header=BB2_4229 Depth=2
	v_add_co_u32_e32 v50, vcc, 2, v50
	v_addc_co_u32_e32 v51, vcc, 0, v51, vcc
	flat_store_dwordx2 v[22:23], v[50:51]
	s_branch .LBB2_4228
.LBB2_4301:                             ;   in Loop: Header=BB2_47 Depth=1
	s_or_b64 exec, exec, s[92:93]
	s_or_b64 exec, exec, s[90:91]
	v_cmp_gt_i32_e32 vcc, 2, v2
	s_and_saveexec_b64 s[40:41], vcc
	s_cbranch_execnz .LBB2_4227
.LBB2_4302:                             ;   in Loop: Header=BB2_47 Depth=1
	s_or_b64 exec, exec, s[40:41]
	buffer_load_dword v54, off, s[0:3], s33 offset:56 ; 4-byte Folded Reload
	s_and_b64 vcc, exec, s[26:27]
	s_cbranch_vccz .LBB2_4304
	s_branch .LBB2_4567
.LBB2_4303:                             ;   in Loop: Header=BB2_47 Depth=1
	s_or_b64 exec, exec, s[42:43]
	s_or_b64 exec, exec, s[40:41]
	buffer_load_dword v54, off, s[0:3], s33 offset:56 ; 4-byte Folded Reload
	s_and_b64 vcc, exec, s[26:27]
	s_cbranch_vccnz .LBB2_4567
.LBB2_4304:                             ;   in Loop: Header=BB2_47 Depth=1
	s_mov_b32 s46, 1
.LBB2_4305:                             ;   Parent Loop BB2_47 Depth=1
                                        ; =>  This Loop Header: Depth=2
                                        ;       Child Loop BB2_4308 Depth 3
                                        ;         Child Loop BB2_4316 Depth 4
                                        ;         Child Loop BB2_4344 Depth 4
                                        ;         Child Loop BB2_4363 Depth 4
                                        ;         Child Loop BB2_4387 Depth 4
                                        ;           Child Loop BB2_4388 Depth 5
                                        ;         Child Loop BB2_4394 Depth 4
                                        ;           Child Loop BB2_4395 Depth 5
                                        ;         Child Loop BB2_4404 Depth 4
                                        ;         Child Loop BB2_4409 Depth 4
                                        ;           Child Loop BB2_4410 Depth 5
                                        ;         Child Loop BB2_4422 Depth 4
                                        ;         Child Loop BB2_4427 Depth 4
	;; [unrolled: 1-line block ×6, first 2 shown]
                                        ;       Child Loop BB2_4491 Depth 3
                                        ;         Child Loop BB2_4497 Depth 4
                                        ;         Child Loop BB2_4525 Depth 4
                                        ;         Child Loop BB2_4548 Depth 4
	buffer_load_dword v10, off, s[0:3], s33 offset:184 ; 4-byte Folded Reload
	buffer_load_dword v11, off, s[0:3], s33 offset:188 ; 4-byte Folded Reload
	;; [unrolled: 1-line block ×4, first 2 shown]
	s_sub_i32 s26, s83, s46
	s_cmp_ge_i32 s26, s66
	s_cselect_b32 s27, s66, 0
	s_sub_i32 s26, s26, s27
	s_ashr_i32 s28, s26, 31
	s_waitcnt vmcnt(0)
	v_mul_lo_u32 v4, v10, s28
	v_mul_lo_u32 v2, v11, s26
	v_mad_u64_u32 v[8:9], s[26:27], v10, s26, 0
	v_add3_u32 v9, v9, v4, v2
	v_sub_co_u32_e32 v6, vcc, v6, v8
	v_subb_co_u32_e32 v7, vcc, v7, v9, vcc
	v_cmp_lt_i64_e32 vcc, v[10:11], v[6:7]
	v_cndmask_b32_e32 v2, v6, v10, vcc
	v_max_i32_e32 v4, 0, v2
	v_add_u32_e32 v6, 31, v4
	v_lshrrev_b32_e32 v6, 1, v6
	v_and_b32_e32 v6, 0x3ffffff0, v6
	v_cmp_lt_i32_e32 vcc, 0, v2
	v_max_i32_e32 v12, s86, v6
	s_and_b64 s[26:27], s[78:79], vcc
	v_mov_b32_e32 v2, 0
	v_mov_b32_e32 v6, 0
	s_and_saveexec_b64 s[42:43], s[26:27]
	s_cbranch_execz .LBB2_4488
; %bb.4306:                             ;   in Loop: Header=BB2_4305 Depth=2
	buffer_load_dword v2, off, s[0:3], s33 offset:128 ; 4-byte Folded Reload
	s_mov_b32 s47, 1
	s_mov_b64 s[92:93], -1
	v_mov_b32_e32 v6, 0
	s_mov_b64 s[90:91], 0
	s_waitcnt vmcnt(0)
	v_add_co_u32_e32 v7, vcc, v8, v2
	buffer_load_dword v2, off, s[0:3], s33 offset:132 ; 4-byte Folded Reload
	s_waitcnt vmcnt(0)
	v_addc_co_u32_e32 v15, vcc, v9, v2, vcc
	s_branch .LBB2_4308
.LBB2_4307:                             ;   in Loop: Header=BB2_4308 Depth=3
	s_or_b64 exec, exec, s[26:27]
	v_add_u32_e32 v6, v12, v6
	v_cmp_ge_i32_e32 vcc, v6, v4
	s_xor_b64 s[26:27], s[92:93], -1
	s_or_b64 s[26:27], s[26:27], vcc
	s_and_b64 s[26:27], exec, s[26:27]
	s_or_b64 s[90:91], s[26:27], s[90:91]
	s_mov_b64 s[92:93], 0
	v_mov_b32_e32 v2, s47
	s_mov_b32 s47, 2
	s_andn2_b64 exec, exec, s[90:91]
	s_cbranch_execz .LBB2_4563
.LBB2_4308:                             ;   Parent Loop BB2_47 Depth=1
                                        ;     Parent Loop BB2_4305 Depth=2
                                        ; =>    This Loop Header: Depth=3
                                        ;         Child Loop BB2_4316 Depth 4
                                        ;         Child Loop BB2_4344 Depth 4
	;; [unrolled: 1-line block ×4, first 2 shown]
                                        ;           Child Loop BB2_4388 Depth 5
                                        ;         Child Loop BB2_4394 Depth 4
                                        ;           Child Loop BB2_4395 Depth 5
                                        ;         Child Loop BB2_4404 Depth 4
                                        ;         Child Loop BB2_4409 Depth 4
                                        ;           Child Loop BB2_4410 Depth 5
                                        ;         Child Loop BB2_4422 Depth 4
                                        ;         Child Loop BB2_4427 Depth 4
	;; [unrolled: 1-line block ×6, first 2 shown]
	s_and_saveexec_b64 s[26:27], s[4:5]
	s_cbranch_execz .LBB2_4310
; %bb.4309:                             ;   in Loop: Header=BB2_4308 Depth=3
	s_trap 2
	ds_read_b128 v[8:11], v0
	v_ashrrev_i32_e32 v13, 31, v6
	s_waitcnt lgkmcnt(0)
	v_add_co_u32_e32 v2, vcc, v8, v7
	v_addc_co_u32_e32 v9, vcc, v9, v15, vcc
	v_add_co_u32_e32 v8, vcc, v2, v6
	v_addc_co_u32_e32 v9, vcc, v9, v13, vcc
	v_add_co_u32_e32 v2, vcc, v10, v7
	ds_write_b64 v0, v[8:9]
	v_addc_co_u32_e32 v8, vcc, v11, v15, vcc
	v_add_co_u32_e32 v2, vcc, v2, v6
	v_addc_co_u32_e32 v8, vcc, v8, v13, vcc
	v_cmp_ne_u64_e32 vcc, 0, v[10:11]
	v_cndmask_b32_e32 v9, 0, v8, vcc
	v_cndmask_b32_e32 v8, 0, v2, vcc
	ds_write_b64 v0, v[8:9]
.LBB2_4310:                             ;   in Loop: Header=BB2_4308 Depth=3
	s_or_b64 exec, exec, s[26:27]
	v_sub_u32_e32 v2, v4, v6
	v_min_i32_e32 v12, v12, v2
	v_and_b32_e32 v2, 12, v20
	v_cmp_ne_u32_e32 vcc, 0, v2
	s_and_saveexec_b64 s[28:29], vcc
	s_cbranch_execz .LBB2_4336
; %bb.4311:                             ;   in Loop: Header=BB2_4308 Depth=3
	v_and_b32_e32 v2, 8, v20
	s_waitcnt lgkmcnt(0)
	v_add_co_u32_e32 v10, vcc, v32, v2
	v_addc_co_u32_e32 v11, vcc, 0, v33, vcc
	v_add_co_u32_e32 v8, vcc, 2, v50
	v_addc_co_u32_e32 v9, vcc, 0, v51, vcc
	v_cmp_lt_u64_e32 vcc, v[10:11], v[8:9]
	s_and_saveexec_b64 s[40:41], vcc
	s_cbranch_execz .LBB2_4323
; %bb.4312:                             ;   in Loop: Header=BB2_4308 Depth=3
	v_and_b32_e32 v10, 64, v20
	s_mov_b32 s44, 0
	v_cmp_eq_u32_e32 vcc, 0, v10
	s_mov_b64 s[94:95], 0
                                        ; implicit-def: $sgpr30_sgpr31
                                        ; implicit-def: $sgpr34_sgpr35
                                        ; implicit-def: $sgpr36_sgpr37
	s_branch .LBB2_4316
.LBB2_4313:                             ;   in Loop: Header=BB2_4316 Depth=4
	s_waitcnt vmcnt(0) lgkmcnt(0)
	v_add_co_u32_e64 v13, s[26:27], v32, v2
	v_addc_co_u32_e64 v14, s[26:27], 0, v33, s[26:27]
	v_cmp_ge_u64_e64 s[26:27], v[13:14], v[8:9]
	s_or_b64 s[50:51], s[50:51], exec
	s_orn2_b64 s[48:49], s[26:27], exec
.LBB2_4314:                             ;   in Loop: Header=BB2_4316 Depth=4
	s_or_b64 exec, exec, s[54:55]
	s_andn2_b64 s[26:27], s[36:37], exec
	s_and_b64 s[36:37], s[50:51], exec
	s_or_b64 s[36:37], s[26:27], s[36:37]
	s_andn2_b64 s[26:27], s[34:35], exec
	s_and_b64 s[34:35], s[48:49], exec
	s_or_b64 s[34:35], s[26:27], s[34:35]
.LBB2_4315:                             ;   in Loop: Header=BB2_4316 Depth=4
	s_or_b64 exec, exec, s[38:39]
	s_and_b64 s[26:27], exec, s[34:35]
	s_or_b64 s[94:95], s[26:27], s[94:95]
	s_andn2_b64 s[26:27], s[30:31], exec
	s_and_b64 s[30:31], s[36:37], exec
	s_or_b64 s[30:31], s[26:27], s[30:31]
	s_andn2_b64 exec, exec, s[94:95]
	s_cbranch_execz .LBB2_4320
.LBB2_4316:                             ;   Parent Loop BB2_47 Depth=1
                                        ;     Parent Loop BB2_4305 Depth=2
                                        ;       Parent Loop BB2_4308 Depth=3
                                        ; =>      This Inner Loop Header: Depth=4
	s_sleep 1
	s_waitcnt vmcnt(0) lgkmcnt(0)
	flat_load_dwordx2 v[32:33], v[22:23] glc
	s_or_b64 s[36:37], s[36:37], exec
	s_or_b64 s[34:35], s[34:35], exec
                                        ; implicit-def: $vgpr10
	s_and_saveexec_b64 s[38:39], vcc
	s_cbranch_execz .LBB2_4315
; %bb.4317:                             ;   in Loop: Header=BB2_4316 Depth=4
	s_cmpk_lt_i32 s44, 0x270f
	s_cselect_b64 s[52:53], -1, 0
	s_cmpk_gt_i32 s44, 0x270e
	s_mov_b64 s[48:49], -1
	s_cbranch_scc0 .LBB2_4319
; %bb.4318:                             ;   in Loop: Header=BB2_4316 Depth=4
	s_trap 2
	ds_read_b64 v[10:11], v0
	s_andn2_b64 s[52:53], s[52:53], exec
	s_mov_b32 s44, 0
	s_mov_b64 s[50:51], 0
	s_waitcnt vmcnt(0) lgkmcnt(0)
	flat_load_dword v10, v[10:11] glc
	s_waitcnt vmcnt(0) lgkmcnt(0)
	buffer_wbinvl1_vol
	v_cmp_eq_u32_e64 s[26:27], 0, v10
	s_and_b64 s[26:27], s[26:27], exec
	s_or_b64 s[52:53], s[52:53], s[26:27]
	s_and_saveexec_b64 s[54:55], s[52:53]
	s_cbranch_execz .LBB2_4314
	s_branch .LBB2_4313
.LBB2_4319:                             ;   in Loop: Header=BB2_4316 Depth=4
	s_add_i32 s44, s44, 1
	s_mov_b64 s[50:51], -1
                                        ; implicit-def: $vgpr10
	s_and_saveexec_b64 s[54:55], s[52:53]
	s_cbranch_execz .LBB2_4314
	s_branch .LBB2_4313
.LBB2_4320:                             ;   in Loop: Header=BB2_4308 Depth=3
	s_or_b64 exec, exec, s[94:95]
	s_xor_b64 s[26:27], s[30:31], -1
	s_and_saveexec_b64 s[44:45], s[26:27]
	s_xor_b64 s[26:27], exec, s[44:45]
	s_cbranch_execz .LBB2_4322
; %bb.4321:                             ;   in Loop: Header=BB2_4308 Depth=3
	v_or_b32_e32 v20, 64, v20
	s_waitcnt lgkmcnt(0)
	ds_write_b32 v0, v10
	s_trap 2
.LBB2_4322:                             ;   in Loop: Header=BB2_4308 Depth=3
	s_or_b64 exec, exec, s[26:27]
.LBB2_4323:                             ;   in Loop: Header=BB2_4308 Depth=3
	s_or_b64 exec, exec, s[40:41]
	v_and_b32_e32 v10, 0x108, v20
	v_cmp_ne_u32_e32 vcc, s69, v10
	;;#ASMSTART
	s_wakeup
	;;#ASMEND
	s_and_saveexec_b64 s[26:27], vcc
	s_xor_b64 s[26:27], exec, s[26:27]
                                        ; implicit-def: $vgpr16
; %bb.4324:                             ;   in Loop: Header=BB2_4308 Depth=3
	v_and_b32_e32 v16, 7, v50
                                        ; implicit-def: $vgpr50_vgpr51
; %bb.4325:                             ;   in Loop: Header=BB2_4308 Depth=3
	s_andn2_saveexec_b64 s[26:27], s[26:27]
	s_cbranch_execz .LBB2_4327
; %bb.4326:                             ;   in Loop: Header=BB2_4308 Depth=3
	v_and_b32_e32 v16, 7, v50
	v_mad_u64_u32 v[10:11], s[40:41], v16, 24, v[24:25]
	v_ashrrev_i32_e32 v13, 31, v12
	flat_store_dwordx2 v[10:11], v[12:13] offset:8
.LBB2_4327:                             ;   in Loop: Header=BB2_4308 Depth=3
	s_or_b64 exec, exec, s[26:27]
	v_and_b32_e32 v10, 0x100, v20
	v_cmp_ne_u32_e32 vcc, 0, v10
	s_mov_b64 s[26:27], -1
                                        ; implicit-def: $vgpr10_vgpr11
	s_and_saveexec_b64 s[40:41], vcc
	s_cbranch_execz .LBB2_4331
; %bb.4328:                             ;   in Loop: Header=BB2_4308 Depth=3
	v_mad_u64_u32 v[13:14], s[26:27], v16, 24, v[24:25]
	v_mov_b32_e32 v10, v14
	v_mad_u64_u32 v[10:11], s[26:27], v3, 24, v[10:11]
	v_mov_b32_e32 v14, v10
	flat_load_dword v10, v[13:14]
	s_waitcnt vmcnt(0) lgkmcnt(0)
	v_cmp_ne_u32_e32 vcc, 1, v10
	v_cmp_eq_u32_e64 s[26:27], 1, v10
                                        ; implicit-def: $vgpr10_vgpr11
	s_and_saveexec_b64 s[94:95], s[26:27]
	s_cbranch_execz .LBB2_4330
; %bb.4329:                             ;   in Loop: Header=BB2_4308 Depth=3
	flat_load_dword v10, v[13:14] offset:4 glc
	s_waitcnt vmcnt(0) lgkmcnt(0)
	v_ashrrev_i32_e32 v11, 31, v10
.LBB2_4330:                             ;   in Loop: Header=BB2_4308 Depth=3
	s_or_b64 exec, exec, s[94:95]
	s_orn2_b64 s[26:27], vcc, exec
.LBB2_4331:                             ;   in Loop: Header=BB2_4308 Depth=3
	s_or_b64 exec, exec, s[40:41]
	s_and_saveexec_b64 s[40:41], s[26:27]
	s_cbranch_execz .LBB2_4333
; %bb.4332:                             ;   in Loop: Header=BB2_4308 Depth=3
	buffer_load_dword v10, off, s[0:3], s33 offset:104 ; 4-byte Folded Reload
	v_mul_lo_u32 v13, v3, v47
	s_waitcnt vmcnt(0)
	v_mul_lo_u32 v14, v16, v10
	v_mad_u64_u32 v[10:11], s[26:27], v16, v47, 0
	v_add3_u32 v11, v11, v14, v13
.LBB2_4333:                             ;   in Loop: Header=BB2_4308 Depth=3
	s_or_b64 exec, exec, s[40:41]
	v_cmp_eq_u32_e32 vcc, 0, v2
	v_mov_b32_e32 v2, 0xd0
	v_mov_b32_e32 v13, 0x88
	v_cndmask_b32_e32 v2, v2, v13, vcc
	buffer_load_dword v13, off, s[0:3], s33 offset:72 ; 4-byte Folded Reload
	buffer_load_dword v14, off, s[0:3], s33 offset:76 ; 4-byte Folded Reload
	v_add_u32_e32 v2, v0, v2
	s_waitcnt vmcnt(0)
	v_add_co_u32_e32 v10, vcc, v13, v10
	v_addc_co_u32_e32 v11, vcc, v14, v11, vcc
	ds_write_b64 v2, v[10:11] offset:584
	v_and_b32_e32 v2, 0x2000, v20
	v_cmp_ne_u32_e32 vcc, 0, v2
	s_and_saveexec_b64 s[26:27], vcc
	s_cbranch_execz .LBB2_4335
; %bb.4334:                             ;   in Loop: Header=BB2_4308 Depth=3
	ds_read_b64 v[10:11], v0 offset:872
	s_waitcnt lgkmcnt(0)
	v_add_co_u32_e32 v10, vcc, 1, v10
	v_addc_co_u32_e32 v11, vcc, 0, v11, vcc
	ds_write_b64 v0, v[10:11] offset:872
.LBB2_4335:                             ;   in Loop: Header=BB2_4308 Depth=3
	s_or_b64 exec, exec, s[26:27]
	v_mov_b32_e32 v51, v9
	v_mov_b32_e32 v50, v8
.LBB2_4336:                             ;   in Loop: Header=BB2_4308 Depth=3
	s_or_b64 exec, exec, s[28:29]
	s_and_saveexec_b64 s[26:27], s[10:11]
	s_cbranch_execz .LBB2_4355
; %bb.4337:                             ;   in Loop: Header=BB2_4308 Depth=3
	s_and_saveexec_b64 s[28:29], s[58:59]
	s_xor_b64 s[28:29], exec, s[28:29]
	s_cbranch_execz .LBB2_4352
; %bb.4338:                             ;   in Loop: Header=BB2_4308 Depth=3
	s_and_saveexec_b64 s[40:41], s[16:17]
	s_cbranch_execz .LBB2_4351
; %bb.4339:                             ;   in Loop: Header=BB2_4308 Depth=3
	s_mov_b64 s[30:31], exec
	v_mbcnt_lo_u32_b32 v2, s30, 0
	v_mbcnt_hi_u32_b32 v2, s31, v2
	v_cmp_eq_u32_e32 vcc, 0, v2
	s_waitcnt vmcnt(0) lgkmcnt(0)
	buffer_wbinvl1_vol
	s_and_saveexec_b64 s[94:95], vcc
	s_cbranch_execz .LBB2_4341
; %bb.4340:                             ;   in Loop: Header=BB2_4308 Depth=3
	s_bcnt1_i32_b64 s44, s[30:31]
	v_mov_b32_e32 v2, s44
	ds_add_u64 v0, v[2:3]
	s_trap 2
.LBB2_4341:                             ;   in Loop: Header=BB2_4308 Depth=3
	s_or_b64 exec, exec, s[94:95]
	s_trap 2
	ds_read_b64 v[8:9], v0
	s_waitcnt lgkmcnt(0)
	v_add_co_u32_e32 v28, vcc, v28, v17
	v_addc_co_u32_e32 v29, vcc, 0, v29, vcc
	v_cmp_lt_u64_e32 vcc, v[8:9], v[28:29]
	s_and_saveexec_b64 s[94:95], vcc
	s_cbranch_execz .LBB2_4350
; %bb.4342:                             ;   in Loop: Header=BB2_4308 Depth=3
	s_mov_b32 s44, 0
	s_mov_b64 s[30:31], 0
                                        ; implicit-def: $sgpr34_sgpr35
                                        ; implicit-def: $sgpr36_sgpr37
	s_branch .LBB2_4344
.LBB2_4343:                             ;   in Loop: Header=BB2_4344 Depth=4
	s_or_b64 exec, exec, s[48:49]
	s_and_b64 vcc, exec, vcc
	s_or_b64 s[30:31], vcc, s[30:31]
	s_andn2_b64 vcc, s[34:35], exec
	s_and_b64 s[34:35], s[36:37], exec
	s_or_b64 s[34:35], vcc, s[34:35]
	s_andn2_b64 exec, exec, s[30:31]
	s_cbranch_execz .LBB2_4348
.LBB2_4344:                             ;   Parent Loop BB2_47 Depth=1
                                        ;     Parent Loop BB2_4305 Depth=2
                                        ;       Parent Loop BB2_4308 Depth=3
                                        ; =>      This Inner Loop Header: Depth=4
	s_add_i32 s44, s44, 1
	s_cmpk_lg_i32 s44, 0x2710
	s_cselect_b64 s[38:39], -1, 0
	s_and_b64 vcc, exec, s[38:39]
	s_cbranch_vccz .LBB2_4346
; %bb.4345:                             ;   in Loop: Header=BB2_4344 Depth=4
	s_mov_b64 vcc, -1
	s_or_b64 s[36:37], s[36:37], exec
	s_and_saveexec_b64 s[48:49], s[38:39]
	s_cbranch_execz .LBB2_4343
	s_branch .LBB2_4347
.LBB2_4346:                             ;   in Loop: Header=BB2_4344 Depth=4
	s_trap 2
	ds_read_b64 v[8:9], v0
	s_andn2_b64 s[38:39], s[38:39], exec
	s_mov_b32 s44, 0
	s_waitcnt lgkmcnt(0)
	flat_load_dword v2, v[8:9] glc
	s_waitcnt vmcnt(0) lgkmcnt(0)
	buffer_wbinvl1_vol
	v_cmp_eq_u32_e32 vcc, 0, v2
	s_and_b64 vcc, vcc, exec
	s_or_b64 s[38:39], s[38:39], vcc
	s_mov_b64 vcc, -1
	s_or_b64 s[36:37], s[36:37], exec
	s_and_saveexec_b64 s[48:49], s[38:39]
	s_cbranch_execz .LBB2_4343
.LBB2_4347:                             ;   in Loop: Header=BB2_4344 Depth=4
	s_sleep 1
	s_trap 2
	ds_read_b64 v[8:9], v0
	s_waitcnt lgkmcnt(0)
	s_andn2_b64 s[36:37], s[36:37], exec
	v_cmp_ge_u64_e32 vcc, v[8:9], v[28:29]
	s_orn2_b64 vcc, vcc, exec
	s_branch .LBB2_4343
.LBB2_4348:                             ;   in Loop: Header=BB2_4308 Depth=3
	s_or_b64 exec, exec, s[30:31]
	s_and_saveexec_b64 s[44:45], s[34:35]
	s_xor_b64 s[44:45], exec, s[44:45]
	s_cbranch_execz .LBB2_4350
; %bb.4349:                             ;   in Loop: Header=BB2_4308 Depth=3
	v_mov_b32_e32 v2, 1
	ds_write_b32 v0, v2
	s_trap 2
.LBB2_4350:                             ;   in Loop: Header=BB2_4308 Depth=3
	s_or_b64 exec, exec, s[94:95]
	;;#ASMSTART
	s_wakeup
	;;#ASMEND
.LBB2_4351:                             ;   in Loop: Header=BB2_4308 Depth=3
	s_or_b64 exec, exec, s[40:41]
.LBB2_4352:                             ;   in Loop: Header=BB2_4308 Depth=3
	s_andn2_saveexec_b64 s[28:29], s[28:29]
	s_cbranch_execz .LBB2_4354
; %bb.4353:                             ;   in Loop: Header=BB2_4308 Depth=3
	s_waitcnt vmcnt(0) lgkmcnt(0)
	buffer_wbinvl1_vol
	s_barrier
.LBB2_4354:                             ;   in Loop: Header=BB2_4308 Depth=3
	s_or_b64 exec, exec, s[28:29]
.LBB2_4355:                             ;   in Loop: Header=BB2_4308 Depth=3
	s_or_b64 exec, exec, s[26:27]
	s_trap 2
	ds_read_b32 v8, v0
	v_and_b32_e32 v2, 0x4000, v20
	v_cmp_ne_u32_e32 vcc, 0, v2
	s_xor_b64 s[26:27], s[6:7], -1
	s_and_b64 s[28:29], s[26:27], vcc
	s_and_saveexec_b64 s[26:27], s[28:29]
	s_cbranch_execz .LBB2_4374
; %bb.4356:                             ;   in Loop: Header=BB2_4308 Depth=3
	s_and_saveexec_b64 s[28:29], s[58:59]
	s_xor_b64 s[28:29], exec, s[28:29]
	s_cbranch_execz .LBB2_4371
; %bb.4357:                             ;   in Loop: Header=BB2_4308 Depth=3
	s_and_saveexec_b64 s[40:41], s[16:17]
	s_cbranch_execz .LBB2_4370
; %bb.4358:                             ;   in Loop: Header=BB2_4308 Depth=3
	s_mov_b64 s[30:31], exec
	v_mbcnt_lo_u32_b32 v2, s30, 0
	v_mbcnt_hi_u32_b32 v2, s31, v2
	v_cmp_eq_u32_e32 vcc, 0, v2
	s_waitcnt vmcnt(0) lgkmcnt(0)
	buffer_wbinvl1_vol
	s_and_saveexec_b64 s[94:95], vcc
	s_cbranch_execz .LBB2_4360
; %bb.4359:                             ;   in Loop: Header=BB2_4308 Depth=3
	s_bcnt1_i32_b64 s44, s[30:31]
	v_mov_b32_e32 v2, s44
	ds_add_u64 v0, v[2:3]
	s_trap 2
.LBB2_4360:                             ;   in Loop: Header=BB2_4308 Depth=3
	s_or_b64 exec, exec, s[94:95]
	s_trap 2
	ds_read_b64 v[9:10], v0
	s_waitcnt lgkmcnt(0)
	v_add_co_u32_e32 v28, vcc, v28, v17
	v_addc_co_u32_e32 v29, vcc, 0, v29, vcc
	v_cmp_lt_u64_e32 vcc, v[9:10], v[28:29]
	s_and_saveexec_b64 s[94:95], vcc
	s_cbranch_execz .LBB2_4369
; %bb.4361:                             ;   in Loop: Header=BB2_4308 Depth=3
	s_mov_b32 s44, 0
	s_mov_b64 s[30:31], 0
                                        ; implicit-def: $sgpr34_sgpr35
                                        ; implicit-def: $sgpr36_sgpr37
	s_branch .LBB2_4363
.LBB2_4362:                             ;   in Loop: Header=BB2_4363 Depth=4
	s_or_b64 exec, exec, s[48:49]
	s_and_b64 vcc, exec, vcc
	s_or_b64 s[30:31], vcc, s[30:31]
	s_andn2_b64 vcc, s[34:35], exec
	s_and_b64 s[34:35], s[36:37], exec
	s_or_b64 s[34:35], vcc, s[34:35]
	s_andn2_b64 exec, exec, s[30:31]
	s_cbranch_execz .LBB2_4367
.LBB2_4363:                             ;   Parent Loop BB2_47 Depth=1
                                        ;     Parent Loop BB2_4305 Depth=2
                                        ;       Parent Loop BB2_4308 Depth=3
                                        ; =>      This Inner Loop Header: Depth=4
	s_add_i32 s44, s44, 1
	s_cmpk_lg_i32 s44, 0x2710
	s_cselect_b64 s[38:39], -1, 0
	s_and_b64 vcc, exec, s[38:39]
	s_cbranch_vccz .LBB2_4365
; %bb.4364:                             ;   in Loop: Header=BB2_4363 Depth=4
	s_mov_b64 vcc, -1
	s_or_b64 s[36:37], s[36:37], exec
	s_and_saveexec_b64 s[48:49], s[38:39]
	s_cbranch_execz .LBB2_4362
	s_branch .LBB2_4366
.LBB2_4365:                             ;   in Loop: Header=BB2_4363 Depth=4
	s_trap 2
	ds_read_b64 v[9:10], v0
	s_andn2_b64 s[38:39], s[38:39], exec
	s_mov_b32 s44, 0
	s_waitcnt lgkmcnt(0)
	flat_load_dword v2, v[9:10] glc
	s_waitcnt vmcnt(0) lgkmcnt(0)
	buffer_wbinvl1_vol
	v_cmp_eq_u32_e32 vcc, 0, v2
	s_and_b64 vcc, vcc, exec
	s_or_b64 s[38:39], s[38:39], vcc
	s_mov_b64 vcc, -1
	s_or_b64 s[36:37], s[36:37], exec
	s_and_saveexec_b64 s[48:49], s[38:39]
	s_cbranch_execz .LBB2_4362
.LBB2_4366:                             ;   in Loop: Header=BB2_4363 Depth=4
	s_sleep 1
	s_trap 2
	ds_read_b64 v[9:10], v0
	s_waitcnt lgkmcnt(0)
	s_andn2_b64 s[36:37], s[36:37], exec
	v_cmp_ge_u64_e32 vcc, v[9:10], v[28:29]
	s_orn2_b64 vcc, vcc, exec
	s_branch .LBB2_4362
.LBB2_4367:                             ;   in Loop: Header=BB2_4308 Depth=3
	s_or_b64 exec, exec, s[30:31]
	s_and_saveexec_b64 s[44:45], s[34:35]
	s_xor_b64 s[44:45], exec, s[44:45]
	s_cbranch_execz .LBB2_4369
; %bb.4368:                             ;   in Loop: Header=BB2_4308 Depth=3
	v_mov_b32_e32 v2, 1
	ds_write_b32 v0, v2
	s_trap 2
.LBB2_4369:                             ;   in Loop: Header=BB2_4308 Depth=3
	s_or_b64 exec, exec, s[94:95]
	;;#ASMSTART
	s_wakeup
	;;#ASMEND
.LBB2_4370:                             ;   in Loop: Header=BB2_4308 Depth=3
	s_or_b64 exec, exec, s[40:41]
.LBB2_4371:                             ;   in Loop: Header=BB2_4308 Depth=3
	s_andn2_saveexec_b64 s[28:29], s[28:29]
	s_cbranch_execz .LBB2_4373
; %bb.4372:                             ;   in Loop: Header=BB2_4308 Depth=3
	s_waitcnt vmcnt(0) lgkmcnt(0)
	buffer_wbinvl1_vol
	s_barrier
.LBB2_4373:                             ;   in Loop: Header=BB2_4308 Depth=3
	s_or_b64 exec, exec, s[28:29]
.LBB2_4374:                             ;   in Loop: Header=BB2_4308 Depth=3
	s_or_b64 exec, exec, s[26:27]
	s_trap 2
	ds_read_b64 v[13:14], v0
	s_waitcnt lgkmcnt(0)
	v_cmp_eq_u64_e32 vcc, 0, v[13:14]
	s_cbranch_vccnz .LBB2_4383
; %bb.4375:                             ;   in Loop: Header=BB2_4308 Depth=3
	s_trap 2
	ds_read_b64 v[54:55], v0
	s_waitcnt lgkmcnt(0)
	v_cmp_eq_u64_e32 vcc, 0, v[54:55]
	s_cbranch_vccnz .LBB2_4384
; %bb.4376:                             ;   in Loop: Header=BB2_4308 Depth=3
	s_trap 2
	ds_read_b64 v[40:41], v0
	v_cmp_eq_u32_e64 s[26:27], 0, v8
	v_cndmask_b32_e64 v2, 0, v12, s[26:27]
	s_mov_b64 s[26:27], -1
	s_waitcnt lgkmcnt(0)
	v_cmp_ne_u64_e32 vcc, 0, v[40:41]
	s_cbranch_vccz .LBB2_4413
; %bb.4377:                             ;   in Loop: Header=BB2_4308 Depth=3
	s_and_saveexec_b64 s[28:29], s[20:21]
	s_cbranch_execz .LBB2_4379
; %bb.4378:                             ;   in Loop: Header=BB2_4308 Depth=3
	ds_read_b32 v8, v0 offset:720
	s_waitcnt lgkmcnt(0)
	v_and_b32_e32 v8, 15, v8
	v_cmp_eq_u32_e32 vcc, 0, v8
	s_orn2_b64 s[26:27], vcc, exec
.LBB2_4379:                             ;   in Loop: Header=BB2_4308 Depth=3
	s_or_b64 exec, exec, s[28:29]
	s_and_saveexec_b64 s[28:29], s[22:23]
	s_cbranch_execz .LBB2_4381
; %bb.4380:                             ;   in Loop: Header=BB2_4308 Depth=3
	ds_read_b32 v8, v0 offset:784
	s_waitcnt lgkmcnt(0)
	v_and_b32_e32 v8, 15, v8
	v_cmp_eq_u32_e32 vcc, 0, v8
	s_and_b64 s[40:41], s[26:27], vcc
	s_andn2_b64 s[26:27], s[26:27], exec
	s_and_b64 s[40:41], s[40:41], exec
	s_or_b64 s[26:27], s[26:27], s[40:41]
.LBB2_4381:                             ;   in Loop: Header=BB2_4308 Depth=3
	s_or_b64 exec, exec, s[28:29]
	s_xor_b64 s[26:27], s[26:27], -1
	v_cndmask_b32_e64 v8, 0, 1, s[26:27]
	v_cmp_ne_u32_e32 vcc, 0, v8
	buffer_load_dword v8, off, s[0:3], s33 offset:108 ; 4-byte Folded Reload
	s_mov_b64 s[28:29], -1
	v_mov_b32_e32 v16, 0
	v_mov_b32_e32 v18, v2
	;; [unrolled: 1-line block ×3, first 2 shown]
	s_cbranch_vccz .LBB2_4385
; %bb.4382:                             ;   in Loop: Header=BB2_4308 Depth=3
	s_and_saveexec_b64 s[40:41], s[28:29]
	s_cbranch_execnz .LBB2_4402
	s_branch .LBB2_4412
.LBB2_4383:                             ;   in Loop: Header=BB2_4308 Depth=3
	s_mov_b64 s[26:27], 0
	s_and_saveexec_b64 s[28:29], s[10:11]
	s_cbranch_execnz .LBB2_4443
	s_branch .LBB2_4461
.LBB2_4384:                             ;   in Loop: Header=BB2_4308 Depth=3
	s_mov_b64 s[26:27], 0
	buffer_load_dword v54, off, s[0:3], s33 offset:56 ; 4-byte Folded Reload
	s_and_saveexec_b64 s[28:29], s[10:11]
	s_cbranch_execnz .LBB2_4443
	s_branch .LBB2_4461
.LBB2_4385:                             ;   in Loop: Header=BB2_4308 Depth=3
	buffer_load_dword v8, off, s[0:3], s33 offset:136 ; 4-byte Folded Reload
	s_waitcnt vmcnt(0)
	v_sub_u32_e32 v16, v2, v8
	v_ashrrev_i32_e32 v8, 31, v2
	v_lshrrev_b32_e32 v8, 22, v8
	v_add_u32_e32 v8, v2, v8
	v_ashrrev_i32_e32 v9, 10, v8
	v_and_b32_e32 v24, 0xfffffc00, v8
	buffer_load_dword v8, off, s[0:3], s33 offset:140 ; 4-byte Folded Reload
	v_sub_u32_e32 v26, v2, v24
	v_cmp_lt_i32_e64 s[26:27], 15, v26
	s_waitcnt vmcnt(0)
	v_addc_co_u32_e64 v25, vcc, v9, v8, s[26:27]
	v_cmp_lt_i32_e32 vcc, 15, v16
	s_and_saveexec_b64 s[94:95], vcc
	s_cbranch_execz .LBB2_4391
; %bb.4386:                             ;   in Loop: Header=BB2_4308 Depth=3
	buffer_load_dword v8, off, s[0:3], s33 offset:136 ; 4-byte Folded Reload
	buffer_load_dword v9, off, s[0:3], s33 offset:192 ; 4-byte Folded Reload
	s_mov_b64 s[30:31], 0
	s_waitcnt vmcnt(1)
	v_add_co_u32_e32 v42, vcc, v13, v8
	s_waitcnt vmcnt(0)
	v_addc_co_u32_e32 v43, vcc, v14, v9, vcc
	v_add_co_u32_e32 v18, vcc, v54, v8
	v_addc_co_u32_e32 v19, vcc, v55, v9, vcc
	v_add_co_u32_e32 v21, vcc, v40, v8
	v_addc_co_u32_e32 v27, vcc, v41, v9, vcc
.LBB2_4387:                             ;   Parent Loop BB2_47 Depth=1
                                        ;     Parent Loop BB2_4305 Depth=2
                                        ;       Parent Loop BB2_4308 Depth=3
                                        ; =>      This Loop Header: Depth=4
                                        ;           Child Loop BB2_4388 Depth 5
	global_load_dwordx4 v[8:11], v[42:43], off glc slc
	s_mov_b64 s[34:35], -1
	s_mov_b64 s[36:37], 0
	s_waitcnt vmcnt(0)
.LBB2_4388:                             ;   Parent Loop BB2_47 Depth=1
                                        ;     Parent Loop BB2_4305 Depth=2
                                        ;       Parent Loop BB2_4308 Depth=3
                                        ;         Parent Loop BB2_4387 Depth=4
                                        ; =>        This Inner Loop Header: Depth=5
	s_cmp_eq_u32 s36, 1
	s_cselect_b64 s[28:29], -1, 0
	v_cndmask_b32_e64 v31, v19, v27, s[28:29]
	v_cndmask_b32_e64 v30, v18, v21, s[28:29]
	global_store_dwordx4 v[30:31], v[8:11], off glc slc
	v_add_co_u32_e32 v30, vcc, 0x400, v30
	s_cmp_eq_u32 s36, 0
	v_addc_co_u32_e32 v31, vcc, 0, v31, vcc
	s_cselect_b64 vcc, -1, 0
	s_and_b64 s[40:41], exec, s[34:35]
	s_mov_b64 s[36:37], 1
	v_cndmask_b32_e64 v21, v21, v30, s[28:29]
	s_mov_b64 s[34:35], 0
	v_cndmask_b32_e64 v27, v27, v31, s[28:29]
	v_cndmask_b32_e32 v19, v19, v31, vcc
	v_cndmask_b32_e32 v18, v18, v30, vcc
	s_mov_b64 vcc, s[40:41]
	s_cbranch_vccnz .LBB2_4388
; %bb.4389:                             ;   in Loop: Header=BB2_4387 Depth=4
	buffer_load_dword v9, off, s[0:3], s33 offset:60 ; 4-byte Folded Reload
	v_add_u32_e32 v8, 0xfffffc00, v38
	v_add_co_u32_e32 v18, vcc, v18, v8
	v_sub_u32_e32 v16, v16, v38
	v_sub_u32_e32 v25, v25, v17
	s_waitcnt vmcnt(0)
	v_addc_co_u32_e32 v19, vcc, v19, v9, vcc
	v_add_co_u32_e32 v21, vcc, v21, v8
	buffer_load_dword v8, off, s[0:3], s33 offset:64 ; 4-byte Folded Reload
	v_addc_co_u32_e32 v27, vcc, v27, v9, vcc
	s_waitcnt vmcnt(0)
	v_add_co_u32_e32 v42, vcc, v8, v42
	buffer_load_dword v8, off, s[0:3], s33 offset:68 ; 4-byte Folded Reload
	s_waitcnt vmcnt(0)
	v_addc_co_u32_e32 v43, vcc, v8, v43, vcc
	v_cmp_gt_i32_e32 vcc, 16, v16
	s_or_b64 s[30:31], vcc, s[30:31]
	s_andn2_b64 exec, exec, s[30:31]
	s_cbranch_execnz .LBB2_4387
; %bb.4390:                             ;   in Loop: Header=BB2_4308 Depth=3
	s_or_b64 exec, exec, s[30:31]
.LBB2_4391:                             ;   in Loop: Header=BB2_4308 Depth=3
	s_or_b64 exec, exec, s[94:95]
	v_and_b32_e32 v9, 15, v2
	v_cndmask_b32_e64 v21, v26, v9, s[26:27]
	v_mov_b32_e32 v16, 0
	v_cmp_ne_u32_e32 vcc, 0, v21
	s_mov_b64 s[28:29], 0
                                        ; implicit-def: $vgpr18
                                        ; implicit-def: $vgpr19
                                        ; implicit-def: $vgpr8
	s_and_saveexec_b64 s[94:95], vcc
	s_cbranch_execz .LBB2_4401
; %bb.4392:                             ;   in Loop: Header=BB2_4308 Depth=3
	v_sub_u32_e32 v8, v26, v9
	buffer_load_dword v9, off, s[0:3], s33 offset:152 ; 4-byte Folded Reload
	v_cndmask_b32_e64 v8, 0, v8, s[26:27]
	v_cmp_lt_i32_e32 vcc, 0, v25
	v_add_u32_e32 v24, v8, v24
	v_cndmask_b32_e32 v8, 0, v17, vcc
	v_sub_u32_e32 v8, v8, v25
	s_waitcnt vmcnt(0)
	v_lshl_add_u32 v8, v8, 6, v9
	v_ashrrev_i32_e32 v9, 31, v8
	v_lshrrev_b32_e32 v9, 26, v9
	v_add_u32_e32 v9, v8, v9
	v_ashrrev_i32_e32 v10, 6, v9
	v_and_b32_e32 v9, 0xffffffc0, v9
	v_sub_u32_e32 v25, v8, v9
	v_ashrrev_i32_e32 v9, 31, v21
	v_lshrrev_b32_e32 v9, 22, v9
	v_add_u32_e32 v9, v21, v9
	v_and_b32_e32 v26, 0xfffffc00, v9
	v_lshlrev_b32_e32 v8, 4, v25
	v_sub_u32_e32 v30, v21, v26
	v_lshl_add_u32 v8, v10, 10, v8
	v_ashrrev_i32_e32 v11, 10, v9
	v_cmp_lt_i32_e64 s[26:27], 15, v30
	v_sub_u32_e32 v16, v21, v8
	v_addc_co_u32_e64 v9, vcc, 0, v11, s[26:27]
	v_sub_u32_e32 v27, v9, v10
	v_cmp_lt_i32_e32 vcc, 15, v16
	s_and_saveexec_b64 s[30:31], vcc
	s_cbranch_execz .LBB2_4398
; %bb.4393:                             ;   in Loop: Header=BB2_4308 Depth=3
	v_add_u32_e32 v8, v8, v24
	v_ashrrev_i32_e32 v9, 31, v8
	v_add_co_u32_e32 v42, vcc, v8, v13
	v_addc_co_u32_e32 v43, vcc, v9, v14, vcc
	v_add_co_u32_e32 v18, vcc, v8, v54
	v_addc_co_u32_e32 v19, vcc, v9, v55, vcc
	;; [unrolled: 2-line block ×3, first 2 shown]
	s_mov_b64 s[34:35], 0
.LBB2_4394:                             ;   Parent Loop BB2_47 Depth=1
                                        ;     Parent Loop BB2_4305 Depth=2
                                        ;       Parent Loop BB2_4308 Depth=3
                                        ; =>      This Loop Header: Depth=4
                                        ;           Child Loop BB2_4395 Depth 5
	global_load_dwordx4 v[8:11], v[42:43], off glc slc
	s_mov_b64 s[36:37], -1
	s_mov_b64 s[38:39], 0
	s_waitcnt vmcnt(0)
.LBB2_4395:                             ;   Parent Loop BB2_47 Depth=1
                                        ;     Parent Loop BB2_4305 Depth=2
                                        ;       Parent Loop BB2_4308 Depth=3
                                        ;         Parent Loop BB2_4394 Depth=4
                                        ; =>        This Inner Loop Header: Depth=5
	s_cmp_eq_u32 s38, 1
	s_cselect_b64 s[28:29], -1, 0
	v_cndmask_b32_e64 v37, v19, v34, s[28:29]
	v_cndmask_b32_e64 v36, v18, v31, s[28:29]
	global_store_dwordx4 v[36:37], v[8:11], off glc slc
	v_add_co_u32_e32 v36, vcc, 0x400, v36
	s_cmp_eq_u32 s38, 0
	v_addc_co_u32_e32 v37, vcc, 0, v37, vcc
	s_cselect_b64 vcc, -1, 0
	s_and_b64 s[40:41], exec, s[36:37]
	s_mov_b64 s[38:39], 1
	v_cndmask_b32_e64 v31, v31, v36, s[28:29]
	s_mov_b64 s[36:37], 0
	v_cndmask_b32_e64 v34, v34, v37, s[28:29]
	v_cndmask_b32_e32 v19, v19, v37, vcc
	v_cndmask_b32_e32 v18, v18, v36, vcc
	s_mov_b64 vcc, s[40:41]
	s_cbranch_vccnz .LBB2_4395
; %bb.4396:                             ;   in Loop: Header=BB2_4394 Depth=4
	buffer_load_dword v9, off, s[0:3], s33 offset:60 ; 4-byte Folded Reload
	v_add_u32_e32 v8, 0xfffffc00, v38
	v_add_co_u32_e32 v18, vcc, v18, v8
	v_sub_u32_e32 v16, v16, v38
	v_sub_u32_e32 v27, v27, v17
	s_waitcnt vmcnt(0)
	v_addc_co_u32_e32 v19, vcc, v19, v9, vcc
	v_add_co_u32_e32 v31, vcc, v31, v8
	buffer_load_dword v8, off, s[0:3], s33 offset:64 ; 4-byte Folded Reload
	v_addc_co_u32_e32 v34, vcc, v34, v9, vcc
	s_waitcnt vmcnt(0)
	v_add_co_u32_e32 v42, vcc, v8, v42
	buffer_load_dword v8, off, s[0:3], s33 offset:68 ; 4-byte Folded Reload
	s_waitcnt vmcnt(0)
	v_addc_co_u32_e32 v43, vcc, v8, v43, vcc
	v_cmp_gt_i32_e32 vcc, 16, v16
	s_or_b64 s[34:35], vcc, s[34:35]
	s_andn2_b64 exec, exec, s[34:35]
	s_cbranch_execnz .LBB2_4394
; %bb.4397:                             ;   in Loop: Header=BB2_4308 Depth=3
	s_or_b64 exec, exec, s[34:35]
.LBB2_4398:                             ;   in Loop: Header=BB2_4308 Depth=3
	s_or_b64 exec, exec, s[30:31]
	v_and_b32_e32 v9, 15, v21
	v_cndmask_b32_e64 v18, v30, v9, s[26:27]
	v_mov_b32_e32 v16, 0
	v_cmp_ne_u32_e32 vcc, 0, v18
	s_mov_b64 s[40:41], 0
                                        ; implicit-def: $vgpr19
                                        ; implicit-def: $vgpr8
	s_and_saveexec_b64 s[28:29], vcc
	s_cbranch_execz .LBB2_4400
; %bb.4399:                             ;   in Loop: Header=BB2_4308 Depth=3
	v_sub_u32_e32 v8, v30, v9
	v_cndmask_b32_e64 v8, 0, v8, s[26:27]
	v_cmp_lt_i32_e32 vcc, 0, v27
	v_add3_u32 v16, v26, v24, v8
	v_cndmask_b32_e32 v8, 0, v17, vcc
	v_sub_u32_e32 v8, v8, v27
	v_lshl_add_u32 v19, v8, 6, v25
	v_ashrrev_i32_e32 v8, 31, v19
	v_lshrrev_b32_e32 v8, 26, v8
	v_add_u32_e32 v8, v19, v8
	v_ashrrev_i32_e32 v8, 6, v8
	s_mov_b64 s[40:41], exec
.LBB2_4400:                             ;   in Loop: Header=BB2_4308 Depth=3
	s_or_b64 exec, exec, s[28:29]
	s_and_b64 s[28:29], s[40:41], exec
.LBB2_4401:                             ;   in Loop: Header=BB2_4308 Depth=3
	s_or_b64 exec, exec, s[94:95]
	s_and_saveexec_b64 s[40:41], s[28:29]
	s_cbranch_execz .LBB2_4412
.LBB2_4402:                             ;   in Loop: Header=BB2_4308 Depth=3
	v_ashrrev_i32_e32 v9, 31, v18
	v_lshrrev_b32_e32 v9, 23, v9
	v_add_u32_e32 v9, v18, v9
	v_ashrrev_i32_e32 v25, 9, v9
	s_waitcnt vmcnt(0)
	v_sub_u32_e32 v21, v25, v8
	v_ashrrev_i32_e32 v9, 31, v19
	v_cmp_lt_i32_e32 vcc, 0, v21
	v_lshrrev_b32_e32 v24, 26, v9
	s_and_saveexec_b64 s[26:27], vcc
	s_cbranch_execz .LBB2_4406
; %bb.4403:                             ;   in Loop: Header=BB2_4308 Depth=3
	v_add_u32_e32 v9, v19, v24
	v_and_b32_e32 v9, 0xffffffc0, v9
	v_sub_u32_e32 v9, v19, v9
	v_lshlrev_b32_e32 v8, 9, v8
	v_add3_u32 v26, v16, v9, v8
	v_ashrrev_i32_e32 v27, 31, v26
	v_add_co_u32_e32 v8, vcc, v26, v54
	v_addc_co_u32_e32 v9, vcc, v27, v55, vcc
	v_add_co_u32_e32 v10, vcc, v26, v40
	v_addc_co_u32_e32 v11, vcc, v27, v41, vcc
	;; [unrolled: 2-line block ×4, first 2 shown]
	s_mov_b64 s[28:29], 0
.LBB2_4404:                             ;   Parent Loop BB2_47 Depth=1
                                        ;     Parent Loop BB2_4305 Depth=2
                                        ;       Parent Loop BB2_4308 Depth=3
                                        ; =>      This Inner Loop Header: Depth=4
	v_add_co_u32_e32 v26, vcc, 0xfffffe40, v40
	v_addc_co_u32_e32 v27, vcc, -1, v41, vcc
	v_add_co_u32_e32 v30, vcc, 0xfffffe80, v40
	v_addc_co_u32_e32 v31, vcc, -1, v41, vcc
	flat_load_ubyte v26, v[26:27] glc slc
	v_sub_u32_e32 v21, v21, v17
	flat_load_ubyte v27, v[30:31] glc slc
	v_add_co_u32_e32 v30, vcc, 0xfffffec0, v40
	v_addc_co_u32_e32 v31, vcc, -1, v41, vcc
	flat_load_ubyte v34, v[30:31] glc slc
	v_add_co_u32_e32 v30, vcc, 0xffffff00, v40
	v_addc_co_u32_e32 v31, vcc, -1, v41, vcc
	;; [unrolled: 3-line block ×5, first 2 shown]
	flat_load_ubyte v30, v[30:31] glc slc
	s_nop 0
	flat_load_ubyte v31, v[40:41] glc slc
	s_waitcnt vmcnt(0) lgkmcnt(0)
	flat_store_byte v[8:9], v26 glc slc
	flat_store_byte v[8:9], v27 offset:64 glc slc
	flat_store_byte v[8:9], v34 offset:128 glc slc
	;; [unrolled: 1-line block ×7, first 2 shown]
	flat_store_byte v[10:11], v26 glc slc
	flat_store_byte v[10:11], v27 offset:64 glc slc
	flat_store_byte v[10:11], v34 offset:128 glc slc
	flat_store_byte v[10:11], v36 offset:192 glc slc
	flat_store_byte v[10:11], v37 offset:256 glc slc
	flat_store_byte v[10:11], v48 offset:320 glc slc
	flat_store_byte v[10:11], v30 offset:384 glc slc
	flat_store_byte v[10:11], v31 offset:448 glc slc
	v_add_co_u32_e32 v8, vcc, v8, v39
	v_addc_co_u32_e32 v9, vcc, 0, v9, vcc
	v_add_co_u32_e32 v10, vcc, v10, v39
	v_addc_co_u32_e32 v11, vcc, 0, v11, vcc
	;; [unrolled: 2-line block ×3, first 2 shown]
	v_cmp_gt_i32_e32 vcc, 1, v21
	s_or_b64 s[28:29], vcc, s[28:29]
	s_andn2_b64 exec, exec, s[28:29]
	s_cbranch_execnz .LBB2_4404
; %bb.4405:                             ;   in Loop: Header=BB2_4308 Depth=3
	s_or_b64 exec, exec, s[28:29]
.LBB2_4406:                             ;   in Loop: Header=BB2_4308 Depth=3
	s_or_b64 exec, exec, s[26:27]
	v_lshlrev_b32_e32 v8, 9, v25
	v_cmp_ne_u32_e32 vcc, v18, v8
	s_and_b64 exec, exec, vcc
	s_cbranch_execz .LBB2_4412
; %bb.4407:                             ;   in Loop: Header=BB2_4308 Depth=3
	v_add_u32_e32 v9, v19, v24
	v_and_b32_e32 v9, 0xffffffc0, v9
	v_sub_u32_e32 v9, v19, v9
	v_lshlrev_b32_e32 v10, 6, v21
	v_sub_u32_e32 v9, v9, v10
	v_add_u32_e32 v8, v8, v9
	v_sub_u32_e32 v10, v18, v8
	v_cmp_lt_i32_e32 vcc, 0, v10
	s_and_b64 exec, exec, vcc
	s_cbranch_execz .LBB2_4412
; %bb.4408:                             ;   in Loop: Header=BB2_4308 Depth=3
	v_add_u32_e32 v18, v8, v16
	s_trap 2
	ds_read_b64 v[8:9], v0
	ds_read_b128 v[24:27], v0
	v_ashrrev_i32_e32 v19, 31, v18
	s_mov_b64 s[94:95], 0
	s_waitcnt lgkmcnt(0)
	v_add_co_u32_e32 v8, vcc, v8, v18
	v_addc_co_u32_e32 v9, vcc, v9, v19, vcc
	v_add_co_u32_e32 v11, vcc, v24, v18
	v_addc_co_u32_e32 v16, vcc, v25, v19, vcc
	;; [unrolled: 2-line block ×3, first 2 shown]
.LBB2_4409:                             ;   Parent Loop BB2_47 Depth=1
                                        ;     Parent Loop BB2_4305 Depth=2
                                        ;       Parent Loop BB2_4308 Depth=3
                                        ; =>      This Loop Header: Depth=4
                                        ;           Child Loop BB2_4410 Depth 5
	flat_load_ubyte v21, v[8:9] glc slc
	s_mov_b64 s[30:31], -1
	s_mov_b64 s[34:35], 0
	s_waitcnt vmcnt(0)
.LBB2_4410:                             ;   Parent Loop BB2_47 Depth=1
                                        ;     Parent Loop BB2_4305 Depth=2
                                        ;       Parent Loop BB2_4308 Depth=3
                                        ;         Parent Loop BB2_4409 Depth=4
                                        ; =>        This Inner Loop Header: Depth=5
	s_cmp_eq_u32 s34, 1
	s_cselect_b64 vcc, -1, 0
	v_cndmask_b32_e32 v25, v16, v19, vcc
	v_cndmask_b32_e32 v24, v11, v18, vcc
	s_waitcnt lgkmcnt(0)
	flat_store_byte v[24:25], v21 glc slc
	v_add_co_u32_e64 v24, s[26:27], 64, v24
	s_cmp_eq_u32 s34, 0
	v_addc_co_u32_e64 v25, s[26:27], 0, v25, s[26:27]
	s_cselect_b64 s[26:27], -1, 0
	s_and_b64 s[28:29], exec, s[30:31]
	s_mov_b64 s[34:35], 1
	s_mov_b64 s[30:31], 0
	v_cndmask_b32_e32 v19, v19, v25, vcc
	v_cndmask_b32_e32 v18, v18, v24, vcc
	v_cndmask_b32_e64 v16, v16, v25, s[26:27]
	v_cndmask_b32_e64 v11, v11, v24, s[26:27]
	s_mov_b64 vcc, s[28:29]
	s_cbranch_vccnz .LBB2_4410
; %bb.4411:                             ;   in Loop: Header=BB2_4409 Depth=4
	buffer_load_dword v21, off, s[0:3], s33 offset:88 ; 4-byte Folded Reload
	buffer_load_dword v24, off, s[0:3], s33 offset:92 ; 4-byte Folded Reload
	s_waitcnt vmcnt(0)
	v_add_co_u32_e32 v11, vcc, v11, v21
	v_addc_co_u32_e32 v16, vcc, v16, v24, vcc
	v_add_co_u32_e32 v18, vcc, v18, v21
	buffer_load_dword v21, off, s[0:3], s33 offset:56 ; 4-byte Folded Reload
	v_addc_co_u32_e32 v19, vcc, v19, v24, vcc
	s_waitcnt vmcnt(0)
	v_sub_u32_e32 v10, v10, v21
	buffer_load_dword v21, off, s[0:3], s33 offset:96 ; 4-byte Folded Reload
	v_cmp_gt_i32_e32 vcc, 1, v10
	s_or_b64 s[94:95], vcc, s[94:95]
	s_waitcnt vmcnt(0)
	v_add_co_u32_e32 v8, vcc, v21, v8
	buffer_load_dword v21, off, s[0:3], s33 offset:100 ; 4-byte Folded Reload
	s_waitcnt vmcnt(0)
	v_addc_co_u32_e32 v9, vcc, v21, v9, vcc
	s_andn2_b64 exec, exec, s[94:95]
	s_cbranch_execnz .LBB2_4409
.LBB2_4412:                             ;   in Loop: Header=BB2_4308 Depth=3
	s_or_b64 exec, exec, s[40:41]
	buffer_load_dword v24, off, s[0:3], s33 offset:112 ; 4-byte Folded Reload
	buffer_load_dword v25, off, s[0:3], s33 offset:116 ; 4-byte Folded Reload
	;; [unrolled: 1-line block ×4, first 2 shown]
	s_mov_b64 s[26:27], 0
.LBB2_4413:                             ;   in Loop: Header=BB2_4308 Depth=3
	s_and_b64 vcc, exec, s[26:27]
	s_cbranch_vccz .LBB2_4442
; %bb.4414:                             ;   in Loop: Header=BB2_4308 Depth=3
	s_mov_b64 s[26:27], -1
	s_and_saveexec_b64 s[28:29], s[20:21]
	s_cbranch_execz .LBB2_4416
; %bb.4415:                             ;   in Loop: Header=BB2_4308 Depth=3
	s_waitcnt vmcnt(0)
	ds_read_b32 v8, v0 offset:720
	s_waitcnt lgkmcnt(0)
	v_and_b32_e32 v8, 15, v8
	v_cmp_eq_u32_e32 vcc, 0, v8
	s_orn2_b64 s[26:27], vcc, exec
.LBB2_4416:                             ;   in Loop: Header=BB2_4308 Depth=3
	s_or_b64 exec, exec, s[28:29]
	s_and_saveexec_b64 s[28:29], s[18:19]
	s_cbranch_execz .LBB2_4418
; %bb.4417:                             ;   in Loop: Header=BB2_4308 Depth=3
	s_waitcnt vmcnt(0)
	ds_read_b32 v8, v0 offset:784
	s_waitcnt lgkmcnt(0)
	v_and_b32_e32 v8, 15, v8
	v_cmp_eq_u32_e32 vcc, 0, v8
	s_and_b64 s[40:41], s[26:27], vcc
	s_andn2_b64 s[26:27], s[26:27], exec
	s_and_b64 s[40:41], s[40:41], exec
	s_or_b64 s[26:27], s[26:27], s[40:41]
.LBB2_4418:                             ;   in Loop: Header=BB2_4308 Depth=3
	s_or_b64 exec, exec, s[28:29]
	buffer_load_dword v16, off, s[0:3], s33 offset:108 ; 4-byte Folded Reload
	s_xor_b64 s[26:27], s[26:27], -1
	v_cndmask_b32_e64 v9, 0, 1, s[26:27]
	s_mov_b64 s[40:41], -1
	s_waitcnt vmcnt(0)
	v_mov_b32_e32 v8, 0
	v_cmp_ne_u32_e32 vcc, 0, v9
	v_mov_b32_e32 v9, v2
	v_mov_b32_e32 v10, v56
	s_cbranch_vccz .LBB2_4420
; %bb.4419:                             ;   in Loop: Header=BB2_4308 Depth=3
	s_and_saveexec_b64 s[26:27], s[40:41]
	s_cbranch_execnz .LBB2_4433
	s_branch .LBB2_4441
.LBB2_4420:                             ;   in Loop: Header=BB2_4308 Depth=3
	v_ashrrev_i32_e32 v8, 31, v2
	v_lshrrev_b32_e32 v8, 21, v8
	v_add_u32_e32 v8, v2, v8
	v_ashrrev_i32_e32 v10, 11, v8
	buffer_load_dword v8, off, s[0:3], s33 offset:108 ; 4-byte Folded Reload
	s_waitcnt vmcnt(0)
	v_sub_u32_e32 v18, v10, v8
	v_cmp_lt_i32_e32 vcc, 0, v18
	s_mov_b64 s[26:27], exec
	s_and_b64 s[28:29], s[26:27], vcc
	v_lshlrev_b32_e32 v11, 11, v17
	s_mov_b64 exec, s[28:29]
	s_cbranch_execz .LBB2_4424
; %bb.4421:                             ;   in Loop: Header=BB2_4308 Depth=3
	buffer_load_dword v8, off, s[0:3], s33 offset:208 ; 4-byte Folded Reload
	buffer_load_dword v9, off, s[0:3], s33 offset:212 ; 4-byte Folded Reload
	s_mov_b64 s[28:29], 0
.LBB2_4422:                             ;   Parent Loop BB2_47 Depth=1
                                        ;     Parent Loop BB2_4305 Depth=2
                                        ;       Parent Loop BB2_4308 Depth=3
                                        ; =>      This Inner Loop Header: Depth=4
	s_waitcnt vmcnt(0)
	v_add_co_u32_e32 v30, vcc, v13, v8
	v_addc_co_u32_e32 v31, vcc, v14, v9, vcc
	global_load_dwordx4 v[24:27], v[30:31], off glc slc
	global_load_dwordx4 v[40:43], v[30:31], off offset:1024 glc slc
	v_add_co_u32_e32 v30, vcc, v54, v8
	v_addc_co_u32_e32 v31, vcc, v55, v9, vcc
	v_add_co_u32_e32 v8, vcc, v8, v11
	v_sub_u32_e32 v18, v18, v17
	v_addc_co_u32_e32 v9, vcc, 0, v9, vcc
	v_cmp_gt_i32_e32 vcc, 1, v18
	s_or_b64 s[28:29], vcc, s[28:29]
	s_waitcnt vmcnt(0)
	global_store_dwordx4 v[30:31], v[24:27], off glc slc
	global_store_dwordx4 v[30:31], v[40:43], off offset:1024 glc slc
	s_andn2_b64 exec, exec, s[28:29]
	s_cbranch_execnz .LBB2_4422
; %bb.4423:                             ;   in Loop: Header=BB2_4308 Depth=3
	s_or_b64 exec, exec, s[28:29]
	buffer_load_dword v24, off, s[0:3], s33 offset:112 ; 4-byte Folded Reload
	buffer_load_dword v25, off, s[0:3], s33 offset:116 ; 4-byte Folded Reload
	;; [unrolled: 1-line block ×4, first 2 shown]
.LBB2_4424:                             ;   in Loop: Header=BB2_4308 Depth=3
	s_or_b64 exec, exec, s[26:27]
	v_lshlrev_b32_e32 v11, 11, v10
	v_cmp_ne_u32_e32 vcc, v2, v11
	s_mov_b64 s[40:41], 0
	v_mov_b32_e32 v8, 0
                                        ; implicit-def: $vgpr9
                                        ; implicit-def: $vgpr10
                                        ; implicit-def: $vgpr16
	s_and_saveexec_b64 s[28:29], vcc
	s_cbranch_execz .LBB2_4432
; %bb.4425:                             ;   in Loop: Header=BB2_4308 Depth=3
	buffer_load_dword v9, off, s[0:3], s33 offset:152 ; 4-byte Folded Reload
	v_lshlrev_b32_e32 v8, 6, v18
	v_sub_u32_e32 v10, v2, v11
	v_ashrrev_i32_e32 v19, 31, v10
	v_lshrrev_b32_e32 v19, 22, v19
	v_add_u32_e32 v19, v10, v19
	v_ashrrev_i32_e32 v21, 10, v19
	v_and_b32_e32 v19, 0xfffffc00, v19
	s_waitcnt vmcnt(0)
	v_sub_u32_e32 v24, v10, v19
	v_cmp_lt_i32_e32 vcc, 15, v24
	v_sub_u32_e32 v8, v9, v8
	v_ashrrev_i32_e32 v9, 31, v8
	v_lshrrev_b32_e32 v9, 26, v9
	v_add_u32_e32 v9, v8, v9
	v_ashrrev_i32_e32 v16, 6, v9
	v_and_b32_e32 v9, 0xffffffc0, v9
	v_sub_u32_e32 v18, v8, v9
	v_lshlrev_b32_e32 v8, 4, v18
	v_lshl_add_u32 v9, v16, 10, v8
	v_sub_u32_e32 v8, v10, v9
	v_addc_co_u32_e64 v10, s[26:27], 0, v21, vcc
	v_sub_u32_e32 v21, v10, v16
	v_cmp_lt_i32_e64 s[26:27], 15, v8
	s_and_saveexec_b64 s[40:41], s[26:27]
	s_cbranch_execz .LBB2_4429
; %bb.4426:                             ;   in Loop: Header=BB2_4308 Depth=3
	v_add_u32_e32 v9, v9, v11
	v_ashrrev_i32_e32 v10, 31, v9
	s_mov_b64 s[94:95], 0
.LBB2_4427:                             ;   Parent Loop BB2_47 Depth=1
                                        ;     Parent Loop BB2_4305 Depth=2
                                        ;       Parent Loop BB2_4308 Depth=3
                                        ; =>      This Inner Loop Header: Depth=4
	v_add_co_u32_e64 v25, s[26:27], v13, v9
	v_addc_co_u32_e64 v26, s[26:27], v14, v10, s[26:27]
	global_load_dwordx4 v[40:43], v[25:26], off glc slc
	v_add_co_u32_e64 v25, s[26:27], v54, v9
	v_addc_co_u32_e64 v26, s[26:27], v55, v10, s[26:27]
	v_add_co_u32_e64 v9, s[26:27], v9, v38
	v_sub_u32_e32 v8, v8, v38
	v_addc_co_u32_e64 v10, s[26:27], 0, v10, s[26:27]
	v_cmp_gt_i32_e64 s[26:27], 16, v8
	v_sub_u32_e32 v21, v21, v17
	s_or_b64 s[94:95], s[26:27], s[94:95]
	s_waitcnt vmcnt(0)
	global_store_dwordx4 v[25:26], v[40:43], off glc slc
	s_andn2_b64 exec, exec, s[94:95]
	s_cbranch_execnz .LBB2_4427
; %bb.4428:                             ;   in Loop: Header=BB2_4308 Depth=3
	s_or_b64 exec, exec, s[94:95]
.LBB2_4429:                             ;   in Loop: Header=BB2_4308 Depth=3
	s_or_b64 exec, exec, s[40:41]
	v_and_b32_e32 v25, 15, v2
	v_cndmask_b32_e32 v9, v24, v25, vcc
	v_mov_b32_e32 v8, 0
	v_cmp_ne_u32_e64 s[26:27], 0, v9
	s_mov_b64 s[94:95], 0
                                        ; implicit-def: $vgpr10
                                        ; implicit-def: $vgpr16
	s_and_saveexec_b64 s[40:41], s[26:27]
	s_cbranch_execz .LBB2_4431
; %bb.4430:                             ;   in Loop: Header=BB2_4308 Depth=3
	v_sub_u32_e32 v8, v24, v25
	v_cndmask_b32_e32 v8, 0, v8, vcc
	v_cmp_lt_i32_e32 vcc, 0, v21
	v_cndmask_b32_e32 v10, 0, v17, vcc
	v_sub_u32_e32 v10, v10, v21
	v_lshl_add_u32 v10, v10, 6, v18
	v_add3_u32 v8, v19, v11, v8
	v_ashrrev_i32_e32 v11, 31, v10
	v_lshrrev_b32_e32 v11, 26, v11
	v_add_u32_e32 v11, v10, v11
	v_ashrrev_i32_e32 v16, 6, v11
	s_mov_b64 s[94:95], exec
.LBB2_4431:                             ;   in Loop: Header=BB2_4308 Depth=3
	s_or_b64 exec, exec, s[40:41]
	buffer_load_dword v24, off, s[0:3], s33 offset:112 ; 4-byte Folded Reload
	buffer_load_dword v25, off, s[0:3], s33 offset:116 ; 4-byte Folded Reload
	;; [unrolled: 1-line block ×4, first 2 shown]
	s_and_b64 s[40:41], s[94:95], exec
.LBB2_4432:                             ;   in Loop: Header=BB2_4308 Depth=3
	s_or_b64 exec, exec, s[28:29]
	s_and_saveexec_b64 s[26:27], s[40:41]
	s_cbranch_execz .LBB2_4441
.LBB2_4433:                             ;   in Loop: Header=BB2_4308 Depth=3
	v_ashrrev_i32_e32 v11, 31, v9
	v_lshrrev_b32_e32 v11, 23, v11
	v_add_u32_e32 v11, v9, v11
	v_ashrrev_i32_e32 v19, 9, v11
	v_sub_u32_e32 v11, v19, v16
	v_ashrrev_i32_e32 v18, 31, v10
	v_cmp_lt_i32_e32 vcc, 0, v11
	v_lshrrev_b32_e32 v18, 26, v18
	s_and_saveexec_b64 s[28:29], vcc
	s_cbranch_execz .LBB2_4437
; %bb.4434:                             ;   in Loop: Header=BB2_4308 Depth=3
	v_add_u32_e32 v21, v10, v18
	v_and_b32_e32 v21, 0xffffffc0, v21
	v_sub_u32_e32 v21, v10, v21
	v_lshlrev_b32_e32 v16, 9, v16
	v_add3_u32 v16, v8, v21, v16
	v_ashrrev_i32_e32 v21, 31, v16
	s_mov_b64 s[40:41], 0
.LBB2_4435:                             ;   Parent Loop BB2_47 Depth=1
                                        ;     Parent Loop BB2_4305 Depth=2
                                        ;       Parent Loop BB2_4308 Depth=3
                                        ; =>      This Inner Loop Header: Depth=4
	s_waitcnt vmcnt(0)
	v_add_co_u32_e32 v24, vcc, v16, v13
	v_addc_co_u32_e32 v25, vcc, v21, v14, vcc
	flat_load_ubyte v26, v[24:25] glc slc
	flat_load_ubyte v27, v[24:25] offset:64 glc slc
	flat_load_ubyte v30, v[24:25] offset:128 glc slc
	;; [unrolled: 1-line block ×7, first 2 shown]
	v_add_co_u32_e32 v24, vcc, v16, v54
	v_addc_co_u32_e32 v25, vcc, v21, v55, vcc
	v_add_co_u32_e32 v13, vcc, v13, v39
	v_addc_co_u32_e32 v14, vcc, 0, v14, vcc
	v_add_co_u32_e32 v54, vcc, v54, v39
	v_sub_u32_e32 v11, v11, v17
	v_addc_co_u32_e32 v55, vcc, 0, v55, vcc
	v_cmp_gt_i32_e32 vcc, 1, v11
	s_or_b64 s[40:41], vcc, s[40:41]
	s_waitcnt vmcnt(0) lgkmcnt(0)
	flat_store_byte v[24:25], v26 glc slc
	flat_store_byte v[24:25], v27 offset:64 glc slc
	flat_store_byte v[24:25], v30 offset:128 glc slc
	;; [unrolled: 1-line block ×7, first 2 shown]
	s_andn2_b64 exec, exec, s[40:41]
	s_cbranch_execnz .LBB2_4435
; %bb.4436:                             ;   in Loop: Header=BB2_4308 Depth=3
	s_or_b64 exec, exec, s[40:41]
	buffer_load_dword v24, off, s[0:3], s33 offset:112 ; 4-byte Folded Reload
	buffer_load_dword v25, off, s[0:3], s33 offset:116 ; 4-byte Folded Reload
	;; [unrolled: 1-line block ×4, first 2 shown]
.LBB2_4437:                             ;   in Loop: Header=BB2_4308 Depth=3
	s_or_b64 exec, exec, s[28:29]
	buffer_load_dword v16, off, s[0:3], s33 offset:56 ; 4-byte Folded Reload
	v_lshlrev_b32_e32 v13, 9, v19
	v_cmp_ne_u32_e32 vcc, v9, v13
	s_and_b64 s[28:29], exec, vcc
	s_mov_b64 exec, s[28:29]
	s_cbranch_execz .LBB2_4441
; %bb.4438:                             ;   in Loop: Header=BB2_4308 Depth=3
	v_add_u32_e32 v14, v10, v18
	v_and_b32_e32 v14, 0xffffffc0, v14
	v_sub_u32_e32 v10, v10, v14
	v_lshlrev_b32_e32 v11, 6, v11
	v_sub_u32_e32 v10, v10, v11
	v_add_u32_e32 v11, v13, v10
	v_sub_u32_e32 v10, v9, v11
	v_cmp_lt_i32_e32 vcc, 0, v10
	s_and_b64 exec, exec, vcc
	s_cbranch_execz .LBB2_4441
; %bb.4439:                             ;   in Loop: Header=BB2_4308 Depth=3
	v_add_u32_e32 v11, v11, v8
	s_trap 2
	ds_read_b64 v[8:9], v0
	v_ashrrev_i32_e32 v13, 31, v11
	s_mov_b64 s[28:29], 0
.LBB2_4440:                             ;   Parent Loop BB2_47 Depth=1
                                        ;     Parent Loop BB2_4305 Depth=2
                                        ;       Parent Loop BB2_4308 Depth=3
                                        ; =>      This Inner Loop Header: Depth=4
	s_waitcnt lgkmcnt(0)
	v_add_co_u32_e32 v18, vcc, v8, v11
	v_addc_co_u32_e32 v19, vcc, v9, v13, vcc
	flat_load_ubyte v14, v[18:19] glc slc
	s_waitcnt vmcnt(0)
	v_add_co_u32_e32 v11, vcc, v11, v16
	v_sub_u32_e32 v10, v10, v16
	v_addc_co_u32_e32 v13, vcc, 0, v13, vcc
	v_cmp_gt_i32_e32 vcc, 1, v10
	s_or_b64 s[28:29], vcc, s[28:29]
	s_waitcnt lgkmcnt(0)
	flat_store_byte v[18:19], v14 glc slc
	s_andn2_b64 exec, exec, s[28:29]
	s_cbranch_execnz .LBB2_4440
.LBB2_4441:                             ;   in Loop: Header=BB2_4308 Depth=3
	s_or_b64 exec, exec, s[26:27]
.LBB2_4442:                             ;   in Loop: Header=BB2_4308 Depth=3
	v_cmp_lt_i32_e64 s[26:27], 0, v2
	buffer_load_dword v54, off, s[0:3], s33 offset:56 ; 4-byte Folded Reload
	s_and_saveexec_b64 s[28:29], s[10:11]
	s_cbranch_execz .LBB2_4461
.LBB2_4443:                             ;   in Loop: Header=BB2_4308 Depth=3
	s_and_saveexec_b64 s[40:41], s[58:59]
	s_xor_b64 s[40:41], exec, s[40:41]
	s_cbranch_execz .LBB2_4458
; %bb.4444:                             ;   in Loop: Header=BB2_4308 Depth=3
	s_and_saveexec_b64 s[94:95], s[16:17]
	s_cbranch_execz .LBB2_4457
; %bb.4445:                             ;   in Loop: Header=BB2_4308 Depth=3
	s_mov_b64 s[34:35], exec
	v_mbcnt_lo_u32_b32 v2, s34, 0
	v_mbcnt_hi_u32_b32 v2, s35, v2
	v_cmp_eq_u32_e32 vcc, 0, v2
	s_waitcnt vmcnt(0) lgkmcnt(0)
	buffer_wbinvl1_vol
	s_and_saveexec_b64 s[30:31], vcc
	s_cbranch_execz .LBB2_4447
; %bb.4446:                             ;   in Loop: Header=BB2_4308 Depth=3
	s_bcnt1_i32_b64 s44, s[34:35]
	v_mov_b32_e32 v2, s44
	ds_add_u64 v0, v[2:3]
	s_trap 2
.LBB2_4447:                             ;   in Loop: Header=BB2_4308 Depth=3
	s_or_b64 exec, exec, s[30:31]
	s_trap 2
	ds_read_b64 v[8:9], v0
	s_waitcnt lgkmcnt(0)
	v_add_co_u32_e32 v28, vcc, v28, v17
	v_addc_co_u32_e32 v29, vcc, 0, v29, vcc
	v_cmp_lt_u64_e32 vcc, v[8:9], v[28:29]
	s_and_saveexec_b64 s[30:31], vcc
	s_cbranch_execz .LBB2_4456
; %bb.4448:                             ;   in Loop: Header=BB2_4308 Depth=3
	s_mov_b32 s44, 0
	s_mov_b64 s[34:35], 0
                                        ; implicit-def: $sgpr36_sgpr37
                                        ; implicit-def: $sgpr38_sgpr39
	s_branch .LBB2_4450
.LBB2_4449:                             ;   in Loop: Header=BB2_4450 Depth=4
	s_or_b64 exec, exec, s[50:51]
	s_and_b64 vcc, exec, vcc
	s_or_b64 s[34:35], vcc, s[34:35]
	s_andn2_b64 vcc, s[36:37], exec
	s_and_b64 s[36:37], s[38:39], exec
	s_or_b64 s[36:37], vcc, s[36:37]
	s_andn2_b64 exec, exec, s[34:35]
	s_cbranch_execz .LBB2_4454
.LBB2_4450:                             ;   Parent Loop BB2_47 Depth=1
                                        ;     Parent Loop BB2_4305 Depth=2
                                        ;       Parent Loop BB2_4308 Depth=3
                                        ; =>      This Inner Loop Header: Depth=4
	s_add_i32 s44, s44, 1
	s_cmpk_lg_i32 s44, 0x2710
	s_cselect_b64 s[48:49], -1, 0
	s_and_b64 vcc, exec, s[48:49]
	s_cbranch_vccz .LBB2_4452
; %bb.4451:                             ;   in Loop: Header=BB2_4450 Depth=4
	s_mov_b64 vcc, -1
	s_or_b64 s[38:39], s[38:39], exec
	s_and_saveexec_b64 s[50:51], s[48:49]
	s_cbranch_execz .LBB2_4449
	s_branch .LBB2_4453
.LBB2_4452:                             ;   in Loop: Header=BB2_4450 Depth=4
	s_trap 2
	ds_read_b64 v[8:9], v0
	s_andn2_b64 s[48:49], s[48:49], exec
	s_mov_b32 s44, 0
	s_waitcnt lgkmcnt(0)
	flat_load_dword v2, v[8:9] glc
	s_waitcnt vmcnt(0) lgkmcnt(0)
	buffer_wbinvl1_vol
	v_cmp_eq_u32_e32 vcc, 0, v2
	s_and_b64 vcc, vcc, exec
	s_or_b64 s[48:49], s[48:49], vcc
	s_mov_b64 vcc, -1
	s_or_b64 s[38:39], s[38:39], exec
	s_and_saveexec_b64 s[50:51], s[48:49]
	s_cbranch_execz .LBB2_4449
.LBB2_4453:                             ;   in Loop: Header=BB2_4450 Depth=4
	s_sleep 1
	s_trap 2
	ds_read_b64 v[8:9], v0
	s_waitcnt lgkmcnt(0)
	s_andn2_b64 s[38:39], s[38:39], exec
	v_cmp_ge_u64_e32 vcc, v[8:9], v[28:29]
	s_orn2_b64 vcc, vcc, exec
	s_branch .LBB2_4449
.LBB2_4454:                             ;   in Loop: Header=BB2_4308 Depth=3
	s_or_b64 exec, exec, s[34:35]
	s_and_saveexec_b64 s[44:45], s[36:37]
	s_xor_b64 s[44:45], exec, s[44:45]
	s_cbranch_execz .LBB2_4456
; %bb.4455:                             ;   in Loop: Header=BB2_4308 Depth=3
	v_mov_b32_e32 v2, 1
	ds_write_b32 v0, v2
	s_trap 2
.LBB2_4456:                             ;   in Loop: Header=BB2_4308 Depth=3
	s_or_b64 exec, exec, s[30:31]
	;;#ASMSTART
	s_wakeup
	;;#ASMEND
.LBB2_4457:                             ;   in Loop: Header=BB2_4308 Depth=3
	s_or_b64 exec, exec, s[94:95]
.LBB2_4458:                             ;   in Loop: Header=BB2_4308 Depth=3
	s_andn2_saveexec_b64 s[40:41], s[40:41]
	s_cbranch_execz .LBB2_4460
; %bb.4459:                             ;   in Loop: Header=BB2_4308 Depth=3
	s_waitcnt vmcnt(0) lgkmcnt(0)
	buffer_wbinvl1_vol
	s_barrier
.LBB2_4460:                             ;   in Loop: Header=BB2_4308 Depth=3
	s_or_b64 exec, exec, s[40:41]
.LBB2_4461:                             ;   in Loop: Header=BB2_4308 Depth=3
	s_or_b64 exec, exec, s[28:29]
	s_waitcnt vmcnt(0)
	v_and_b32_e32 v8, 16, v20
	s_and_saveexec_b64 s[28:29], s[24:25]
	s_xor_b64 s[28:29], exec, s[28:29]
	s_cbranch_execz .LBB2_4465
; %bb.4462:                             ;   in Loop: Header=BB2_4308 Depth=3
	v_and_b32_e32 v2, 16, v20
	v_cmp_ne_u32_e32 vcc, 0, v2
	v_and_b32_e32 v8, 16, v20
	s_and_b64 s[40:41], vcc, s[26:27]
	s_and_saveexec_b64 s[26:27], s[40:41]
	s_cbranch_execz .LBB2_4464
; %bb.4463:                             ;   in Loop: Header=BB2_4308 Depth=3
	v_mov_b32_e32 v8, 1
	s_waitcnt lgkmcnt(0)
	buffer_wbinvl1_vol
.LBB2_4464:                             ;   in Loop: Header=BB2_4308 Depth=3
	s_or_b64 exec, exec, s[26:27]
.LBB2_4465:                             ;   in Loop: Header=BB2_4308 Depth=3
	s_andn2_saveexec_b64 s[26:27], s[28:29]
	s_cbranch_execz .LBB2_4484
; %bb.4466:                             ;   in Loop: Header=BB2_4308 Depth=3
	s_and_saveexec_b64 s[28:29], s[58:59]
	s_xor_b64 s[28:29], exec, s[28:29]
	s_cbranch_execz .LBB2_4481
; %bb.4467:                             ;   in Loop: Header=BB2_4308 Depth=3
	s_and_saveexec_b64 s[40:41], s[16:17]
	s_cbranch_execz .LBB2_4480
; %bb.4468:                             ;   in Loop: Header=BB2_4308 Depth=3
	s_mov_b64 s[30:31], exec
	v_mbcnt_lo_u32_b32 v2, s30, 0
	v_mbcnt_hi_u32_b32 v2, s31, v2
	v_cmp_eq_u32_e32 vcc, 0, v2
	;;#ASMSTART
	s_waitcnt lgkmcnt(0) vmcnt(0)
	;;#ASMEND
	s_and_saveexec_b64 s[94:95], vcc
	s_cbranch_execz .LBB2_4470
; %bb.4469:                             ;   in Loop: Header=BB2_4308 Depth=3
	s_bcnt1_i32_b64 s44, s[30:31]
	v_mov_b32_e32 v2, s44
	s_waitcnt lgkmcnt(0)
	ds_add_u64 v0, v[2:3]
	s_trap 2
.LBB2_4470:                             ;   in Loop: Header=BB2_4308 Depth=3
	s_or_b64 exec, exec, s[94:95]
	s_trap 2
	ds_read_b64 v[9:10], v0
	s_waitcnt lgkmcnt(0)
	v_add_co_u32_e32 v28, vcc, v28, v17
	v_addc_co_u32_e32 v29, vcc, 0, v29, vcc
	v_cmp_lt_u64_e32 vcc, v[9:10], v[28:29]
	s_and_saveexec_b64 s[94:95], vcc
	s_cbranch_execz .LBB2_4479
; %bb.4471:                             ;   in Loop: Header=BB2_4308 Depth=3
	s_mov_b32 s44, 0
	s_mov_b64 s[30:31], 0
                                        ; implicit-def: $sgpr34_sgpr35
                                        ; implicit-def: $sgpr36_sgpr37
	s_branch .LBB2_4473
.LBB2_4472:                             ;   in Loop: Header=BB2_4473 Depth=4
	s_or_b64 exec, exec, s[48:49]
	s_and_b64 vcc, exec, vcc
	s_or_b64 s[30:31], vcc, s[30:31]
	s_andn2_b64 vcc, s[34:35], exec
	s_and_b64 s[34:35], s[36:37], exec
	s_or_b64 s[34:35], vcc, s[34:35]
	s_andn2_b64 exec, exec, s[30:31]
	s_cbranch_execz .LBB2_4477
.LBB2_4473:                             ;   Parent Loop BB2_47 Depth=1
                                        ;     Parent Loop BB2_4305 Depth=2
                                        ;       Parent Loop BB2_4308 Depth=3
                                        ; =>      This Inner Loop Header: Depth=4
	s_add_i32 s44, s44, 1
	s_cmpk_lg_i32 s44, 0x2710
	s_cselect_b64 s[38:39], -1, 0
	s_and_b64 vcc, exec, s[38:39]
	s_cbranch_vccz .LBB2_4475
; %bb.4474:                             ;   in Loop: Header=BB2_4473 Depth=4
	s_mov_b64 vcc, -1
	s_or_b64 s[36:37], s[36:37], exec
	s_and_saveexec_b64 s[48:49], s[38:39]
	s_cbranch_execz .LBB2_4472
	s_branch .LBB2_4476
.LBB2_4475:                             ;   in Loop: Header=BB2_4473 Depth=4
	s_trap 2
	ds_read_b64 v[9:10], v0
	s_andn2_b64 s[38:39], s[38:39], exec
	s_mov_b32 s44, 0
	s_waitcnt lgkmcnt(0)
	flat_load_dword v2, v[9:10] glc
	s_waitcnt vmcnt(0) lgkmcnt(0)
	buffer_wbinvl1_vol
	v_cmp_eq_u32_e32 vcc, 0, v2
	s_and_b64 vcc, vcc, exec
	s_or_b64 s[38:39], s[38:39], vcc
	s_mov_b64 vcc, -1
	s_or_b64 s[36:37], s[36:37], exec
	s_and_saveexec_b64 s[48:49], s[38:39]
	s_cbranch_execz .LBB2_4472
.LBB2_4476:                             ;   in Loop: Header=BB2_4473 Depth=4
	s_sleep 1
	s_trap 2
	ds_read_b64 v[9:10], v0
	s_waitcnt lgkmcnt(0)
	s_andn2_b64 s[36:37], s[36:37], exec
	v_cmp_ge_u64_e32 vcc, v[9:10], v[28:29]
	s_orn2_b64 vcc, vcc, exec
	s_branch .LBB2_4472
.LBB2_4477:                             ;   in Loop: Header=BB2_4308 Depth=3
	s_or_b64 exec, exec, s[30:31]
	s_and_saveexec_b64 s[44:45], s[34:35]
	s_xor_b64 s[44:45], exec, s[44:45]
	s_cbranch_execz .LBB2_4479
; %bb.4478:                             ;   in Loop: Header=BB2_4308 Depth=3
	v_mov_b32_e32 v2, 1
	ds_write_b32 v0, v2
	s_trap 2
.LBB2_4479:                             ;   in Loop: Header=BB2_4308 Depth=3
	s_or_b64 exec, exec, s[94:95]
	;;#ASMSTART
	s_wakeup
	;;#ASMEND
.LBB2_4480:                             ;   in Loop: Header=BB2_4308 Depth=3
	s_or_b64 exec, exec, s[40:41]
.LBB2_4481:                             ;   in Loop: Header=BB2_4308 Depth=3
	s_andn2_saveexec_b64 s[28:29], s[28:29]
	s_cbranch_execz .LBB2_4483
; %bb.4482:                             ;   in Loop: Header=BB2_4308 Depth=3
	;;#ASMSTART
	s_waitcnt lgkmcnt(0) vmcnt(0)
	;;#ASMEND
	s_waitcnt lgkmcnt(0)
	s_barrier
.LBB2_4483:                             ;   in Loop: Header=BB2_4308 Depth=3
	s_or_b64 exec, exec, s[28:29]
.LBB2_4484:                             ;   in Loop: Header=BB2_4308 Depth=3
	s_or_b64 exec, exec, s[26:27]
	v_cmp_ne_u32_e32 vcc, 0, v8
	s_xor_b64 s[26:27], s[12:13], -1
	s_and_b64 s[28:29], vcc, s[26:27]
	s_and_saveexec_b64 s[26:27], s[28:29]
	s_cbranch_execz .LBB2_4486
; %bb.4485:                             ;   in Loop: Header=BB2_4308 Depth=3
	buffer_load_dword v8, off, s[0:3], s33 offset:80 ; 4-byte Folded Reload
	buffer_load_dword v9, off, s[0:3], s33 offset:84 ; 4-byte Folded Reload
	v_mov_b32_e32 v2, 1
	s_waitcnt vmcnt(0)
	flat_store_dword v[8:9], v2
.LBB2_4486:                             ;   in Loop: Header=BB2_4308 Depth=3
	s_or_b64 exec, exec, s[26:27]
	v_and_b32_e32 v2, 48, v20
	v_cmp_ne_u32_e32 vcc, 0, v2
	s_and_saveexec_b64 s[26:27], vcc
	s_cbranch_execz .LBB2_4307
; %bb.4487:                             ;   in Loop: Header=BB2_4308 Depth=3
	v_add_co_u32_e32 v50, vcc, 2, v50
	v_addc_co_u32_e32 v51, vcc, 0, v51, vcc
	flat_store_dwordx2 v[22:23], v[50:51]
	s_branch .LBB2_4307
.LBB2_4488:                             ;   in Loop: Header=BB2_4305 Depth=2
	s_or_b64 exec, exec, s[42:43]
	v_cmp_gt_i32_e32 vcc, 2, v2
	s_and_saveexec_b64 s[28:29], vcc
	s_cbranch_execz .LBB2_4564
.LBB2_4489:                             ;   in Loop: Header=BB2_4305 Depth=2
	v_cmp_eq_u32_e64 s[42:43], 0, v2
	s_mov_b64 s[40:41], 0
	s_branch .LBB2_4491
.LBB2_4490:                             ;   in Loop: Header=BB2_4491 Depth=3
	s_or_b64 exec, exec, s[26:27]
	v_add_u32_e32 v6, v12, v6
	s_mov_b64 s[42:43], 0
	s_andn2_b64 exec, exec, s[40:41]
	s_cbranch_execz .LBB2_4565
.LBB2_4491:                             ;   Parent Loop BB2_47 Depth=1
                                        ;     Parent Loop BB2_4305 Depth=2
                                        ; =>    This Loop Header: Depth=3
                                        ;         Child Loop BB2_4497 Depth 4
                                        ;         Child Loop BB2_4525 Depth 4
	;; [unrolled: 1-line block ×3, first 2 shown]
	v_sub_u32_e32 v2, v4, v6
	v_min_i32_e32 v12, v12, v2
	v_and_b32_e32 v2, 12, v20
	v_cmp_ne_u32_e32 vcc, 0, v2
	s_and_saveexec_b64 s[90:91], vcc
	s_cbranch_execz .LBB2_4517
; %bb.4492:                             ;   in Loop: Header=BB2_4491 Depth=3
	v_and_b32_e32 v2, 8, v20
	s_waitcnt lgkmcnt(0)
	v_add_co_u32_e32 v10, vcc, v32, v2
	v_addc_co_u32_e32 v11, vcc, 0, v33, vcc
	v_add_co_u32_e32 v8, vcc, 2, v50
	v_addc_co_u32_e32 v9, vcc, 0, v51, vcc
	v_cmp_lt_u64_e32 vcc, v[10:11], v[8:9]
	s_and_saveexec_b64 s[92:93], vcc
	s_cbranch_execz .LBB2_4504
; %bb.4493:                             ;   in Loop: Header=BB2_4491 Depth=3
	v_and_b32_e32 v7, 64, v20
	s_mov_b32 s44, 0
	v_cmp_eq_u32_e32 vcc, 0, v7
	s_mov_b64 s[94:95], 0
                                        ; implicit-def: $sgpr30_sgpr31
                                        ; implicit-def: $sgpr34_sgpr35
                                        ; implicit-def: $sgpr36_sgpr37
	s_branch .LBB2_4497
.LBB2_4494:                             ;   in Loop: Header=BB2_4497 Depth=4
	s_waitcnt vmcnt(0) lgkmcnt(0)
	v_add_co_u32_e64 v10, s[26:27], v32, v2
	v_addc_co_u32_e64 v11, s[26:27], 0, v33, s[26:27]
	v_cmp_ge_u64_e64 s[26:27], v[10:11], v[8:9]
	s_or_b64 s[50:51], s[50:51], exec
	s_orn2_b64 s[48:49], s[26:27], exec
.LBB2_4495:                             ;   in Loop: Header=BB2_4497 Depth=4
	s_or_b64 exec, exec, s[54:55]
	s_andn2_b64 s[26:27], s[36:37], exec
	s_and_b64 s[36:37], s[50:51], exec
	s_or_b64 s[36:37], s[26:27], s[36:37]
	s_andn2_b64 s[26:27], s[34:35], exec
	s_and_b64 s[34:35], s[48:49], exec
	s_or_b64 s[34:35], s[26:27], s[34:35]
.LBB2_4496:                             ;   in Loop: Header=BB2_4497 Depth=4
	s_or_b64 exec, exec, s[38:39]
	s_and_b64 s[26:27], exec, s[34:35]
	s_or_b64 s[94:95], s[26:27], s[94:95]
	s_andn2_b64 s[26:27], s[30:31], exec
	s_and_b64 s[30:31], s[36:37], exec
	s_or_b64 s[30:31], s[26:27], s[30:31]
	s_andn2_b64 exec, exec, s[94:95]
	s_cbranch_execz .LBB2_4501
.LBB2_4497:                             ;   Parent Loop BB2_47 Depth=1
                                        ;     Parent Loop BB2_4305 Depth=2
                                        ;       Parent Loop BB2_4491 Depth=3
                                        ; =>      This Inner Loop Header: Depth=4
	s_sleep 1
	s_waitcnt vmcnt(0) lgkmcnt(0)
	flat_load_dwordx2 v[32:33], v[22:23] glc
	s_or_b64 s[36:37], s[36:37], exec
	s_or_b64 s[34:35], s[34:35], exec
                                        ; implicit-def: $vgpr7
	s_and_saveexec_b64 s[38:39], vcc
	s_cbranch_execz .LBB2_4496
; %bb.4498:                             ;   in Loop: Header=BB2_4497 Depth=4
	s_cmpk_lt_i32 s44, 0x270f
	s_cselect_b64 s[52:53], -1, 0
	s_cmpk_gt_i32 s44, 0x270e
	s_mov_b64 s[48:49], -1
	s_cbranch_scc0 .LBB2_4500
; %bb.4499:                             ;   in Loop: Header=BB2_4497 Depth=4
	s_trap 2
	ds_read_b64 v[10:11], v0
	s_andn2_b64 s[52:53], s[52:53], exec
	s_mov_b32 s44, 0
	s_mov_b64 s[50:51], 0
	s_waitcnt vmcnt(0) lgkmcnt(0)
	flat_load_dword v7, v[10:11] glc
	s_waitcnt vmcnt(0) lgkmcnt(0)
	buffer_wbinvl1_vol
	v_cmp_eq_u32_e64 s[26:27], 0, v7
	s_and_b64 s[26:27], s[26:27], exec
	s_or_b64 s[52:53], s[52:53], s[26:27]
	s_and_saveexec_b64 s[54:55], s[52:53]
	s_cbranch_execz .LBB2_4495
	s_branch .LBB2_4494
.LBB2_4500:                             ;   in Loop: Header=BB2_4497 Depth=4
	s_add_i32 s44, s44, 1
	s_mov_b64 s[50:51], -1
                                        ; implicit-def: $vgpr7
	s_and_saveexec_b64 s[54:55], s[52:53]
	s_cbranch_execz .LBB2_4495
	s_branch .LBB2_4494
.LBB2_4501:                             ;   in Loop: Header=BB2_4491 Depth=3
	s_or_b64 exec, exec, s[94:95]
	s_xor_b64 s[26:27], s[30:31], -1
	s_and_saveexec_b64 s[44:45], s[26:27]
	s_xor_b64 s[26:27], exec, s[44:45]
	s_cbranch_execz .LBB2_4503
; %bb.4502:                             ;   in Loop: Header=BB2_4491 Depth=3
	v_or_b32_e32 v20, 64, v20
	s_waitcnt lgkmcnt(0)
	ds_write_b32 v0, v7
	s_trap 2
.LBB2_4503:                             ;   in Loop: Header=BB2_4491 Depth=3
	s_or_b64 exec, exec, s[26:27]
.LBB2_4504:                             ;   in Loop: Header=BB2_4491 Depth=3
	s_or_b64 exec, exec, s[92:93]
	v_and_b32_e32 v7, 0x108, v20
	v_cmp_ne_u32_e32 vcc, s69, v7
	;;#ASMSTART
	s_wakeup
	;;#ASMEND
	s_and_saveexec_b64 s[26:27], vcc
	s_xor_b64 s[26:27], exec, s[26:27]
                                        ; implicit-def: $vgpr7
; %bb.4505:                             ;   in Loop: Header=BB2_4491 Depth=3
	v_and_b32_e32 v7, 7, v50
                                        ; implicit-def: $vgpr50_vgpr51
; %bb.4506:                             ;   in Loop: Header=BB2_4491 Depth=3
	s_andn2_saveexec_b64 s[26:27], s[26:27]
	s_cbranch_execz .LBB2_4508
; %bb.4507:                             ;   in Loop: Header=BB2_4491 Depth=3
	v_and_b32_e32 v7, 7, v50
	v_mad_u64_u32 v[10:11], s[44:45], v7, 24, v[24:25]
	v_ashrrev_i32_e32 v13, 31, v12
	flat_store_dwordx2 v[10:11], v[12:13] offset:8
.LBB2_4508:                             ;   in Loop: Header=BB2_4491 Depth=3
	s_or_b64 exec, exec, s[26:27]
	v_and_b32_e32 v10, 0x100, v20
	v_cmp_ne_u32_e32 vcc, 0, v10
	s_mov_b64 s[26:27], -1
                                        ; implicit-def: $vgpr10_vgpr11
	s_and_saveexec_b64 s[92:93], vcc
	s_cbranch_execz .LBB2_4512
; %bb.4509:                             ;   in Loop: Header=BB2_4491 Depth=3
	v_mad_u64_u32 v[13:14], s[26:27], v7, 24, v[24:25]
	v_mov_b32_e32 v10, v14
	v_mad_u64_u32 v[10:11], s[26:27], v3, 24, v[10:11]
	v_mov_b32_e32 v14, v10
	flat_load_dword v10, v[13:14]
	s_waitcnt vmcnt(0) lgkmcnt(0)
	v_cmp_ne_u32_e32 vcc, 1, v10
	v_cmp_eq_u32_e64 s[26:27], 1, v10
                                        ; implicit-def: $vgpr10_vgpr11
	s_and_saveexec_b64 s[94:95], s[26:27]
	s_cbranch_execz .LBB2_4511
; %bb.4510:                             ;   in Loop: Header=BB2_4491 Depth=3
	flat_load_dword v10, v[13:14] offset:4 glc
	s_waitcnt vmcnt(0) lgkmcnt(0)
	v_ashrrev_i32_e32 v11, 31, v10
.LBB2_4511:                             ;   in Loop: Header=BB2_4491 Depth=3
	s_or_b64 exec, exec, s[94:95]
	s_orn2_b64 s[26:27], vcc, exec
.LBB2_4512:                             ;   in Loop: Header=BB2_4491 Depth=3
	s_or_b64 exec, exec, s[92:93]
	s_and_saveexec_b64 s[92:93], s[26:27]
	s_cbranch_execz .LBB2_4514
; %bb.4513:                             ;   in Loop: Header=BB2_4491 Depth=3
	buffer_load_dword v10, off, s[0:3], s33 offset:104 ; 4-byte Folded Reload
	v_mul_lo_u32 v13, v3, v47
	s_waitcnt vmcnt(0)
	v_mul_lo_u32 v14, v7, v10
	v_mad_u64_u32 v[10:11], s[26:27], v7, v47, 0
	v_add3_u32 v11, v11, v14, v13
.LBB2_4514:                             ;   in Loop: Header=BB2_4491 Depth=3
	s_or_b64 exec, exec, s[92:93]
	buffer_load_dword v13, off, s[0:3], s33 offset:72 ; 4-byte Folded Reload
	buffer_load_dword v14, off, s[0:3], s33 offset:76 ; 4-byte Folded Reload
	v_cmp_eq_u32_e32 vcc, 0, v2
	v_mov_b32_e32 v2, 0xd0
	v_mov_b32_e32 v7, 0x88
	v_cndmask_b32_e32 v2, v2, v7, vcc
	v_add_u32_e32 v2, v0, v2
	s_waitcnt vmcnt(0)
	v_add_co_u32_e32 v10, vcc, v13, v10
	v_addc_co_u32_e32 v11, vcc, v14, v11, vcc
	ds_write_b64 v2, v[10:11] offset:584
	v_and_b32_e32 v2, 0x2000, v20
	v_cmp_ne_u32_e32 vcc, 0, v2
	s_and_saveexec_b64 s[26:27], vcc
	s_cbranch_execz .LBB2_4516
; %bb.4515:                             ;   in Loop: Header=BB2_4491 Depth=3
	ds_read_b64 v[10:11], v0 offset:872
	s_waitcnt lgkmcnt(0)
	v_add_co_u32_e32 v10, vcc, 1, v10
	v_addc_co_u32_e32 v11, vcc, 0, v11, vcc
	ds_write_b64 v0, v[10:11] offset:872
.LBB2_4516:                             ;   in Loop: Header=BB2_4491 Depth=3
	s_or_b64 exec, exec, s[26:27]
	v_mov_b32_e32 v51, v9
	v_mov_b32_e32 v50, v8
.LBB2_4517:                             ;   in Loop: Header=BB2_4491 Depth=3
	s_or_b64 exec, exec, s[90:91]
	s_xor_b64 s[26:27], s[42:43], -1
	s_and_b64 s[26:27], exec, s[26:27]
	s_or_b64 s[40:41], s[26:27], s[40:41]
	s_and_saveexec_b64 s[26:27], s[10:11]
	s_cbranch_execz .LBB2_4536
; %bb.4518:                             ;   in Loop: Header=BB2_4491 Depth=3
	s_and_saveexec_b64 s[42:43], s[58:59]
	s_xor_b64 s[42:43], exec, s[42:43]
	s_cbranch_execz .LBB2_4533
; %bb.4519:                             ;   in Loop: Header=BB2_4491 Depth=3
	s_and_saveexec_b64 s[90:91], s[16:17]
	s_cbranch_execz .LBB2_4532
; %bb.4520:                             ;   in Loop: Header=BB2_4491 Depth=3
	s_mov_b64 s[94:95], exec
	v_mbcnt_lo_u32_b32 v2, s94, 0
	v_mbcnt_hi_u32_b32 v2, s95, v2
	v_cmp_eq_u32_e32 vcc, 0, v2
	s_waitcnt vmcnt(0) lgkmcnt(0)
	buffer_wbinvl1_vol
	s_and_saveexec_b64 s[92:93], vcc
	s_cbranch_execz .LBB2_4522
; %bb.4521:                             ;   in Loop: Header=BB2_4491 Depth=3
	s_bcnt1_i32_b64 s44, s[94:95]
	v_mov_b32_e32 v2, s44
	ds_add_u64 v0, v[2:3]
	s_trap 2
.LBB2_4522:                             ;   in Loop: Header=BB2_4491 Depth=3
	s_or_b64 exec, exec, s[92:93]
	s_trap 2
	ds_read_b64 v[7:8], v0
	s_waitcnt lgkmcnt(0)
	v_add_co_u32_e32 v28, vcc, v28, v17
	v_addc_co_u32_e32 v29, vcc, 0, v29, vcc
	v_cmp_lt_u64_e32 vcc, v[7:8], v[28:29]
	s_and_saveexec_b64 s[92:93], vcc
	s_cbranch_execz .LBB2_4531
; %bb.4523:                             ;   in Loop: Header=BB2_4491 Depth=3
	s_mov_b32 s44, 0
	s_mov_b64 s[94:95], 0
                                        ; implicit-def: $sgpr30_sgpr31
                                        ; implicit-def: $sgpr34_sgpr35
	s_branch .LBB2_4525
.LBB2_4524:                             ;   in Loop: Header=BB2_4525 Depth=4
	s_or_b64 exec, exec, s[38:39]
	s_and_b64 vcc, exec, vcc
	s_or_b64 s[94:95], vcc, s[94:95]
	s_andn2_b64 vcc, s[30:31], exec
	s_and_b64 s[30:31], s[34:35], exec
	s_or_b64 s[30:31], vcc, s[30:31]
	s_andn2_b64 exec, exec, s[94:95]
	s_cbranch_execz .LBB2_4529
.LBB2_4525:                             ;   Parent Loop BB2_47 Depth=1
                                        ;     Parent Loop BB2_4305 Depth=2
                                        ;       Parent Loop BB2_4491 Depth=3
                                        ; =>      This Inner Loop Header: Depth=4
	s_add_i32 s44, s44, 1
	s_cmpk_lg_i32 s44, 0x2710
	s_cselect_b64 s[36:37], -1, 0
	s_and_b64 vcc, exec, s[36:37]
	s_cbranch_vccz .LBB2_4527
; %bb.4526:                             ;   in Loop: Header=BB2_4525 Depth=4
	s_mov_b64 vcc, -1
	s_or_b64 s[34:35], s[34:35], exec
	s_and_saveexec_b64 s[38:39], s[36:37]
	s_cbranch_execz .LBB2_4524
	s_branch .LBB2_4528
.LBB2_4527:                             ;   in Loop: Header=BB2_4525 Depth=4
	s_trap 2
	ds_read_b64 v[7:8], v0
	s_andn2_b64 s[36:37], s[36:37], exec
	s_mov_b32 s44, 0
	s_waitcnt lgkmcnt(0)
	flat_load_dword v2, v[7:8] glc
	s_waitcnt vmcnt(0) lgkmcnt(0)
	buffer_wbinvl1_vol
	v_cmp_eq_u32_e32 vcc, 0, v2
	s_and_b64 vcc, vcc, exec
	s_or_b64 s[36:37], s[36:37], vcc
	s_mov_b64 vcc, -1
	s_or_b64 s[34:35], s[34:35], exec
	s_and_saveexec_b64 s[38:39], s[36:37]
	s_cbranch_execz .LBB2_4524
.LBB2_4528:                             ;   in Loop: Header=BB2_4525 Depth=4
	s_sleep 1
	s_trap 2
	ds_read_b64 v[7:8], v0
	s_waitcnt lgkmcnt(0)
	s_andn2_b64 s[34:35], s[34:35], exec
	v_cmp_ge_u64_e32 vcc, v[7:8], v[28:29]
	s_orn2_b64 vcc, vcc, exec
	s_branch .LBB2_4524
.LBB2_4529:                             ;   in Loop: Header=BB2_4491 Depth=3
	s_or_b64 exec, exec, s[94:95]
	s_and_saveexec_b64 s[44:45], s[30:31]
	s_xor_b64 s[44:45], exec, s[44:45]
	s_cbranch_execz .LBB2_4531
; %bb.4530:                             ;   in Loop: Header=BB2_4491 Depth=3
	v_mov_b32_e32 v2, 1
	ds_write_b32 v0, v2
	s_trap 2
.LBB2_4531:                             ;   in Loop: Header=BB2_4491 Depth=3
	s_or_b64 exec, exec, s[92:93]
	;;#ASMSTART
	s_wakeup
	;;#ASMEND
.LBB2_4532:                             ;   in Loop: Header=BB2_4491 Depth=3
	s_or_b64 exec, exec, s[90:91]
.LBB2_4533:                             ;   in Loop: Header=BB2_4491 Depth=3
	s_andn2_saveexec_b64 s[42:43], s[42:43]
	s_cbranch_execz .LBB2_4535
; %bb.4534:                             ;   in Loop: Header=BB2_4491 Depth=3
	s_waitcnt vmcnt(0) lgkmcnt(0)
	buffer_wbinvl1_vol
	s_barrier
.LBB2_4535:                             ;   in Loop: Header=BB2_4491 Depth=3
	s_or_b64 exec, exec, s[42:43]
.LBB2_4536:                             ;   in Loop: Header=BB2_4491 Depth=3
	s_or_b64 exec, exec, s[26:27]
	v_and_b32_e32 v7, 16, v20
	s_and_saveexec_b64 s[26:27], s[24:25]
	s_xor_b64 s[26:27], exec, s[26:27]
	s_cbranch_execz .LBB2_4540
; %bb.4537:                             ;   in Loop: Header=BB2_4491 Depth=3
	s_trap 2
	ds_read_b32 v2, v0
	v_cmp_lt_i32_e32 vcc, 0, v12
	v_and_b32_e32 v7, 16, v20
	s_waitcnt lgkmcnt(0)
	v_readfirstlane_b32 s42, v2
	s_cmp_eq_u32 s42, 0
	s_cselect_b64 s[42:43], -1, 0
	v_and_b32_e32 v2, 16, v20
	s_and_b64 s[42:43], vcc, s[42:43]
	v_cmp_ne_u32_e32 vcc, 0, v2
	s_and_b64 s[44:45], vcc, s[42:43]
	s_and_saveexec_b64 s[42:43], s[44:45]
	s_cbranch_execz .LBB2_4539
; %bb.4538:                             ;   in Loop: Header=BB2_4491 Depth=3
	v_mov_b32_e32 v7, 1
	s_waitcnt vmcnt(0)
	buffer_wbinvl1_vol
.LBB2_4539:                             ;   in Loop: Header=BB2_4491 Depth=3
	s_or_b64 exec, exec, s[42:43]
.LBB2_4540:                             ;   in Loop: Header=BB2_4491 Depth=3
	s_andn2_saveexec_b64 s[26:27], s[26:27]
	s_cbranch_execz .LBB2_4559
; %bb.4541:                             ;   in Loop: Header=BB2_4491 Depth=3
	s_and_saveexec_b64 s[42:43], s[58:59]
	s_xor_b64 s[42:43], exec, s[42:43]
	s_cbranch_execz .LBB2_4556
; %bb.4542:                             ;   in Loop: Header=BB2_4491 Depth=3
	s_and_saveexec_b64 s[90:91], s[16:17]
	s_cbranch_execz .LBB2_4555
; %bb.4543:                             ;   in Loop: Header=BB2_4491 Depth=3
	s_mov_b64 s[94:95], exec
	v_mbcnt_lo_u32_b32 v2, s94, 0
	v_mbcnt_hi_u32_b32 v2, s95, v2
	v_cmp_eq_u32_e32 vcc, 0, v2
	;;#ASMSTART
	s_waitcnt lgkmcnt(0) vmcnt(0)
	;;#ASMEND
	s_and_saveexec_b64 s[92:93], vcc
	s_cbranch_execz .LBB2_4545
; %bb.4544:                             ;   in Loop: Header=BB2_4491 Depth=3
	s_bcnt1_i32_b64 s44, s[94:95]
	v_mov_b32_e32 v2, s44
	s_waitcnt lgkmcnt(0)
	ds_add_u64 v0, v[2:3]
	s_trap 2
.LBB2_4545:                             ;   in Loop: Header=BB2_4491 Depth=3
	s_or_b64 exec, exec, s[92:93]
	s_trap 2
	ds_read_b64 v[8:9], v0
	s_waitcnt lgkmcnt(0)
	v_add_co_u32_e32 v28, vcc, v28, v17
	v_addc_co_u32_e32 v29, vcc, 0, v29, vcc
	v_cmp_lt_u64_e32 vcc, v[8:9], v[28:29]
	s_and_saveexec_b64 s[92:93], vcc
	s_cbranch_execz .LBB2_4554
; %bb.4546:                             ;   in Loop: Header=BB2_4491 Depth=3
	s_mov_b32 s44, 0
	s_mov_b64 s[94:95], 0
                                        ; implicit-def: $sgpr30_sgpr31
                                        ; implicit-def: $sgpr34_sgpr35
	s_branch .LBB2_4548
.LBB2_4547:                             ;   in Loop: Header=BB2_4548 Depth=4
	s_or_b64 exec, exec, s[38:39]
	s_and_b64 vcc, exec, vcc
	s_or_b64 s[94:95], vcc, s[94:95]
	s_andn2_b64 vcc, s[30:31], exec
	s_and_b64 s[30:31], s[34:35], exec
	s_or_b64 s[30:31], vcc, s[30:31]
	s_andn2_b64 exec, exec, s[94:95]
	s_cbranch_execz .LBB2_4552
.LBB2_4548:                             ;   Parent Loop BB2_47 Depth=1
                                        ;     Parent Loop BB2_4305 Depth=2
                                        ;       Parent Loop BB2_4491 Depth=3
                                        ; =>      This Inner Loop Header: Depth=4
	s_add_i32 s44, s44, 1
	s_cmpk_lg_i32 s44, 0x2710
	s_cselect_b64 s[36:37], -1, 0
	s_and_b64 vcc, exec, s[36:37]
	s_cbranch_vccz .LBB2_4550
; %bb.4549:                             ;   in Loop: Header=BB2_4548 Depth=4
	s_mov_b64 vcc, -1
	s_or_b64 s[34:35], s[34:35], exec
	s_and_saveexec_b64 s[38:39], s[36:37]
	s_cbranch_execz .LBB2_4547
	s_branch .LBB2_4551
.LBB2_4550:                             ;   in Loop: Header=BB2_4548 Depth=4
	s_trap 2
	ds_read_b64 v[8:9], v0
	s_andn2_b64 s[36:37], s[36:37], exec
	s_mov_b32 s44, 0
	s_waitcnt vmcnt(0) lgkmcnt(0)
	flat_load_dword v2, v[8:9] glc
	s_waitcnt vmcnt(0) lgkmcnt(0)
	buffer_wbinvl1_vol
	v_cmp_eq_u32_e32 vcc, 0, v2
	s_and_b64 vcc, vcc, exec
	s_or_b64 s[36:37], s[36:37], vcc
	s_mov_b64 vcc, -1
	s_or_b64 s[34:35], s[34:35], exec
	s_and_saveexec_b64 s[38:39], s[36:37]
	s_cbranch_execz .LBB2_4547
.LBB2_4551:                             ;   in Loop: Header=BB2_4548 Depth=4
	s_sleep 1
	s_trap 2
	ds_read_b64 v[8:9], v0
	s_waitcnt lgkmcnt(0)
	s_andn2_b64 s[34:35], s[34:35], exec
	v_cmp_ge_u64_e32 vcc, v[8:9], v[28:29]
	s_orn2_b64 vcc, vcc, exec
	s_branch .LBB2_4547
.LBB2_4552:                             ;   in Loop: Header=BB2_4491 Depth=3
	s_or_b64 exec, exec, s[94:95]
	s_and_saveexec_b64 s[44:45], s[30:31]
	s_xor_b64 s[44:45], exec, s[44:45]
	s_cbranch_execz .LBB2_4554
; %bb.4553:                             ;   in Loop: Header=BB2_4491 Depth=3
	v_mov_b32_e32 v2, 1
	ds_write_b32 v0, v2
	s_trap 2
.LBB2_4554:                             ;   in Loop: Header=BB2_4491 Depth=3
	s_or_b64 exec, exec, s[92:93]
	;;#ASMSTART
	s_wakeup
	;;#ASMEND
.LBB2_4555:                             ;   in Loop: Header=BB2_4491 Depth=3
	s_or_b64 exec, exec, s[90:91]
.LBB2_4556:                             ;   in Loop: Header=BB2_4491 Depth=3
	s_andn2_saveexec_b64 s[42:43], s[42:43]
	s_cbranch_execz .LBB2_4558
; %bb.4557:                             ;   in Loop: Header=BB2_4491 Depth=3
	;;#ASMSTART
	s_waitcnt lgkmcnt(0) vmcnt(0)
	;;#ASMEND
	s_waitcnt vmcnt(0) lgkmcnt(0)
	s_barrier
.LBB2_4558:                             ;   in Loop: Header=BB2_4491 Depth=3
	s_or_b64 exec, exec, s[42:43]
.LBB2_4559:                             ;   in Loop: Header=BB2_4491 Depth=3
	s_or_b64 exec, exec, s[26:27]
	v_cmp_ne_u32_e32 vcc, 0, v7
	s_xor_b64 s[26:27], s[12:13], -1
	s_and_b64 s[42:43], vcc, s[26:27]
	s_and_saveexec_b64 s[26:27], s[42:43]
	s_cbranch_execz .LBB2_4561
; %bb.4560:                             ;   in Loop: Header=BB2_4491 Depth=3
	buffer_load_dword v7, off, s[0:3], s33 offset:80 ; 4-byte Folded Reload
	buffer_load_dword v8, off, s[0:3], s33 offset:84 ; 4-byte Folded Reload
	v_mov_b32_e32 v2, 1
	s_waitcnt vmcnt(0)
	flat_store_dword v[7:8], v2
.LBB2_4561:                             ;   in Loop: Header=BB2_4491 Depth=3
	s_or_b64 exec, exec, s[26:27]
	v_and_b32_e32 v2, 48, v20
	v_cmp_ne_u32_e32 vcc, 0, v2
	s_and_saveexec_b64 s[26:27], vcc
	s_cbranch_execz .LBB2_4490
; %bb.4562:                             ;   in Loop: Header=BB2_4491 Depth=3
	v_add_co_u32_e32 v50, vcc, 2, v50
	v_addc_co_u32_e32 v51, vcc, 0, v51, vcc
	flat_store_dwordx2 v[22:23], v[50:51]
	s_branch .LBB2_4490
.LBB2_4563:                             ;   in Loop: Header=BB2_4305 Depth=2
	s_or_b64 exec, exec, s[90:91]
	s_or_b64 exec, exec, s[42:43]
	v_cmp_gt_i32_e32 vcc, 2, v2
	s_and_saveexec_b64 s[28:29], vcc
	s_cbranch_execnz .LBB2_4489
.LBB2_4564:                             ;   in Loop: Header=BB2_4305 Depth=2
	s_or_b64 exec, exec, s[28:29]
	s_add_i32 s26, s46, 1
	s_cmp_eq_u32 s46, s87
	s_cbranch_scc0 .LBB2_4566
	s_branch .LBB2_4567
.LBB2_4565:                             ;   in Loop: Header=BB2_4305 Depth=2
	s_or_b64 exec, exec, s[40:41]
	s_or_b64 exec, exec, s[28:29]
	s_add_i32 s26, s46, 1
	s_cmp_eq_u32 s46, s87
	s_cbranch_scc1 .LBB2_4567
.LBB2_4566:                             ;   in Loop: Header=BB2_4305 Depth=2
	s_mov_b32 s46, s26
	s_branch .LBB2_4305
.LBB2_4567:                             ;   in Loop: Header=BB2_47 Depth=1
	buffer_load_dword v10, off, s[0:3], s33 offset:184 ; 4-byte Folded Reload
	buffer_load_dword v11, off, s[0:3], s33 offset:188 ; 4-byte Folded Reload
	;; [unrolled: 1-line block ×4, first 2 shown]
	s_waitcnt vmcnt(0)
	v_mul_lo_u32 v4, v10, s97
	v_mul_lo_u32 v2, v11, s96
	v_mad_u64_u32 v[8:9], s[26:27], v10, s96, 0
	v_sub_co_u32_e32 v6, vcc, v6, v8
	v_add3_u32 v9, v9, v4, v2
	v_subb_co_u32_e32 v7, vcc, v7, v9, vcc
	v_cmp_lt_i64_e32 vcc, v[10:11], v[6:7]
	v_mov_b32_e32 v2, 0
	v_cndmask_b32_e32 v7, v6, v10, vcc
	v_max_i32_e32 v4, 0, v7
	v_add_u32_e32 v6, 31, v4
	v_lshrrev_b32_e32 v6, 1, v6
	v_and_b32_e32 v6, 0x3ffffff0, v6
	v_cmp_lt_i32_e32 vcc, 0, v7
	v_max_i32_e32 v6, s86, v6
	s_and_b64 s[26:27], s[78:79], vcc
	v_mov_b32_e32 v7, 0
	s_and_saveexec_b64 s[28:29], s[26:27]
	s_cbranch_execz .LBB2_4707
; %bb.4568:                             ;   in Loop: Header=BB2_47 Depth=1
	buffer_load_dword v2, off, s[0:3], s33 offset:128 ; 4-byte Folded Reload
	s_mov_b32 s46, 1
	s_mov_b64 s[42:43], -1
	v_mov_b32_e32 v7, 0
	s_mov_b64 s[40:41], 0
	s_waitcnt vmcnt(0)
	v_add_co_u32_e32 v14, vcc, v8, v2
	buffer_load_dword v2, off, s[0:3], s33 offset:132 ; 4-byte Folded Reload
	s_waitcnt vmcnt(0)
	v_addc_co_u32_e32 v15, vcc, v9, v2, vcc
	s_branch .LBB2_4570
.LBB2_4569:                             ;   in Loop: Header=BB2_4570 Depth=2
	s_or_b64 exec, exec, s[26:27]
	v_add_u32_e32 v7, v6, v7
	v_cmp_ge_i32_e32 vcc, v7, v4
	s_xor_b64 s[26:27], s[42:43], -1
	s_or_b64 s[26:27], s[26:27], vcc
	s_and_b64 s[26:27], exec, s[26:27]
	s_or_b64 s[40:41], s[26:27], s[40:41]
	s_mov_b64 s[42:43], 0
	v_mov_b32_e32 v2, s46
	s_mov_b32 s46, 2
	s_andn2_b64 exec, exec, s[40:41]
	s_cbranch_execz .LBB2_4706
.LBB2_4570:                             ;   Parent Loop BB2_47 Depth=1
                                        ; =>  This Loop Header: Depth=2
                                        ;       Child Loop BB2_4578 Depth 3
                                        ;       Child Loop BB2_4602 Depth 3
	;; [unrolled: 1-line block ×9, first 2 shown]
	s_and_saveexec_b64 s[26:27], s[4:5]
	s_cbranch_execz .LBB2_4572
; %bb.4571:                             ;   in Loop: Header=BB2_4570 Depth=2
	s_trap 2
	ds_read_b128 v[8:11], v0
	v_ashrrev_i32_e32 v12, 31, v7
	s_waitcnt lgkmcnt(0)
	v_add_co_u32_e32 v2, vcc, v8, v14
	v_addc_co_u32_e32 v9, vcc, v9, v15, vcc
	v_add_co_u32_e32 v8, vcc, v2, v7
	v_addc_co_u32_e32 v9, vcc, v9, v12, vcc
	v_add_co_u32_e32 v2, vcc, v10, v14
	ds_write_b64 v0, v[8:9]
	v_addc_co_u32_e32 v8, vcc, v11, v15, vcc
	v_add_co_u32_e32 v2, vcc, v2, v7
	v_addc_co_u32_e32 v8, vcc, v8, v12, vcc
	v_cmp_ne_u64_e32 vcc, 0, v[10:11]
	v_cndmask_b32_e32 v9, 0, v8, vcc
	v_cndmask_b32_e32 v8, 0, v2, vcc
	ds_write_b64 v0, v[8:9]
.LBB2_4572:                             ;   in Loop: Header=BB2_4570 Depth=2
	s_or_b64 exec, exec, s[26:27]
	v_and_b32_e32 v2, 4, v20
	v_cmp_ne_u32_e32 vcc, 0, v2
	s_and_saveexec_b64 s[90:91], vcc
	s_cbranch_execz .LBB2_4594
; %bb.4573:                             ;   in Loop: Header=BB2_4570 Depth=2
	v_add_co_u32_e32 v8, vcc, 2, v50
	v_addc_co_u32_e32 v9, vcc, 0, v51, vcc
	s_waitcnt lgkmcnt(0)
	v_cmp_lt_u64_e32 vcc, v[32:33], v[8:9]
	s_and_saveexec_b64 s[92:93], vcc
	s_cbranch_execz .LBB2_4585
; %bb.4574:                             ;   in Loop: Header=BB2_4570 Depth=2
	v_and_b32_e32 v2, 64, v20
	s_mov_b32 s44, 0
	v_cmp_eq_u32_e32 vcc, 0, v2
	s_mov_b64 s[94:95], 0
                                        ; implicit-def: $sgpr30_sgpr31
                                        ; implicit-def: $sgpr34_sgpr35
                                        ; implicit-def: $sgpr36_sgpr37
	s_branch .LBB2_4578
.LBB2_4575:                             ;   in Loop: Header=BB2_4578 Depth=3
	s_waitcnt vmcnt(0) lgkmcnt(0)
	v_cmp_ge_u64_e64 s[26:27], v[32:33], v[8:9]
	s_or_b64 s[50:51], s[50:51], exec
	s_orn2_b64 s[48:49], s[26:27], exec
.LBB2_4576:                             ;   in Loop: Header=BB2_4578 Depth=3
	s_or_b64 exec, exec, s[54:55]
	s_andn2_b64 s[26:27], s[36:37], exec
	s_and_b64 s[36:37], s[50:51], exec
	s_or_b64 s[36:37], s[26:27], s[36:37]
	s_andn2_b64 s[26:27], s[34:35], exec
	s_and_b64 s[34:35], s[48:49], exec
	s_or_b64 s[34:35], s[26:27], s[34:35]
.LBB2_4577:                             ;   in Loop: Header=BB2_4578 Depth=3
	s_or_b64 exec, exec, s[38:39]
	s_and_b64 s[26:27], exec, s[34:35]
	s_or_b64 s[94:95], s[26:27], s[94:95]
	s_andn2_b64 s[26:27], s[30:31], exec
	s_and_b64 s[30:31], s[36:37], exec
	s_or_b64 s[30:31], s[26:27], s[30:31]
	s_andn2_b64 exec, exec, s[94:95]
	s_cbranch_execz .LBB2_4582
.LBB2_4578:                             ;   Parent Loop BB2_47 Depth=1
                                        ;     Parent Loop BB2_4570 Depth=2
                                        ; =>    This Inner Loop Header: Depth=3
	s_sleep 1
	s_waitcnt vmcnt(0) lgkmcnt(0)
	flat_load_dwordx2 v[32:33], v[22:23] glc
	s_or_b64 s[36:37], s[36:37], exec
	s_or_b64 s[34:35], s[34:35], exec
                                        ; implicit-def: $vgpr2
	s_and_saveexec_b64 s[38:39], vcc
	s_cbranch_execz .LBB2_4577
; %bb.4579:                             ;   in Loop: Header=BB2_4578 Depth=3
	s_cmpk_lt_i32 s44, 0x270f
	s_cselect_b64 s[52:53], -1, 0
	s_cmpk_gt_i32 s44, 0x270e
	s_mov_b64 s[48:49], -1
	s_cbranch_scc0 .LBB2_4581
; %bb.4580:                             ;   in Loop: Header=BB2_4578 Depth=3
	s_trap 2
	ds_read_b64 v[10:11], v0
	s_andn2_b64 s[52:53], s[52:53], exec
	s_mov_b32 s44, 0
	s_mov_b64 s[50:51], 0
	s_waitcnt vmcnt(0) lgkmcnt(0)
	flat_load_dword v2, v[10:11] glc
	s_waitcnt vmcnt(0) lgkmcnt(0)
	buffer_wbinvl1_vol
	v_cmp_eq_u32_e64 s[26:27], 0, v2
	s_and_b64 s[26:27], s[26:27], exec
	s_or_b64 s[52:53], s[52:53], s[26:27]
	s_and_saveexec_b64 s[54:55], s[52:53]
	s_cbranch_execz .LBB2_4576
	s_branch .LBB2_4575
.LBB2_4581:                             ;   in Loop: Header=BB2_4578 Depth=3
	s_add_i32 s44, s44, 1
	s_mov_b64 s[50:51], -1
                                        ; implicit-def: $vgpr2
	s_and_saveexec_b64 s[54:55], s[52:53]
	s_cbranch_execz .LBB2_4576
	s_branch .LBB2_4575
.LBB2_4582:                             ;   in Loop: Header=BB2_4570 Depth=2
	s_or_b64 exec, exec, s[94:95]
	s_xor_b64 s[26:27], s[30:31], -1
	s_and_saveexec_b64 s[44:45], s[26:27]
	s_xor_b64 s[26:27], exec, s[44:45]
	s_cbranch_execz .LBB2_4584
; %bb.4583:                             ;   in Loop: Header=BB2_4570 Depth=2
	v_or_b32_e32 v20, 64, v20
	s_waitcnt lgkmcnt(0)
	ds_write_b32 v0, v2
	s_trap 2
.LBB2_4584:                             ;   in Loop: Header=BB2_4570 Depth=2
	s_or_b64 exec, exec, s[26:27]
.LBB2_4585:                             ;   in Loop: Header=BB2_4570 Depth=2
	s_or_b64 exec, exec, s[92:93]
	v_and_b32_e32 v2, 0x100, v20
	v_cmp_ne_u32_e32 vcc, 0, v2
	v_and_b32_e32 v2, 7, v50
	s_mov_b64 s[26:27], -1
	;;#ASMSTART
	s_wakeup
	;;#ASMEND
                                        ; implicit-def: $vgpr10_vgpr11
	s_and_saveexec_b64 s[92:93], vcc
	s_cbranch_execz .LBB2_4589
; %bb.4586:                             ;   in Loop: Header=BB2_4570 Depth=2
	s_waitcnt vmcnt(0)
	v_mad_u64_u32 v[12:13], s[26:27], v2, 24, v[24:25]
	flat_load_dword v10, v[12:13]
	s_waitcnt vmcnt(0) lgkmcnt(0)
	v_cmp_ne_u32_e32 vcc, 1, v10
	v_cmp_eq_u32_e64 s[26:27], 1, v10
                                        ; implicit-def: $vgpr10_vgpr11
	s_and_saveexec_b64 s[94:95], s[26:27]
	s_cbranch_execz .LBB2_4588
; %bb.4587:                             ;   in Loop: Header=BB2_4570 Depth=2
	flat_load_dword v10, v[12:13] offset:4 glc
	s_waitcnt vmcnt(0) lgkmcnt(0)
	v_ashrrev_i32_e32 v11, 31, v10
.LBB2_4588:                             ;   in Loop: Header=BB2_4570 Depth=2
	s_or_b64 exec, exec, s[94:95]
	s_orn2_b64 s[26:27], vcc, exec
.LBB2_4589:                             ;   in Loop: Header=BB2_4570 Depth=2
	s_or_b64 exec, exec, s[92:93]
	s_and_saveexec_b64 s[92:93], s[26:27]
; %bb.4590:                             ;   in Loop: Header=BB2_4570 Depth=2
	v_mad_i64_i32 v[10:11], s[26:27], v2, v47, 0
; %bb.4591:                             ;   in Loop: Header=BB2_4570 Depth=2
	s_or_b64 exec, exec, s[92:93]
	buffer_load_dword v12, off, s[0:3], s33 offset:72 ; 4-byte Folded Reload
	buffer_load_dword v13, off, s[0:3], s33 offset:76 ; 4-byte Folded Reload
	v_and_b32_e32 v2, 0x2000, v20
	s_waitcnt vmcnt(0)
	v_add_co_u32_e32 v10, vcc, v12, v10
	v_addc_co_u32_e32 v11, vcc, v13, v11, vcc
	v_cmp_ne_u32_e32 vcc, 0, v2
	ds_write_b64 v0, v[10:11] offset:720
	s_and_saveexec_b64 s[26:27], vcc
	s_cbranch_execz .LBB2_4593
; %bb.4592:                             ;   in Loop: Header=BB2_4570 Depth=2
	ds_read_b64 v[10:11], v0 offset:872
	s_waitcnt lgkmcnt(0)
	v_add_co_u32_e32 v10, vcc, 1, v10
	v_addc_co_u32_e32 v11, vcc, 0, v11, vcc
	ds_write_b64 v0, v[10:11] offset:872
.LBB2_4593:                             ;   in Loop: Header=BB2_4570 Depth=2
	s_or_b64 exec, exec, s[26:27]
	v_mov_b32_e32 v51, v9
	v_mov_b32_e32 v50, v8
.LBB2_4594:                             ;   in Loop: Header=BB2_4570 Depth=2
	s_or_b64 exec, exec, s[90:91]
	s_and_saveexec_b64 s[26:27], s[10:11]
	s_cbranch_execz .LBB2_4613
; %bb.4595:                             ;   in Loop: Header=BB2_4570 Depth=2
	s_and_saveexec_b64 s[44:45], s[58:59]
	s_xor_b64 s[90:91], exec, s[44:45]
	s_cbranch_execz .LBB2_4610
; %bb.4596:                             ;   in Loop: Header=BB2_4570 Depth=2
	s_and_saveexec_b64 s[92:93], s[16:17]
	s_cbranch_execz .LBB2_4609
; %bb.4597:                             ;   in Loop: Header=BB2_4570 Depth=2
	s_mov_b64 s[30:31], exec
	v_mbcnt_lo_u32_b32 v2, s30, 0
	v_mbcnt_hi_u32_b32 v2, s31, v2
	v_cmp_eq_u32_e32 vcc, 0, v2
	s_waitcnt vmcnt(0) lgkmcnt(0)
	buffer_wbinvl1_vol
	s_and_saveexec_b64 s[94:95], vcc
	s_cbranch_execz .LBB2_4599
; %bb.4598:                             ;   in Loop: Header=BB2_4570 Depth=2
	s_bcnt1_i32_b64 s44, s[30:31]
	v_mov_b32_e32 v2, s44
	ds_add_u64 v0, v[2:3]
	s_trap 2
.LBB2_4599:                             ;   in Loop: Header=BB2_4570 Depth=2
	s_or_b64 exec, exec, s[94:95]
	s_trap 2
	ds_read_b64 v[8:9], v0
	s_waitcnt lgkmcnt(0)
	v_add_co_u32_e32 v28, vcc, v28, v17
	v_addc_co_u32_e32 v29, vcc, 0, v29, vcc
	v_cmp_lt_u64_e32 vcc, v[8:9], v[28:29]
	s_and_saveexec_b64 s[94:95], vcc
	s_cbranch_execz .LBB2_4608
; %bb.4600:                             ;   in Loop: Header=BB2_4570 Depth=2
	s_mov_b32 s44, 0
	s_mov_b64 s[30:31], 0
                                        ; implicit-def: $sgpr34_sgpr35
                                        ; implicit-def: $sgpr36_sgpr37
	s_branch .LBB2_4602
.LBB2_4601:                             ;   in Loop: Header=BB2_4602 Depth=3
	s_or_b64 exec, exec, s[48:49]
	s_and_b64 vcc, exec, vcc
	s_or_b64 s[30:31], vcc, s[30:31]
	s_andn2_b64 vcc, s[34:35], exec
	s_and_b64 s[34:35], s[36:37], exec
	s_or_b64 s[34:35], vcc, s[34:35]
	s_andn2_b64 exec, exec, s[30:31]
	s_cbranch_execz .LBB2_4606
.LBB2_4602:                             ;   Parent Loop BB2_47 Depth=1
                                        ;     Parent Loop BB2_4570 Depth=2
                                        ; =>    This Inner Loop Header: Depth=3
	s_add_i32 s44, s44, 1
	s_cmpk_lg_i32 s44, 0x2710
	s_cselect_b64 s[38:39], -1, 0
	s_and_b64 vcc, exec, s[38:39]
	s_cbranch_vccz .LBB2_4604
; %bb.4603:                             ;   in Loop: Header=BB2_4602 Depth=3
	s_mov_b64 vcc, -1
	s_or_b64 s[36:37], s[36:37], exec
	s_and_saveexec_b64 s[48:49], s[38:39]
	s_cbranch_execz .LBB2_4601
	s_branch .LBB2_4605
.LBB2_4604:                             ;   in Loop: Header=BB2_4602 Depth=3
	s_trap 2
	ds_read_b64 v[8:9], v0
	s_andn2_b64 s[38:39], s[38:39], exec
	s_mov_b32 s44, 0
	s_waitcnt lgkmcnt(0)
	flat_load_dword v2, v[8:9] glc
	s_waitcnt vmcnt(0) lgkmcnt(0)
	buffer_wbinvl1_vol
	v_cmp_eq_u32_e32 vcc, 0, v2
	s_and_b64 vcc, vcc, exec
	s_or_b64 s[38:39], s[38:39], vcc
	s_mov_b64 vcc, -1
	s_or_b64 s[36:37], s[36:37], exec
	s_and_saveexec_b64 s[48:49], s[38:39]
	s_cbranch_execz .LBB2_4601
.LBB2_4605:                             ;   in Loop: Header=BB2_4602 Depth=3
	s_sleep 1
	s_trap 2
	ds_read_b64 v[8:9], v0
	s_waitcnt lgkmcnt(0)
	s_andn2_b64 s[36:37], s[36:37], exec
	v_cmp_ge_u64_e32 vcc, v[8:9], v[28:29]
	s_orn2_b64 vcc, vcc, exec
	s_branch .LBB2_4601
.LBB2_4606:                             ;   in Loop: Header=BB2_4570 Depth=2
	s_or_b64 exec, exec, s[30:31]
	s_and_saveexec_b64 s[44:45], s[34:35]
	s_xor_b64 s[44:45], exec, s[44:45]
	s_cbranch_execz .LBB2_4608
; %bb.4607:                             ;   in Loop: Header=BB2_4570 Depth=2
	v_mov_b32_e32 v2, 1
	ds_write_b32 v0, v2
	s_trap 2
.LBB2_4608:                             ;   in Loop: Header=BB2_4570 Depth=2
	s_or_b64 exec, exec, s[94:95]
	;;#ASMSTART
	s_wakeup
	;;#ASMEND
.LBB2_4609:                             ;   in Loop: Header=BB2_4570 Depth=2
	s_or_b64 exec, exec, s[92:93]
.LBB2_4610:                             ;   in Loop: Header=BB2_4570 Depth=2
	s_andn2_saveexec_b64 s[90:91], s[90:91]
	s_cbranch_execz .LBB2_4612
; %bb.4611:                             ;   in Loop: Header=BB2_4570 Depth=2
	s_waitcnt vmcnt(0) lgkmcnt(0)
	buffer_wbinvl1_vol
	s_barrier
.LBB2_4612:                             ;   in Loop: Header=BB2_4570 Depth=2
	s_or_b64 exec, exec, s[90:91]
.LBB2_4613:                             ;   in Loop: Header=BB2_4570 Depth=2
	s_or_b64 exec, exec, s[26:27]
	s_trap 2
	ds_read_b32 v12, v0
	v_and_b32_e32 v2, 0x4000, v20
	v_cmp_ne_u32_e32 vcc, 0, v2
	s_xor_b64 s[26:27], s[6:7], -1
	s_and_b64 s[44:45], s[26:27], vcc
	s_and_saveexec_b64 s[26:27], s[44:45]
	s_cbranch_execz .LBB2_4632
; %bb.4614:                             ;   in Loop: Header=BB2_4570 Depth=2
	s_and_saveexec_b64 s[44:45], s[58:59]
	s_xor_b64 s[90:91], exec, s[44:45]
	s_cbranch_execz .LBB2_4629
; %bb.4615:                             ;   in Loop: Header=BB2_4570 Depth=2
	s_and_saveexec_b64 s[92:93], s[16:17]
	s_cbranch_execz .LBB2_4628
; %bb.4616:                             ;   in Loop: Header=BB2_4570 Depth=2
	s_mov_b64 s[30:31], exec
	v_mbcnt_lo_u32_b32 v2, s30, 0
	v_mbcnt_hi_u32_b32 v2, s31, v2
	v_cmp_eq_u32_e32 vcc, 0, v2
	s_waitcnt vmcnt(0) lgkmcnt(0)
	buffer_wbinvl1_vol
	s_and_saveexec_b64 s[94:95], vcc
	s_cbranch_execz .LBB2_4618
; %bb.4617:                             ;   in Loop: Header=BB2_4570 Depth=2
	s_bcnt1_i32_b64 s44, s[30:31]
	v_mov_b32_e32 v2, s44
	ds_add_u64 v0, v[2:3]
	s_trap 2
.LBB2_4618:                             ;   in Loop: Header=BB2_4570 Depth=2
	s_or_b64 exec, exec, s[94:95]
	s_trap 2
	ds_read_b64 v[8:9], v0
	s_waitcnt lgkmcnt(0)
	v_add_co_u32_e32 v28, vcc, v28, v17
	v_addc_co_u32_e32 v29, vcc, 0, v29, vcc
	v_cmp_lt_u64_e32 vcc, v[8:9], v[28:29]
	s_and_saveexec_b64 s[94:95], vcc
	s_cbranch_execz .LBB2_4627
; %bb.4619:                             ;   in Loop: Header=BB2_4570 Depth=2
	s_mov_b32 s44, 0
	s_mov_b64 s[30:31], 0
                                        ; implicit-def: $sgpr34_sgpr35
                                        ; implicit-def: $sgpr36_sgpr37
	s_branch .LBB2_4621
.LBB2_4620:                             ;   in Loop: Header=BB2_4621 Depth=3
	s_or_b64 exec, exec, s[48:49]
	s_and_b64 vcc, exec, vcc
	s_or_b64 s[30:31], vcc, s[30:31]
	s_andn2_b64 vcc, s[34:35], exec
	s_and_b64 s[34:35], s[36:37], exec
	s_or_b64 s[34:35], vcc, s[34:35]
	s_andn2_b64 exec, exec, s[30:31]
	s_cbranch_execz .LBB2_4625
.LBB2_4621:                             ;   Parent Loop BB2_47 Depth=1
                                        ;     Parent Loop BB2_4570 Depth=2
                                        ; =>    This Inner Loop Header: Depth=3
	s_add_i32 s44, s44, 1
	s_cmpk_lg_i32 s44, 0x2710
	s_cselect_b64 s[38:39], -1, 0
	s_and_b64 vcc, exec, s[38:39]
	s_cbranch_vccz .LBB2_4623
; %bb.4622:                             ;   in Loop: Header=BB2_4621 Depth=3
	s_mov_b64 vcc, -1
	s_or_b64 s[36:37], s[36:37], exec
	s_and_saveexec_b64 s[48:49], s[38:39]
	s_cbranch_execz .LBB2_4620
	s_branch .LBB2_4624
.LBB2_4623:                             ;   in Loop: Header=BB2_4621 Depth=3
	s_trap 2
	ds_read_b64 v[8:9], v0
	s_andn2_b64 s[38:39], s[38:39], exec
	s_mov_b32 s44, 0
	s_waitcnt lgkmcnt(0)
	flat_load_dword v2, v[8:9] glc
	s_waitcnt vmcnt(0) lgkmcnt(0)
	buffer_wbinvl1_vol
	v_cmp_eq_u32_e32 vcc, 0, v2
	s_and_b64 vcc, vcc, exec
	s_or_b64 s[38:39], s[38:39], vcc
	s_mov_b64 vcc, -1
	s_or_b64 s[36:37], s[36:37], exec
	s_and_saveexec_b64 s[48:49], s[38:39]
	s_cbranch_execz .LBB2_4620
.LBB2_4624:                             ;   in Loop: Header=BB2_4621 Depth=3
	s_sleep 1
	s_trap 2
	ds_read_b64 v[8:9], v0
	s_waitcnt lgkmcnt(0)
	s_andn2_b64 s[36:37], s[36:37], exec
	v_cmp_ge_u64_e32 vcc, v[8:9], v[28:29]
	s_orn2_b64 vcc, vcc, exec
	s_branch .LBB2_4620
.LBB2_4625:                             ;   in Loop: Header=BB2_4570 Depth=2
	s_or_b64 exec, exec, s[30:31]
	s_and_saveexec_b64 s[44:45], s[34:35]
	s_xor_b64 s[44:45], exec, s[44:45]
	s_cbranch_execz .LBB2_4627
; %bb.4626:                             ;   in Loop: Header=BB2_4570 Depth=2
	v_mov_b32_e32 v2, 1
	ds_write_b32 v0, v2
	s_trap 2
.LBB2_4627:                             ;   in Loop: Header=BB2_4570 Depth=2
	s_or_b64 exec, exec, s[94:95]
	;;#ASMSTART
	s_wakeup
	;;#ASMEND
.LBB2_4628:                             ;   in Loop: Header=BB2_4570 Depth=2
	s_or_b64 exec, exec, s[92:93]
.LBB2_4629:                             ;   in Loop: Header=BB2_4570 Depth=2
	s_andn2_saveexec_b64 s[90:91], s[90:91]
	s_cbranch_execz .LBB2_4631
; %bb.4630:                             ;   in Loop: Header=BB2_4570 Depth=2
	s_waitcnt vmcnt(0) lgkmcnt(0)
	buffer_wbinvl1_vol
	s_barrier
.LBB2_4631:                             ;   in Loop: Header=BB2_4570 Depth=2
	s_or_b64 exec, exec, s[90:91]
.LBB2_4632:                             ;   in Loop: Header=BB2_4570 Depth=2
	s_or_b64 exec, exec, s[26:27]
	s_trap 2
	ds_read_b64 v[8:9], v0
	v_sub_u32_e32 v2, v4, v7
	v_min_i32_e32 v6, v6, v2
	s_waitcnt lgkmcnt(0)
	v_cmp_eq_u64_e32 vcc, 0, v[8:9]
	s_cbranch_vccnz .LBB2_4640
; %bb.4633:                             ;   in Loop: Header=BB2_4570 Depth=2
	s_trap 2
	ds_read_b64 v[10:11], v0
	s_waitcnt lgkmcnt(0)
	v_cmp_eq_u64_e32 vcc, 0, v[10:11]
	s_cbranch_vccnz .LBB2_4640
; %bb.4634:                             ;   in Loop: Header=BB2_4570 Depth=2
	s_mov_b64 s[26:27], -1
	s_and_saveexec_b64 s[90:91], s[20:21]
	s_cbranch_execz .LBB2_4636
; %bb.4635:                             ;   in Loop: Header=BB2_4570 Depth=2
	ds_read_b32 v2, v0 offset:720
	s_waitcnt lgkmcnt(0)
	v_and_b32_e32 v2, 15, v2
	v_cmp_eq_u32_e32 vcc, 0, v2
	s_orn2_b64 s[26:27], vcc, exec
.LBB2_4636:                             ;   in Loop: Header=BB2_4570 Depth=2
	s_or_b64 exec, exec, s[90:91]
	s_and_saveexec_b64 s[90:91], s[18:19]
	s_cbranch_execz .LBB2_4638
; %bb.4637:                             ;   in Loop: Header=BB2_4570 Depth=2
	ds_read_b32 v2, v0 offset:784
	s_waitcnt lgkmcnt(0)
	v_and_b32_e32 v2, 15, v2
	v_cmp_eq_u32_e32 vcc, 0, v2
	s_and_b64 s[44:45], s[26:27], vcc
	s_andn2_b64 s[26:27], s[26:27], exec
	s_and_b64 s[44:45], s[44:45], exec
	s_or_b64 s[26:27], s[26:27], s[44:45]
.LBB2_4638:                             ;   in Loop: Header=BB2_4570 Depth=2
	s_or_b64 exec, exec, s[90:91]
	buffer_load_dword v19, off, s[0:3], s33 offset:108 ; 4-byte Folded Reload
	v_cmp_eq_u32_e32 vcc, 0, v12
	s_xor_b64 s[26:27], s[26:27], -1
	v_cndmask_b32_e32 v2, 0, v6, vcc
	v_cndmask_b32_e64 v12, 0, 1, s[26:27]
	s_mov_b64 s[92:93], -1
	v_cmp_ne_u32_e32 vcc, 0, v12
	v_mov_b32_e32 v12, 0
	v_mov_b32_e32 v13, v2
	;; [unrolled: 1-line block ×3, first 2 shown]
	s_cbranch_vccz .LBB2_4645
; %bb.4639:                             ;   in Loop: Header=BB2_4570 Depth=2
	s_and_saveexec_b64 s[26:27], s[92:93]
	s_cbranch_execnz .LBB2_4658
	s_branch .LBB2_4666
.LBB2_4640:                             ;   in Loop: Header=BB2_4570 Depth=2
	s_mov_b64 s[26:27], 0
	s_and_saveexec_b64 s[90:91], s[10:11]
	s_cbranch_execnz .LBB2_4667
.LBB2_4641:                             ;   in Loop: Header=BB2_4570 Depth=2
	s_or_b64 exec, exec, s[90:91]
	s_and_saveexec_b64 s[44:45], s[24:25]
	s_xor_b64 s[90:91], exec, s[44:45]
	s_cbranch_execz .LBB2_4685
.LBB2_4642:                             ;   in Loop: Header=BB2_4570 Depth=2
	v_and_b32_e32 v2, 16, v20
	v_cmp_ne_u32_e32 vcc, 0, v2
	s_and_b64 s[44:45], vcc, s[26:27]
	s_and_saveexec_b64 s[26:27], s[44:45]
	s_cbranch_execz .LBB2_4644
; %bb.4643:                             ;   in Loop: Header=BB2_4570 Depth=2
	s_waitcnt vmcnt(0) lgkmcnt(0)
	buffer_wbinvl1_vol
.LBB2_4644:                             ;   in Loop: Header=BB2_4570 Depth=2
	s_or_b64 exec, exec, s[26:27]
	s_andn2_saveexec_b64 s[26:27], s[90:91]
	s_cbranch_execz .LBB2_4704
	s_branch .LBB2_4686
.LBB2_4645:                             ;   in Loop: Header=BB2_4570 Depth=2
	v_ashrrev_i32_e32 v12, 31, v2
	v_lshrrev_b32_e32 v12, 21, v12
	v_add_u32_e32 v12, v2, v12
	v_ashrrev_i32_e32 v16, 11, v12
	buffer_load_dword v12, off, s[0:3], s33 offset:108 ; 4-byte Folded Reload
	s_waitcnt vmcnt(0)
	v_sub_u32_e32 v21, v16, v12
	v_cmp_lt_i32_e32 vcc, 0, v21
	s_and_saveexec_b64 s[26:27], vcc
	s_cbranch_execz .LBB2_4649
; %bb.4646:                             ;   in Loop: Header=BB2_4570 Depth=2
	buffer_load_dword v12, off, s[0:3], s33 offset:208 ; 4-byte Folded Reload
	buffer_load_dword v13, off, s[0:3], s33 offset:212 ; 4-byte Folded Reload
	s_mov_b64 s[90:91], 0
	v_lshlrev_b32_e32 v30, 11, v17
.LBB2_4647:                             ;   Parent Loop BB2_47 Depth=1
                                        ;     Parent Loop BB2_4570 Depth=2
                                        ; =>    This Inner Loop Header: Depth=3
	s_waitcnt vmcnt(1)
	v_add_co_u32_e32 v18, vcc, v8, v12
	s_waitcnt vmcnt(0)
	v_addc_co_u32_e32 v19, vcc, v9, v13, vcc
	global_load_dwordx4 v[24:27], v[18:19], off glc slc
	global_load_dwordx4 v[52:55], v[18:19], off offset:1024 glc slc
	v_add_co_u32_e32 v18, vcc, v10, v12
	v_addc_co_u32_e32 v19, vcc, v11, v13, vcc
	v_add_co_u32_e32 v12, vcc, v12, v30
	v_sub_u32_e32 v21, v21, v17
	v_addc_co_u32_e32 v13, vcc, 0, v13, vcc
	v_cmp_gt_i32_e32 vcc, 1, v21
	s_or_b64 s[90:91], vcc, s[90:91]
	s_waitcnt vmcnt(1)
	global_store_dwordx4 v[18:19], v[24:27], off glc slc
	s_waitcnt vmcnt(1)
	global_store_dwordx4 v[18:19], v[52:55], off offset:1024 glc slc
	s_andn2_b64 exec, exec, s[90:91]
	s_cbranch_execnz .LBB2_4647
; %bb.4648:                             ;   in Loop: Header=BB2_4570 Depth=2
	s_or_b64 exec, exec, s[90:91]
	buffer_load_dword v24, off, s[0:3], s33 offset:112 ; 4-byte Folded Reload
	buffer_load_dword v25, off, s[0:3], s33 offset:116 ; 4-byte Folded Reload
	buffer_load_dword v26, off, s[0:3], s33 offset:120 ; 4-byte Folded Reload
	buffer_load_dword v27, off, s[0:3], s33 offset:124 ; 4-byte Folded Reload
	buffer_load_dword v54, off, s[0:3], s33 offset:56 ; 4-byte Folded Reload
.LBB2_4649:                             ;   in Loop: Header=BB2_4570 Depth=2
	s_or_b64 exec, exec, s[26:27]
	v_lshlrev_b32_e32 v18, 11, v16
	v_cmp_ne_u32_e32 vcc, v2, v18
	s_mov_b64 s[92:93], 0
	v_mov_b32_e32 v12, 0
                                        ; implicit-def: $vgpr13
                                        ; implicit-def: $vgpr16
                                        ; implicit-def: $vgpr19
	s_and_saveexec_b64 s[90:91], vcc
	s_cbranch_execz .LBB2_4657
; %bb.4650:                             ;   in Loop: Header=BB2_4570 Depth=2
	buffer_load_dword v13, off, s[0:3], s33 offset:152 ; 4-byte Folded Reload
	v_lshlrev_b32_e32 v12, 6, v21
	v_sub_u32_e32 v16, v2, v18
	s_waitcnt vmcnt(5)
	v_ashrrev_i32_e32 v24, 31, v16
	v_lshrrev_b32_e32 v24, 22, v24
	v_add_u32_e32 v24, v16, v24
	s_waitcnt vmcnt(4)
	v_ashrrev_i32_e32 v25, 10, v24
	v_and_b32_e32 v24, 0xfffffc00, v24
	s_waitcnt vmcnt(3)
	v_sub_u32_e32 v26, v16, v24
	v_cmp_lt_i32_e32 vcc, 15, v26
	s_waitcnt vmcnt(0)
	v_sub_u32_e32 v12, v13, v12
	v_ashrrev_i32_e32 v13, 31, v12
	v_lshrrev_b32_e32 v13, 26, v13
	v_add_u32_e32 v13, v12, v13
	v_ashrrev_i32_e32 v19, 6, v13
	v_and_b32_e32 v13, 0xffffffc0, v13
	v_sub_u32_e32 v21, v12, v13
	v_lshlrev_b32_e32 v12, 4, v21
	v_lshl_add_u32 v13, v19, 10, v12
	v_sub_u32_e32 v12, v16, v13
	v_addc_co_u32_e64 v16, s[26:27], 0, v25, vcc
	v_sub_u32_e32 v25, v16, v19
	v_cmp_lt_i32_e64 s[26:27], 15, v12
	s_and_saveexec_b64 s[92:93], s[26:27]
	s_cbranch_execz .LBB2_4654
; %bb.4651:                             ;   in Loop: Header=BB2_4570 Depth=2
	v_add_u32_e32 v13, v13, v18
	v_ashrrev_i32_e32 v16, 31, v13
	s_mov_b64 s[94:95], 0
.LBB2_4652:                             ;   Parent Loop BB2_47 Depth=1
                                        ;     Parent Loop BB2_4570 Depth=2
                                        ; =>    This Inner Loop Header: Depth=3
	v_add_co_u32_e64 v30, s[26:27], v8, v13
	v_addc_co_u32_e64 v31, s[26:27], v9, v16, s[26:27]
	global_load_dwordx4 v[52:55], v[30:31], off glc slc
	v_add_co_u32_e64 v30, s[26:27], v10, v13
	v_addc_co_u32_e64 v31, s[26:27], v11, v16, s[26:27]
	v_add_co_u32_e64 v13, s[26:27], v13, v38
	v_sub_u32_e32 v12, v12, v38
	v_addc_co_u32_e64 v16, s[26:27], 0, v16, s[26:27]
	v_cmp_gt_i32_e64 s[26:27], 16, v12
	v_sub_u32_e32 v25, v25, v17
	s_or_b64 s[94:95], s[26:27], s[94:95]
	s_waitcnt vmcnt(0)
	global_store_dwordx4 v[30:31], v[52:55], off glc slc
	s_andn2_b64 exec, exec, s[94:95]
	s_cbranch_execnz .LBB2_4652
; %bb.4653:                             ;   in Loop: Header=BB2_4570 Depth=2
	s_or_b64 exec, exec, s[94:95]
	buffer_load_dword v54, off, s[0:3], s33 offset:56 ; 4-byte Folded Reload
.LBB2_4654:                             ;   in Loop: Header=BB2_4570 Depth=2
	s_or_b64 exec, exec, s[92:93]
	v_and_b32_e32 v27, 15, v2
	v_cndmask_b32_e32 v13, v26, v27, vcc
	v_mov_b32_e32 v12, 0
	v_cmp_ne_u32_e64 s[26:27], 0, v13
	s_mov_b64 s[94:95], 0
                                        ; implicit-def: $vgpr16
                                        ; implicit-def: $vgpr19
	s_and_saveexec_b64 s[92:93], s[26:27]
	s_cbranch_execz .LBB2_4656
; %bb.4655:                             ;   in Loop: Header=BB2_4570 Depth=2
	v_sub_u32_e32 v12, v26, v27
	v_cndmask_b32_e32 v12, 0, v12, vcc
	v_cmp_lt_i32_e32 vcc, 0, v25
	v_cndmask_b32_e32 v16, 0, v17, vcc
	v_sub_u32_e32 v16, v16, v25
	v_lshl_add_u32 v16, v16, 6, v21
	v_add3_u32 v12, v24, v18, v12
	v_ashrrev_i32_e32 v18, 31, v16
	v_lshrrev_b32_e32 v18, 26, v18
	v_add_u32_e32 v18, v16, v18
	v_ashrrev_i32_e32 v19, 6, v18
	s_mov_b64 s[94:95], exec
.LBB2_4656:                             ;   in Loop: Header=BB2_4570 Depth=2
	s_or_b64 exec, exec, s[92:93]
	buffer_load_dword v24, off, s[0:3], s33 offset:112 ; 4-byte Folded Reload
	buffer_load_dword v25, off, s[0:3], s33 offset:116 ; 4-byte Folded Reload
	;; [unrolled: 1-line block ×4, first 2 shown]
	s_and_b64 s[92:93], s[94:95], exec
.LBB2_4657:                             ;   in Loop: Header=BB2_4570 Depth=2
	s_or_b64 exec, exec, s[90:91]
	s_and_saveexec_b64 s[26:27], s[92:93]
	s_cbranch_execz .LBB2_4666
.LBB2_4658:                             ;   in Loop: Header=BB2_4570 Depth=2
	v_ashrrev_i32_e32 v18, 31, v13
	v_lshrrev_b32_e32 v18, 23, v18
	v_add_u32_e32 v18, v13, v18
	s_waitcnt vmcnt(0)
	v_ashrrev_i32_e32 v24, 9, v18
	s_waitcnt vmcnt(0)
	v_sub_u32_e32 v18, v24, v19
	v_ashrrev_i32_e32 v21, 31, v16
	v_cmp_lt_i32_e32 vcc, 0, v18
	v_lshrrev_b32_e32 v21, 26, v21
	s_and_saveexec_b64 s[90:91], vcc
	s_cbranch_execz .LBB2_4662
; %bb.4659:                             ;   in Loop: Header=BB2_4570 Depth=2
	v_add_u32_e32 v25, v16, v21
	v_and_b32_e32 v25, 0xffffffc0, v25
	v_sub_u32_e32 v25, v16, v25
	v_lshlrev_b32_e32 v19, 9, v19
	v_add3_u32 v19, v12, v25, v19
	v_ashrrev_i32_e32 v25, 31, v19
	s_mov_b64 s[92:93], 0
.LBB2_4660:                             ;   Parent Loop BB2_47 Depth=1
                                        ;     Parent Loop BB2_4570 Depth=2
                                        ; =>    This Inner Loop Header: Depth=3
	v_add_co_u32_e32 v26, vcc, v19, v8
	v_addc_co_u32_e32 v27, vcc, v25, v9, vcc
	flat_load_ubyte v30, v[26:27] glc slc
	flat_load_ubyte v31, v[26:27] offset:64 glc slc
	flat_load_ubyte v34, v[26:27] offset:128 glc slc
	;; [unrolled: 1-line block ×7, first 2 shown]
	v_add_co_u32_e32 v26, vcc, v19, v10
	v_addc_co_u32_e32 v27, vcc, v25, v11, vcc
	v_add_co_u32_e32 v8, vcc, v8, v39
	v_addc_co_u32_e32 v9, vcc, 0, v9, vcc
	v_add_co_u32_e32 v10, vcc, v10, v39
	v_sub_u32_e32 v18, v18, v17
	v_addc_co_u32_e32 v11, vcc, 0, v11, vcc
	v_cmp_gt_i32_e32 vcc, 1, v18
	s_or_b64 s[92:93], vcc, s[92:93]
	s_waitcnt vmcnt(0) lgkmcnt(0)
	flat_store_byte v[26:27], v30 glc slc
	flat_store_byte v[26:27], v31 offset:64 glc slc
	flat_store_byte v[26:27], v34 offset:128 glc slc
	flat_store_byte v[26:27], v36 offset:192 glc slc
	flat_store_byte v[26:27], v37 offset:256 glc slc
	flat_store_byte v[26:27], v48 offset:320 glc slc
	flat_store_byte v[26:27], v52 offset:384 glc slc
	flat_store_byte v[26:27], v53 offset:448 glc slc
	s_andn2_b64 exec, exec, s[92:93]
	s_cbranch_execnz .LBB2_4660
; %bb.4661:                             ;   in Loop: Header=BB2_4570 Depth=2
	s_or_b64 exec, exec, s[92:93]
.LBB2_4662:                             ;   in Loop: Header=BB2_4570 Depth=2
	s_or_b64 exec, exec, s[90:91]
	v_lshlrev_b32_e32 v8, 9, v24
	buffer_load_dword v24, off, s[0:3], s33 offset:112 ; 4-byte Folded Reload
	buffer_load_dword v25, off, s[0:3], s33 offset:116 ; 4-byte Folded Reload
	;; [unrolled: 1-line block ×4, first 2 shown]
	v_cmp_ne_u32_e32 vcc, v13, v8
	s_and_b64 s[44:45], exec, vcc
	s_mov_b64 exec, s[44:45]
	s_cbranch_execz .LBB2_4666
; %bb.4663:                             ;   in Loop: Header=BB2_4570 Depth=2
	v_add_u32_e32 v9, v16, v21
	v_and_b32_e32 v9, 0xffffffc0, v9
	v_sub_u32_e32 v9, v16, v9
	v_lshlrev_b32_e32 v10, 6, v18
	v_sub_u32_e32 v9, v9, v10
	v_add_u32_e32 v8, v8, v9
	v_sub_u32_e32 v10, v13, v8
	v_cmp_lt_i32_e32 vcc, 0, v10
	s_and_b64 exec, exec, vcc
	s_cbranch_execz .LBB2_4666
; %bb.4664:                             ;   in Loop: Header=BB2_4570 Depth=2
	v_add_u32_e32 v11, v8, v12
	s_trap 2
	ds_read_b64 v[8:9], v0
	v_ashrrev_i32_e32 v12, 31, v11
	s_mov_b64 s[90:91], 0
.LBB2_4665:                             ;   Parent Loop BB2_47 Depth=1
                                        ;     Parent Loop BB2_4570 Depth=2
                                        ; =>    This Inner Loop Header: Depth=3
	s_waitcnt lgkmcnt(0)
	v_add_co_u32_e32 v18, vcc, v8, v11
	v_addc_co_u32_e32 v19, vcc, v9, v12, vcc
	flat_load_ubyte v13, v[18:19] glc slc
	v_add_co_u32_e32 v11, vcc, v11, v54
	v_sub_u32_e32 v10, v10, v54
	v_addc_co_u32_e32 v12, vcc, 0, v12, vcc
	v_cmp_gt_i32_e32 vcc, 1, v10
	s_or_b64 s[90:91], vcc, s[90:91]
	s_waitcnt vmcnt(0) lgkmcnt(0)
	flat_store_byte v[18:19], v13 glc slc
	s_andn2_b64 exec, exec, s[90:91]
	s_cbranch_execnz .LBB2_4665
.LBB2_4666:                             ;   in Loop: Header=BB2_4570 Depth=2
	s_or_b64 exec, exec, s[26:27]
	v_cmp_lt_i32_e64 s[26:27], 0, v2
	s_and_saveexec_b64 s[90:91], s[10:11]
	s_cbranch_execz .LBB2_4641
.LBB2_4667:                             ;   in Loop: Header=BB2_4570 Depth=2
	s_and_saveexec_b64 s[44:45], s[58:59]
	s_xor_b64 s[92:93], exec, s[44:45]
	s_cbranch_execz .LBB2_4682
; %bb.4668:                             ;   in Loop: Header=BB2_4570 Depth=2
	s_and_saveexec_b64 s[94:95], s[16:17]
	s_cbranch_execz .LBB2_4681
; %bb.4669:                             ;   in Loop: Header=BB2_4570 Depth=2
	s_mov_b64 s[34:35], exec
	v_mbcnt_lo_u32_b32 v2, s34, 0
	v_mbcnt_hi_u32_b32 v2, s35, v2
	v_cmp_eq_u32_e32 vcc, 0, v2
	s_waitcnt vmcnt(0) lgkmcnt(0)
	buffer_wbinvl1_vol
	s_and_saveexec_b64 s[30:31], vcc
	s_cbranch_execz .LBB2_4671
; %bb.4670:                             ;   in Loop: Header=BB2_4570 Depth=2
	s_bcnt1_i32_b64 s44, s[34:35]
	v_mov_b32_e32 v2, s44
	ds_add_u64 v0, v[2:3]
	s_trap 2
.LBB2_4671:                             ;   in Loop: Header=BB2_4570 Depth=2
	s_or_b64 exec, exec, s[30:31]
	s_trap 2
	ds_read_b64 v[8:9], v0
	s_waitcnt lgkmcnt(0)
	v_add_co_u32_e32 v28, vcc, v28, v17
	v_addc_co_u32_e32 v29, vcc, 0, v29, vcc
	v_cmp_lt_u64_e32 vcc, v[8:9], v[28:29]
	s_and_saveexec_b64 s[30:31], vcc
	s_cbranch_execz .LBB2_4680
; %bb.4672:                             ;   in Loop: Header=BB2_4570 Depth=2
	s_mov_b32 s44, 0
	s_mov_b64 s[34:35], 0
                                        ; implicit-def: $sgpr36_sgpr37
                                        ; implicit-def: $sgpr38_sgpr39
	s_branch .LBB2_4674
.LBB2_4673:                             ;   in Loop: Header=BB2_4674 Depth=3
	s_or_b64 exec, exec, s[50:51]
	s_and_b64 vcc, exec, vcc
	s_or_b64 s[34:35], vcc, s[34:35]
	s_andn2_b64 vcc, s[36:37], exec
	s_and_b64 s[36:37], s[38:39], exec
	s_or_b64 s[36:37], vcc, s[36:37]
	s_andn2_b64 exec, exec, s[34:35]
	s_cbranch_execz .LBB2_4678
.LBB2_4674:                             ;   Parent Loop BB2_47 Depth=1
                                        ;     Parent Loop BB2_4570 Depth=2
                                        ; =>    This Inner Loop Header: Depth=3
	s_add_i32 s44, s44, 1
	s_cmpk_lg_i32 s44, 0x2710
	s_cselect_b64 s[48:49], -1, 0
	s_and_b64 vcc, exec, s[48:49]
	s_cbranch_vccz .LBB2_4676
; %bb.4675:                             ;   in Loop: Header=BB2_4674 Depth=3
	s_mov_b64 vcc, -1
	s_or_b64 s[38:39], s[38:39], exec
	s_and_saveexec_b64 s[50:51], s[48:49]
	s_cbranch_execz .LBB2_4673
	s_branch .LBB2_4677
.LBB2_4676:                             ;   in Loop: Header=BB2_4674 Depth=3
	s_trap 2
	ds_read_b64 v[8:9], v0
	s_andn2_b64 s[48:49], s[48:49], exec
	s_mov_b32 s44, 0
	s_waitcnt lgkmcnt(0)
	flat_load_dword v2, v[8:9] glc
	s_waitcnt vmcnt(0) lgkmcnt(0)
	buffer_wbinvl1_vol
	v_cmp_eq_u32_e32 vcc, 0, v2
	s_and_b64 vcc, vcc, exec
	s_or_b64 s[48:49], s[48:49], vcc
	s_mov_b64 vcc, -1
	s_or_b64 s[38:39], s[38:39], exec
	s_and_saveexec_b64 s[50:51], s[48:49]
	s_cbranch_execz .LBB2_4673
.LBB2_4677:                             ;   in Loop: Header=BB2_4674 Depth=3
	s_sleep 1
	s_trap 2
	ds_read_b64 v[8:9], v0
	s_waitcnt lgkmcnt(0)
	s_andn2_b64 s[38:39], s[38:39], exec
	v_cmp_ge_u64_e32 vcc, v[8:9], v[28:29]
	s_orn2_b64 vcc, vcc, exec
	s_branch .LBB2_4673
.LBB2_4678:                             ;   in Loop: Header=BB2_4570 Depth=2
	s_or_b64 exec, exec, s[34:35]
	s_and_saveexec_b64 s[44:45], s[36:37]
	s_xor_b64 s[44:45], exec, s[44:45]
	s_cbranch_execz .LBB2_4680
; %bb.4679:                             ;   in Loop: Header=BB2_4570 Depth=2
	v_mov_b32_e32 v2, 1
	ds_write_b32 v0, v2
	s_trap 2
.LBB2_4680:                             ;   in Loop: Header=BB2_4570 Depth=2
	s_or_b64 exec, exec, s[30:31]
	;;#ASMSTART
	s_wakeup
	;;#ASMEND
.LBB2_4681:                             ;   in Loop: Header=BB2_4570 Depth=2
	s_or_b64 exec, exec, s[94:95]
.LBB2_4682:                             ;   in Loop: Header=BB2_4570 Depth=2
	s_andn2_saveexec_b64 s[92:93], s[92:93]
	s_cbranch_execz .LBB2_4684
; %bb.4683:                             ;   in Loop: Header=BB2_4570 Depth=2
	s_waitcnt vmcnt(0) lgkmcnt(0)
	buffer_wbinvl1_vol
	s_barrier
.LBB2_4684:                             ;   in Loop: Header=BB2_4570 Depth=2
	s_or_b64 exec, exec, s[92:93]
	s_or_b64 exec, exec, s[90:91]
	s_and_saveexec_b64 s[44:45], s[24:25]
	s_xor_b64 s[90:91], exec, s[44:45]
	s_cbranch_execnz .LBB2_4642
.LBB2_4685:                             ;   in Loop: Header=BB2_4570 Depth=2
	s_andn2_saveexec_b64 s[26:27], s[90:91]
	s_cbranch_execz .LBB2_4704
.LBB2_4686:                             ;   in Loop: Header=BB2_4570 Depth=2
	s_and_saveexec_b64 s[44:45], s[58:59]
	s_xor_b64 s[90:91], exec, s[44:45]
	s_cbranch_execz .LBB2_4701
; %bb.4687:                             ;   in Loop: Header=BB2_4570 Depth=2
	s_and_saveexec_b64 s[92:93], s[16:17]
	s_cbranch_execz .LBB2_4700
; %bb.4688:                             ;   in Loop: Header=BB2_4570 Depth=2
	s_mov_b64 s[30:31], exec
	v_mbcnt_lo_u32_b32 v2, s30, 0
	v_mbcnt_hi_u32_b32 v2, s31, v2
	v_cmp_eq_u32_e32 vcc, 0, v2
	;;#ASMSTART
	s_waitcnt lgkmcnt(0) vmcnt(0)
	;;#ASMEND
	s_and_saveexec_b64 s[94:95], vcc
	s_cbranch_execz .LBB2_4690
; %bb.4689:                             ;   in Loop: Header=BB2_4570 Depth=2
	s_bcnt1_i32_b64 s44, s[30:31]
	v_mov_b32_e32 v2, s44
	s_waitcnt lgkmcnt(0)
	ds_add_u64 v0, v[2:3]
	s_trap 2
.LBB2_4690:                             ;   in Loop: Header=BB2_4570 Depth=2
	s_or_b64 exec, exec, s[94:95]
	s_trap 2
	ds_read_b64 v[8:9], v0
	s_waitcnt lgkmcnt(0)
	v_add_co_u32_e32 v28, vcc, v28, v17
	v_addc_co_u32_e32 v29, vcc, 0, v29, vcc
	v_cmp_lt_u64_e32 vcc, v[8:9], v[28:29]
	s_and_saveexec_b64 s[94:95], vcc
	s_cbranch_execz .LBB2_4699
; %bb.4691:                             ;   in Loop: Header=BB2_4570 Depth=2
	s_mov_b32 s44, 0
	s_mov_b64 s[30:31], 0
                                        ; implicit-def: $sgpr34_sgpr35
                                        ; implicit-def: $sgpr36_sgpr37
	s_branch .LBB2_4693
.LBB2_4692:                             ;   in Loop: Header=BB2_4693 Depth=3
	s_or_b64 exec, exec, s[48:49]
	s_and_b64 vcc, exec, vcc
	s_or_b64 s[30:31], vcc, s[30:31]
	s_andn2_b64 vcc, s[34:35], exec
	s_and_b64 s[34:35], s[36:37], exec
	s_or_b64 s[34:35], vcc, s[34:35]
	s_andn2_b64 exec, exec, s[30:31]
	s_cbranch_execz .LBB2_4697
.LBB2_4693:                             ;   Parent Loop BB2_47 Depth=1
                                        ;     Parent Loop BB2_4570 Depth=2
                                        ; =>    This Inner Loop Header: Depth=3
	s_add_i32 s44, s44, 1
	s_cmpk_lg_i32 s44, 0x2710
	s_cselect_b64 s[38:39], -1, 0
	s_and_b64 vcc, exec, s[38:39]
	s_cbranch_vccz .LBB2_4695
; %bb.4694:                             ;   in Loop: Header=BB2_4693 Depth=3
	s_mov_b64 vcc, -1
	s_or_b64 s[36:37], s[36:37], exec
	s_and_saveexec_b64 s[48:49], s[38:39]
	s_cbranch_execz .LBB2_4692
	s_branch .LBB2_4696
.LBB2_4695:                             ;   in Loop: Header=BB2_4693 Depth=3
	s_trap 2
	ds_read_b64 v[8:9], v0
	s_andn2_b64 s[38:39], s[38:39], exec
	s_mov_b32 s44, 0
	s_waitcnt vmcnt(0) lgkmcnt(0)
	flat_load_dword v2, v[8:9] glc
	s_waitcnt vmcnt(0) lgkmcnt(0)
	buffer_wbinvl1_vol
	v_cmp_eq_u32_e32 vcc, 0, v2
	s_and_b64 vcc, vcc, exec
	s_or_b64 s[38:39], s[38:39], vcc
	s_mov_b64 vcc, -1
	s_or_b64 s[36:37], s[36:37], exec
	s_and_saveexec_b64 s[48:49], s[38:39]
	s_cbranch_execz .LBB2_4692
.LBB2_4696:                             ;   in Loop: Header=BB2_4693 Depth=3
	s_sleep 1
	s_trap 2
	ds_read_b64 v[8:9], v0
	s_waitcnt lgkmcnt(0)
	s_andn2_b64 s[36:37], s[36:37], exec
	v_cmp_ge_u64_e32 vcc, v[8:9], v[28:29]
	s_orn2_b64 vcc, vcc, exec
	s_branch .LBB2_4692
.LBB2_4697:                             ;   in Loop: Header=BB2_4570 Depth=2
	s_or_b64 exec, exec, s[30:31]
	s_and_saveexec_b64 s[44:45], s[34:35]
	s_xor_b64 s[44:45], exec, s[44:45]
	s_cbranch_execz .LBB2_4699
; %bb.4698:                             ;   in Loop: Header=BB2_4570 Depth=2
	v_mov_b32_e32 v2, 1
	ds_write_b32 v0, v2
	s_trap 2
.LBB2_4699:                             ;   in Loop: Header=BB2_4570 Depth=2
	s_or_b64 exec, exec, s[94:95]
	;;#ASMSTART
	s_wakeup
	;;#ASMEND
.LBB2_4700:                             ;   in Loop: Header=BB2_4570 Depth=2
	s_or_b64 exec, exec, s[92:93]
.LBB2_4701:                             ;   in Loop: Header=BB2_4570 Depth=2
	s_andn2_saveexec_b64 s[90:91], s[90:91]
	s_cbranch_execz .LBB2_4703
; %bb.4702:                             ;   in Loop: Header=BB2_4570 Depth=2
	;;#ASMSTART
	s_waitcnt lgkmcnt(0) vmcnt(0)
	;;#ASMEND
	s_waitcnt vmcnt(0) lgkmcnt(0)
	s_barrier
.LBB2_4703:                             ;   in Loop: Header=BB2_4570 Depth=2
	s_or_b64 exec, exec, s[90:91]
.LBB2_4704:                             ;   in Loop: Header=BB2_4570 Depth=2
	s_or_b64 exec, exec, s[26:27]
	v_and_b32_e32 v2, 32, v20
	v_cmp_ne_u32_e32 vcc, 0, v2
	s_and_saveexec_b64 s[26:27], vcc
	s_cbranch_execz .LBB2_4569
; %bb.4705:                             ;   in Loop: Header=BB2_4570 Depth=2
	v_add_co_u32_e32 v50, vcc, 2, v50
	v_addc_co_u32_e32 v51, vcc, 0, v51, vcc
	flat_store_dwordx2 v[22:23], v[50:51]
	s_branch .LBB2_4569
.LBB2_4706:                             ;   in Loop: Header=BB2_47 Depth=1
	s_or_b64 exec, exec, s[40:41]
.LBB2_4707:                             ;   in Loop: Header=BB2_47 Depth=1
	s_or_b64 exec, exec, s[28:29]
	v_cmp_gt_i32_e32 vcc, 2, v2
	s_and_saveexec_b64 s[28:29], vcc
	s_cbranch_execnz .LBB2_4708
; %bb.4820:                             ;   in Loop: Header=BB2_47 Depth=1
	s_getpc_b64 s[98:99]
.Lpost_getpc3:
	s_add_u32 s98, s98, (.LBB2_46-.Lpost_getpc3)&4294967295
	s_addc_u32 s99, s99, (.LBB2_46-.Lpost_getpc3)>>32
	s_setpc_b64 s[98:99]
.LBB2_4708:                             ;   in Loop: Header=BB2_47 Depth=1
	v_cmp_eq_u32_e64 s[42:43], 0, v2
	s_mov_b64 s[40:41], 0
	s_branch .LBB2_4710
.LBB2_4709:                             ;   in Loop: Header=BB2_4710 Depth=2
	s_or_b64 exec, exec, s[26:27]
	v_add_u32_e32 v7, v6, v7
	s_mov_b64 s[42:43], 0
	s_andn2_b64 exec, exec, s[40:41]
	s_cbranch_execnz .LBB2_4710
; %bb.4822:                             ;   in Loop: Header=BB2_47 Depth=1
	s_getpc_b64 s[98:99]
.Lpost_getpc4:
	s_add_u32 s98, s98, (.LBB2_45-.Lpost_getpc4)&4294967295
	s_addc_u32 s99, s99, (.LBB2_45-.Lpost_getpc4)>>32
	s_setpc_b64 s[98:99]
.LBB2_4710:                             ;   Parent Loop BB2_47 Depth=1
                                        ; =>  This Loop Header: Depth=2
                                        ;       Child Loop BB2_4716 Depth 3
                                        ;       Child Loop BB2_4740 Depth 3
	;; [unrolled: 1-line block ×3, first 2 shown]
	v_and_b32_e32 v2, 4, v20
	v_cmp_ne_u32_e32 vcc, 0, v2
	s_and_saveexec_b64 s[90:91], vcc
	s_cbranch_execz .LBB2_4732
; %bb.4711:                             ;   in Loop: Header=BB2_4710 Depth=2
	v_add_co_u32_e32 v8, vcc, 2, v50
	v_addc_co_u32_e32 v9, vcc, 0, v51, vcc
	s_waitcnt lgkmcnt(0)
	v_cmp_lt_u64_e32 vcc, v[32:33], v[8:9]
	s_and_saveexec_b64 s[92:93], vcc
	s_cbranch_execz .LBB2_4723
; %bb.4712:                             ;   in Loop: Header=BB2_4710 Depth=2
	v_and_b32_e32 v2, 64, v20
	s_mov_b32 s44, 0
	v_cmp_eq_u32_e32 vcc, 0, v2
	s_mov_b64 s[94:95], 0
                                        ; implicit-def: $sgpr30_sgpr31
                                        ; implicit-def: $sgpr34_sgpr35
                                        ; implicit-def: $sgpr36_sgpr37
	s_branch .LBB2_4716
.LBB2_4713:                             ;   in Loop: Header=BB2_4716 Depth=3
	s_waitcnt vmcnt(0) lgkmcnt(0)
	v_cmp_ge_u64_e64 s[26:27], v[32:33], v[8:9]
	s_or_b64 s[50:51], s[50:51], exec
	s_orn2_b64 s[48:49], s[26:27], exec
.LBB2_4714:                             ;   in Loop: Header=BB2_4716 Depth=3
	s_or_b64 exec, exec, s[54:55]
	s_andn2_b64 s[26:27], s[36:37], exec
	s_and_b64 s[46:47], s[50:51], exec
	s_or_b64 s[36:37], s[26:27], s[46:47]
	s_andn2_b64 s[26:27], s[34:35], exec
	s_and_b64 s[46:47], s[48:49], exec
	s_or_b64 s[34:35], s[26:27], s[46:47]
.LBB2_4715:                             ;   in Loop: Header=BB2_4716 Depth=3
	s_or_b64 exec, exec, s[38:39]
	s_and_b64 s[26:27], exec, s[34:35]
	s_or_b64 s[94:95], s[26:27], s[94:95]
	s_andn2_b64 s[26:27], s[30:31], exec
	s_and_b64 s[46:47], s[36:37], exec
	s_or_b64 s[30:31], s[26:27], s[46:47]
	s_andn2_b64 exec, exec, s[94:95]
	s_cbranch_execz .LBB2_4720
.LBB2_4716:                             ;   Parent Loop BB2_47 Depth=1
                                        ;     Parent Loop BB2_4710 Depth=2
                                        ; =>    This Inner Loop Header: Depth=3
	s_sleep 1
	s_waitcnt vmcnt(0) lgkmcnt(0)
	flat_load_dwordx2 v[32:33], v[22:23] glc
	s_or_b64 s[36:37], s[36:37], exec
	s_or_b64 s[34:35], s[34:35], exec
                                        ; implicit-def: $vgpr2
	s_and_saveexec_b64 s[38:39], vcc
	s_cbranch_execz .LBB2_4715
; %bb.4717:                             ;   in Loop: Header=BB2_4716 Depth=3
	s_cmpk_lt_i32 s44, 0x270f
	s_cselect_b64 s[52:53], -1, 0
	s_cmpk_gt_i32 s44, 0x270e
	s_mov_b64 s[48:49], -1
	s_cbranch_scc0 .LBB2_4719
; %bb.4718:                             ;   in Loop: Header=BB2_4716 Depth=3
	s_trap 2
	ds_read_b64 v[10:11], v0
	s_andn2_b64 s[46:47], s[52:53], exec
	s_mov_b32 s44, 0
	s_mov_b64 s[50:51], 0
	s_waitcnt vmcnt(0) lgkmcnt(0)
	flat_load_dword v2, v[10:11] glc
	s_waitcnt vmcnt(0) lgkmcnt(0)
	buffer_wbinvl1_vol
	v_cmp_eq_u32_e64 s[26:27], 0, v2
	s_and_b64 s[26:27], s[26:27], exec
	s_or_b64 s[52:53], s[46:47], s[26:27]
	s_and_saveexec_b64 s[54:55], s[52:53]
	s_cbranch_execz .LBB2_4714
	s_branch .LBB2_4713
.LBB2_4719:                             ;   in Loop: Header=BB2_4716 Depth=3
	s_add_i32 s44, s44, 1
	s_mov_b64 s[50:51], -1
                                        ; implicit-def: $vgpr2
	s_and_saveexec_b64 s[54:55], s[52:53]
	s_cbranch_execz .LBB2_4714
	s_branch .LBB2_4713
.LBB2_4720:                             ;   in Loop: Header=BB2_4710 Depth=2
	s_or_b64 exec, exec, s[94:95]
	s_xor_b64 s[26:27], s[30:31], -1
	s_and_saveexec_b64 s[44:45], s[26:27]
	s_xor_b64 s[26:27], exec, s[44:45]
	s_cbranch_execz .LBB2_4722
; %bb.4721:                             ;   in Loop: Header=BB2_4710 Depth=2
	v_or_b32_e32 v20, 64, v20
	s_waitcnt lgkmcnt(0)
	ds_write_b32 v0, v2
	s_trap 2
.LBB2_4722:                             ;   in Loop: Header=BB2_4710 Depth=2
	s_or_b64 exec, exec, s[26:27]
.LBB2_4723:                             ;   in Loop: Header=BB2_4710 Depth=2
	s_or_b64 exec, exec, s[92:93]
	v_and_b32_e32 v2, 0x100, v20
	v_cmp_ne_u32_e32 vcc, 0, v2
	v_and_b32_e32 v2, 7, v50
	s_mov_b64 s[26:27], -1
	;;#ASMSTART
	s_wakeup
	;;#ASMEND
                                        ; implicit-def: $vgpr10_vgpr11
	s_and_saveexec_b64 s[92:93], vcc
	s_cbranch_execz .LBB2_4727
; %bb.4724:                             ;   in Loop: Header=BB2_4710 Depth=2
	s_waitcnt vmcnt(0)
	v_mad_u64_u32 v[12:13], s[26:27], v2, 24, v[24:25]
	flat_load_dword v10, v[12:13]
	s_waitcnt vmcnt(0) lgkmcnt(0)
	v_cmp_ne_u32_e32 vcc, 1, v10
	v_cmp_eq_u32_e64 s[26:27], 1, v10
                                        ; implicit-def: $vgpr10_vgpr11
	s_and_saveexec_b64 s[94:95], s[26:27]
	s_cbranch_execz .LBB2_4726
; %bb.4725:                             ;   in Loop: Header=BB2_4710 Depth=2
	flat_load_dword v10, v[12:13] offset:4 glc
	s_waitcnt vmcnt(0) lgkmcnt(0)
	v_ashrrev_i32_e32 v11, 31, v10
.LBB2_4726:                             ;   in Loop: Header=BB2_4710 Depth=2
	s_or_b64 exec, exec, s[94:95]
	s_orn2_b64 s[26:27], vcc, exec
.LBB2_4727:                             ;   in Loop: Header=BB2_4710 Depth=2
	s_or_b64 exec, exec, s[92:93]
	s_and_saveexec_b64 s[92:93], s[26:27]
; %bb.4728:                             ;   in Loop: Header=BB2_4710 Depth=2
	v_mad_i64_i32 v[10:11], s[26:27], v2, v47, 0
; %bb.4729:                             ;   in Loop: Header=BB2_4710 Depth=2
	s_or_b64 exec, exec, s[92:93]
	buffer_load_dword v12, off, s[0:3], s33 offset:72 ; 4-byte Folded Reload
	buffer_load_dword v13, off, s[0:3], s33 offset:76 ; 4-byte Folded Reload
	v_and_b32_e32 v2, 0x2000, v20
	s_waitcnt vmcnt(0)
	v_add_co_u32_e32 v10, vcc, v12, v10
	v_addc_co_u32_e32 v11, vcc, v13, v11, vcc
	v_cmp_ne_u32_e32 vcc, 0, v2
	ds_write_b64 v0, v[10:11] offset:720
	s_and_saveexec_b64 s[26:27], vcc
	s_cbranch_execz .LBB2_4731
; %bb.4730:                             ;   in Loop: Header=BB2_4710 Depth=2
	ds_read_b64 v[10:11], v0 offset:872
	s_waitcnt lgkmcnt(0)
	v_add_co_u32_e32 v10, vcc, 1, v10
	v_addc_co_u32_e32 v11, vcc, 0, v11, vcc
	ds_write_b64 v0, v[10:11] offset:872
.LBB2_4731:                             ;   in Loop: Header=BB2_4710 Depth=2
	s_or_b64 exec, exec, s[26:27]
	v_mov_b32_e32 v51, v9
	v_mov_b32_e32 v50, v8
.LBB2_4732:                             ;   in Loop: Header=BB2_4710 Depth=2
	s_or_b64 exec, exec, s[90:91]
	s_xor_b64 s[26:27], s[42:43], -1
	s_and_b64 s[26:27], exec, s[26:27]
	s_or_b64 s[40:41], s[26:27], s[40:41]
	s_and_saveexec_b64 s[26:27], s[10:11]
	s_cbranch_execz .LBB2_4751
; %bb.4733:                             ;   in Loop: Header=BB2_4710 Depth=2
	s_and_saveexec_b64 s[42:43], s[58:59]
	s_xor_b64 s[42:43], exec, s[42:43]
	s_cbranch_execz .LBB2_4748
; %bb.4734:                             ;   in Loop: Header=BB2_4710 Depth=2
	s_and_saveexec_b64 s[90:91], s[16:17]
	s_cbranch_execz .LBB2_4747
; %bb.4735:                             ;   in Loop: Header=BB2_4710 Depth=2
	s_mov_b64 s[94:95], exec
	v_mbcnt_lo_u32_b32 v2, s94, 0
	v_mbcnt_hi_u32_b32 v2, s95, v2
	v_cmp_eq_u32_e32 vcc, 0, v2
	s_waitcnt vmcnt(0) lgkmcnt(0)
	buffer_wbinvl1_vol
	s_and_saveexec_b64 s[92:93], vcc
	s_cbranch_execz .LBB2_4737
; %bb.4736:                             ;   in Loop: Header=BB2_4710 Depth=2
	s_bcnt1_i32_b64 s44, s[94:95]
	v_mov_b32_e32 v2, s44
	ds_add_u64 v0, v[2:3]
	s_trap 2
.LBB2_4737:                             ;   in Loop: Header=BB2_4710 Depth=2
	s_or_b64 exec, exec, s[92:93]
	s_trap 2
	ds_read_b64 v[8:9], v0
	s_waitcnt lgkmcnt(0)
	v_add_co_u32_e32 v28, vcc, v28, v17
	v_addc_co_u32_e32 v29, vcc, 0, v29, vcc
	v_cmp_lt_u64_e32 vcc, v[8:9], v[28:29]
	s_and_saveexec_b64 s[92:93], vcc
	s_cbranch_execz .LBB2_4746
; %bb.4738:                             ;   in Loop: Header=BB2_4710 Depth=2
	s_mov_b32 s44, 0
	s_mov_b64 s[94:95], 0
                                        ; implicit-def: $sgpr30_sgpr31
                                        ; implicit-def: $sgpr34_sgpr35
	s_branch .LBB2_4740
.LBB2_4739:                             ;   in Loop: Header=BB2_4740 Depth=3
	s_or_b64 exec, exec, s[38:39]
	s_and_b64 s[46:47], exec, vcc
	s_or_b64 s[94:95], s[46:47], s[94:95]
	s_andn2_b64 s[46:47], s[30:31], exec
	s_and_b64 vcc, s[34:35], exec
	s_or_b64 s[30:31], s[46:47], vcc
	s_andn2_b64 exec, exec, s[94:95]
	s_cbranch_execz .LBB2_4744
.LBB2_4740:                             ;   Parent Loop BB2_47 Depth=1
                                        ;     Parent Loop BB2_4710 Depth=2
                                        ; =>    This Inner Loop Header: Depth=3
	s_add_i32 s44, s44, 1
	s_cmpk_lg_i32 s44, 0x2710
	s_cselect_b64 s[36:37], -1, 0
	s_and_b64 vcc, exec, s[36:37]
	s_cbranch_vccz .LBB2_4742
; %bb.4741:                             ;   in Loop: Header=BB2_4740 Depth=3
	s_mov_b64 vcc, -1
	s_or_b64 s[34:35], s[34:35], exec
	s_and_saveexec_b64 s[38:39], s[36:37]
	s_cbranch_execz .LBB2_4739
	s_branch .LBB2_4743
.LBB2_4742:                             ;   in Loop: Header=BB2_4740 Depth=3
	s_trap 2
	ds_read_b64 v[8:9], v0
	s_andn2_b64 s[46:47], s[36:37], exec
	s_mov_b32 s44, 0
	s_waitcnt lgkmcnt(0)
	flat_load_dword v2, v[8:9] glc
	s_waitcnt vmcnt(0) lgkmcnt(0)
	buffer_wbinvl1_vol
	v_cmp_eq_u32_e32 vcc, 0, v2
	s_and_b64 vcc, vcc, exec
	s_or_b64 s[36:37], s[46:47], vcc
	s_mov_b64 vcc, -1
	s_or_b64 s[34:35], s[34:35], exec
	s_and_saveexec_b64 s[38:39], s[36:37]
	s_cbranch_execz .LBB2_4739
.LBB2_4743:                             ;   in Loop: Header=BB2_4740 Depth=3
	s_sleep 1
	s_trap 2
	ds_read_b64 v[8:9], v0
	s_waitcnt lgkmcnt(0)
	s_andn2_b64 s[34:35], s[34:35], exec
	v_cmp_ge_u64_e32 vcc, v[8:9], v[28:29]
	s_orn2_b64 vcc, vcc, exec
	s_branch .LBB2_4739
.LBB2_4744:                             ;   in Loop: Header=BB2_4710 Depth=2
	s_or_b64 exec, exec, s[94:95]
	s_and_saveexec_b64 s[44:45], s[30:31]
	s_xor_b64 s[44:45], exec, s[44:45]
	s_cbranch_execz .LBB2_4746
; %bb.4745:                             ;   in Loop: Header=BB2_4710 Depth=2
	v_mov_b32_e32 v2, 1
	ds_write_b32 v0, v2
	s_trap 2
.LBB2_4746:                             ;   in Loop: Header=BB2_4710 Depth=2
	s_or_b64 exec, exec, s[92:93]
	;;#ASMSTART
	s_wakeup
	;;#ASMEND
.LBB2_4747:                             ;   in Loop: Header=BB2_4710 Depth=2
	s_or_b64 exec, exec, s[90:91]
.LBB2_4748:                             ;   in Loop: Header=BB2_4710 Depth=2
	s_andn2_saveexec_b64 s[42:43], s[42:43]
	s_cbranch_execz .LBB2_4750
; %bb.4749:                             ;   in Loop: Header=BB2_4710 Depth=2
	s_waitcnt vmcnt(0) lgkmcnt(0)
	buffer_wbinvl1_vol
	s_barrier
.LBB2_4750:                             ;   in Loop: Header=BB2_4710 Depth=2
	s_or_b64 exec, exec, s[42:43]
.LBB2_4751:                             ;   in Loop: Header=BB2_4710 Depth=2
	s_or_b64 exec, exec, s[26:27]
	v_sub_u32_e32 v2, v4, v7
	v_min_i32_e32 v6, v6, v2
	s_and_saveexec_b64 s[26:27], s[24:25]
	s_xor_b64 s[26:27], exec, s[26:27]
	s_cbranch_execz .LBB2_4755
; %bb.4752:                             ;   in Loop: Header=BB2_4710 Depth=2
	s_trap 2
	ds_read_b32 v2, v0
	v_cmp_lt_i32_e32 vcc, 0, v6
	s_waitcnt lgkmcnt(0)
	v_readfirstlane_b32 s42, v2
	s_cmp_eq_u32 s42, 0
	s_cselect_b64 s[42:43], -1, 0
	v_and_b32_e32 v2, 16, v20
	s_and_b64 s[42:43], vcc, s[42:43]
	v_cmp_ne_u32_e32 vcc, 0, v2
	s_and_b64 s[44:45], vcc, s[42:43]
	s_and_saveexec_b64 s[42:43], s[44:45]
	s_cbranch_execz .LBB2_4754
; %bb.4753:                             ;   in Loop: Header=BB2_4710 Depth=2
	s_waitcnt vmcnt(0)
	buffer_wbinvl1_vol
.LBB2_4754:                             ;   in Loop: Header=BB2_4710 Depth=2
	s_or_b64 exec, exec, s[42:43]
.LBB2_4755:                             ;   in Loop: Header=BB2_4710 Depth=2
	s_andn2_saveexec_b64 s[26:27], s[26:27]
	s_cbranch_execz .LBB2_4774
; %bb.4756:                             ;   in Loop: Header=BB2_4710 Depth=2
	s_and_saveexec_b64 s[42:43], s[58:59]
	s_xor_b64 s[42:43], exec, s[42:43]
	s_cbranch_execz .LBB2_4771
; %bb.4757:                             ;   in Loop: Header=BB2_4710 Depth=2
	s_and_saveexec_b64 s[90:91], s[16:17]
	s_cbranch_execz .LBB2_4770
; %bb.4758:                             ;   in Loop: Header=BB2_4710 Depth=2
	s_mov_b64 s[94:95], exec
	v_mbcnt_lo_u32_b32 v2, s94, 0
	v_mbcnt_hi_u32_b32 v2, s95, v2
	v_cmp_eq_u32_e32 vcc, 0, v2
	;;#ASMSTART
	s_waitcnt lgkmcnt(0) vmcnt(0)
	;;#ASMEND
	s_and_saveexec_b64 s[92:93], vcc
	s_cbranch_execz .LBB2_4760
; %bb.4759:                             ;   in Loop: Header=BB2_4710 Depth=2
	s_bcnt1_i32_b64 s44, s[94:95]
	v_mov_b32_e32 v2, s44
	s_waitcnt lgkmcnt(0)
	ds_add_u64 v0, v[2:3]
	s_trap 2
.LBB2_4760:                             ;   in Loop: Header=BB2_4710 Depth=2
	s_or_b64 exec, exec, s[92:93]
	s_trap 2
	ds_read_b64 v[8:9], v0
	s_waitcnt lgkmcnt(0)
	v_add_co_u32_e32 v28, vcc, v28, v17
	v_addc_co_u32_e32 v29, vcc, 0, v29, vcc
	v_cmp_lt_u64_e32 vcc, v[8:9], v[28:29]
	s_and_saveexec_b64 s[92:93], vcc
	s_cbranch_execz .LBB2_4769
; %bb.4761:                             ;   in Loop: Header=BB2_4710 Depth=2
	s_mov_b32 s44, 0
	s_mov_b64 s[94:95], 0
                                        ; implicit-def: $sgpr30_sgpr31
                                        ; implicit-def: $sgpr34_sgpr35
	s_branch .LBB2_4763
.LBB2_4762:                             ;   in Loop: Header=BB2_4763 Depth=3
	s_or_b64 exec, exec, s[38:39]
	s_and_b64 s[46:47], exec, vcc
	s_or_b64 s[94:95], s[46:47], s[94:95]
	s_andn2_b64 s[46:47], s[30:31], exec
	s_and_b64 vcc, s[34:35], exec
	s_or_b64 s[30:31], s[46:47], vcc
	s_andn2_b64 exec, exec, s[94:95]
	s_cbranch_execz .LBB2_4767
.LBB2_4763:                             ;   Parent Loop BB2_47 Depth=1
                                        ;     Parent Loop BB2_4710 Depth=2
                                        ; =>    This Inner Loop Header: Depth=3
	s_add_i32 s44, s44, 1
	s_cmpk_lg_i32 s44, 0x2710
	s_cselect_b64 s[36:37], -1, 0
	s_and_b64 vcc, exec, s[36:37]
	s_cbranch_vccz .LBB2_4765
; %bb.4764:                             ;   in Loop: Header=BB2_4763 Depth=3
	s_mov_b64 vcc, -1
	s_or_b64 s[34:35], s[34:35], exec
	s_and_saveexec_b64 s[38:39], s[36:37]
	s_cbranch_execz .LBB2_4762
	s_branch .LBB2_4766
.LBB2_4765:                             ;   in Loop: Header=BB2_4763 Depth=3
	s_trap 2
	ds_read_b64 v[8:9], v0
	s_andn2_b64 s[46:47], s[36:37], exec
	s_mov_b32 s44, 0
	s_waitcnt vmcnt(0) lgkmcnt(0)
	flat_load_dword v2, v[8:9] glc
	s_waitcnt vmcnt(0) lgkmcnt(0)
	buffer_wbinvl1_vol
	v_cmp_eq_u32_e32 vcc, 0, v2
	s_and_b64 vcc, vcc, exec
	s_or_b64 s[36:37], s[46:47], vcc
	s_mov_b64 vcc, -1
	s_or_b64 s[34:35], s[34:35], exec
	s_and_saveexec_b64 s[38:39], s[36:37]
	s_cbranch_execz .LBB2_4762
.LBB2_4766:                             ;   in Loop: Header=BB2_4763 Depth=3
	s_sleep 1
	s_trap 2
	ds_read_b64 v[8:9], v0
	s_waitcnt lgkmcnt(0)
	s_andn2_b64 s[34:35], s[34:35], exec
	v_cmp_ge_u64_e32 vcc, v[8:9], v[28:29]
	s_orn2_b64 vcc, vcc, exec
	s_branch .LBB2_4762
.LBB2_4767:                             ;   in Loop: Header=BB2_4710 Depth=2
	s_or_b64 exec, exec, s[94:95]
	s_and_saveexec_b64 s[44:45], s[30:31]
	s_xor_b64 s[44:45], exec, s[44:45]
	s_cbranch_execz .LBB2_4769
; %bb.4768:                             ;   in Loop: Header=BB2_4710 Depth=2
	v_mov_b32_e32 v2, 1
	ds_write_b32 v0, v2
	s_trap 2
.LBB2_4769:                             ;   in Loop: Header=BB2_4710 Depth=2
	s_or_b64 exec, exec, s[92:93]
	;;#ASMSTART
	s_wakeup
	;;#ASMEND
.LBB2_4770:                             ;   in Loop: Header=BB2_4710 Depth=2
	s_or_b64 exec, exec, s[90:91]
.LBB2_4771:                             ;   in Loop: Header=BB2_4710 Depth=2
	s_andn2_saveexec_b64 s[42:43], s[42:43]
	s_cbranch_execz .LBB2_4773
; %bb.4772:                             ;   in Loop: Header=BB2_4710 Depth=2
	;;#ASMSTART
	s_waitcnt lgkmcnt(0) vmcnt(0)
	;;#ASMEND
	s_waitcnt vmcnt(0) lgkmcnt(0)
	s_barrier
.LBB2_4773:                             ;   in Loop: Header=BB2_4710 Depth=2
	s_or_b64 exec, exec, s[42:43]
.LBB2_4774:                             ;   in Loop: Header=BB2_4710 Depth=2
	s_or_b64 exec, exec, s[26:27]
	v_and_b32_e32 v2, 32, v20
	v_cmp_ne_u32_e32 vcc, 0, v2
	s_and_saveexec_b64 s[26:27], vcc
	s_cbranch_execz .LBB2_4709
; %bb.4775:                             ;   in Loop: Header=BB2_4710 Depth=2
	v_add_co_u32_e32 v50, vcc, 2, v50
	v_addc_co_u32_e32 v51, vcc, 0, v51, vcc
	flat_store_dwordx2 v[22:23], v[50:51]
	s_branch .LBB2_4709
.LBB2_4776:
	s_or_b64 exec, exec, s[60:61]
	buffer_load_dword v16, off, s[0:3], s33 offset:284 ; 4-byte Folded Reload
	buffer_load_dword v31, off, s[0:3], s33 offset:288 ; 4-byte Folded Reload
	;; [unrolled: 1-line block ×3, first 2 shown]
	v_readlane_b32 s28, v62, 2
	v_readlane_b32 s29, v62, 3
.LBB2_4777:
	v_readlane_b32 s4, v62, 0
	v_readlane_b32 s5, v62, 1
	s_or_b64 exec, exec, s[4:5]
	v_and_b32_e32 v0, 0x800, v20
	v_cmp_eq_u32_e32 vcc, 0, v0
	s_and_saveexec_b64 s[6:7], vcc
	s_cbranch_execz .LBB2_4810
; %bb.4778:
	v_and_b32_e32 v0, 48, v20
	v_cmp_ne_u32_e32 vcc, 0, v0
	s_and_saveexec_b64 s[4:5], vcc
	s_cbranch_execz .LBB2_4780
; %bb.4779:
	buffer_load_dword v0, off, s[0:3], s33 offset:276 ; 4-byte Folded Reload
	buffer_load_dword v1, off, s[0:3], s33 offset:280 ; 4-byte Folded Reload
	s_waitcnt vmcnt(0)
	flat_store_dwordx2 v[0:1], v[50:51] offset:104
.LBB2_4780:
	s_or_b64 exec, exec, s[4:5]
	s_movk_i32 s4, 0x88
	v_and_b32_e32 v0, 0x88, v20
	v_cmp_eq_u32_e32 vcc, s4, v0
	s_and_saveexec_b64 s[10:11], vcc
	s_cbranch_execz .LBB2_4790
; %bb.4781:
	v_add_u32_e32 v0, 6, v50
	v_and_b32_e32 v0, 7, v0
	v_mad_u64_u32 v[2:3], s[4:5], v0, 24, v[24:25]
	v_and_b32_e32 v4, 64, v20
	v_cmp_eq_u32_e64 s[4:5], 0, v4
	flat_load_dwordx2 v[0:1], v[2:3] offset:8 glc
	s_waitcnt vmcnt(0)
	s_mov_b32 s22, 0
	s_waitcnt lgkmcnt(0)
	v_cmp_ne_u64_e32 vcc, -1, v[0:1]
	s_and_b64 s[4:5], vcc, s[4:5]
	s_and_b64 exec, exec, s[4:5]
	s_cbranch_execz .LBB2_4790
; %bb.4782:
	s_mov_b64 s[4:5], 0
                                        ; implicit-def: $sgpr12_sgpr13
                                        ; implicit-def: $sgpr14_sgpr15
	s_branch .LBB2_4785
.LBB2_4783:                             ;   in Loop: Header=BB2_4785 Depth=1
	flat_load_dwordx2 v[4:5], v[2:3] offset:8 glc
	s_waitcnt vmcnt(0)
	s_andn2_b64 s[14:15], s[14:15], exec
	s_waitcnt lgkmcnt(0)
	v_cmp_eq_u64_e32 vcc, -1, v[4:5]
	s_orn2_b64 s[18:19], vcc, exec
.LBB2_4784:                             ;   in Loop: Header=BB2_4785 Depth=1
	s_or_b64 exec, exec, s[20:21]
	s_and_b64 s[16:17], exec, s[18:19]
	s_or_b64 s[4:5], s[16:17], s[4:5]
	s_andn2_b64 s[12:13], s[12:13], exec
	s_and_b64 s[16:17], s[14:15], exec
	s_or_b64 s[12:13], s[12:13], s[16:17]
	s_andn2_b64 exec, exec, s[4:5]
	s_cbranch_execz .LBB2_4788
.LBB2_4785:                             ; =>This Inner Loop Header: Depth=1
	s_cmpk_lt_i32 s22, 0x270f
	s_cselect_b64 s[16:17], -1, 0
	s_and_b64 vcc, exec, s[16:17]
	s_cbranch_vccnz .LBB2_4787
; %bb.4786:                             ;   in Loop: Header=BB2_4785 Depth=1
	s_trap 2
	ds_read_b64 v[0:1], v0
	s_andn2_b64 s[16:17], s[16:17], exec
	s_mov_b32 s22, 0
	s_waitcnt lgkmcnt(0)
	flat_load_dword v0, v[0:1] glc
	s_waitcnt vmcnt(0) lgkmcnt(0)
	buffer_wbinvl1_vol
	v_cmp_eq_u32_e32 vcc, 0, v0
	s_and_b64 s[18:19], vcc, exec
	s_or_b64 s[16:17], s[16:17], s[18:19]
	s_mov_b64 s[18:19], -1
	s_or_b64 s[14:15], s[14:15], exec
	s_and_saveexec_b64 s[20:21], s[16:17]
	s_cbranch_execz .LBB2_4784
	s_branch .LBB2_4783
.LBB2_4787:                             ;   in Loop: Header=BB2_4785 Depth=1
	s_add_i32 s22, s22, 1
                                        ; implicit-def: $vgpr0
	s_mov_b64 s[18:19], -1
	s_or_b64 s[14:15], s[14:15], exec
	s_and_saveexec_b64 s[20:21], s[16:17]
	s_cbranch_execz .LBB2_4784
	s_branch .LBB2_4783
.LBB2_4788:
	s_or_b64 exec, exec, s[4:5]
	s_and_saveexec_b64 s[4:5], s[12:13]
	s_xor_b64 s[4:5], exec, s[4:5]
	s_cbranch_execz .LBB2_4790
; %bb.4789:
	ds_write_b32 v0, v0
	s_trap 2
.LBB2_4790:
	s_or_b64 exec, exec, s[10:11]
	v_and_b32_e32 v0, 0x2000, v20
	v_cmp_ne_u32_e32 vcc, 0, v0
	s_and_saveexec_b64 s[4:5], vcc
	s_cbranch_execz .LBB2_4792
; %bb.4791:
	s_trap 2
	ds_read_b64 v[0:1], v0
	buffer_load_dword v2, off, s[0:3], s33 offset:296 ; 4-byte Folded Reload
	buffer_load_dword v3, off, s[0:3], s33 offset:300 ; 4-byte Folded Reload
	s_waitcnt vmcnt(0) lgkmcnt(0)
	flat_store_dwordx2 v[2:3], v[0:1] offset:16
.LBB2_4792:
	s_or_b64 exec, exec, s[4:5]
	s_waitcnt vmcnt(0)
	v_cmp_ne_u32_e32 vcc, 64, v16
	s_and_b64 exec, exec, vcc
	s_cbranch_execz .LBB2_4810
; %bb.4793:
	v_cmp_ne_u32_sdwa s[4:5], v16, v15 src0_sel:DWORD src1_sel:WORD_0
	s_and_saveexec_b64 s[10:11], s[4:5]
	s_xor_b64 s[4:5], exec, s[10:11]
	s_cbranch_execz .LBB2_4808
; %bb.4794:
	v_and_b32_e32 v0, 63, v31
	v_cmp_eq_u32_e32 vcc, 0, v0
	s_and_saveexec_b64 s[10:11], vcc
	s_cbranch_execz .LBB2_4807
; %bb.4795:
	s_mov_b64 s[14:15], exec
	v_mbcnt_lo_u32_b32 v0, s14, 0
	v_mbcnt_hi_u32_b32 v0, s15, v0
	v_cmp_eq_u32_e32 vcc, 0, v0
	s_waitcnt lgkmcnt(0)
	buffer_wbinvl1_vol
	s_and_saveexec_b64 s[12:13], vcc
	s_cbranch_execz .LBB2_4797
; %bb.4796:
	s_bcnt1_i32_b64 s14, s[14:15]
	v_mov_b32_e32 v0, s14
	v_mov_b32_e32 v1, 0
	ds_add_u64 v0, v[0:1]
	s_trap 2
.LBB2_4797:
	s_or_b64 exec, exec, s[12:13]
	v_lshrrev_b32_e32 v0, 6, v16
	s_trap 2
	ds_read_b64 v[2:3], v0
	s_waitcnt lgkmcnt(0)
	v_add_co_u32_e32 v0, vcc, v28, v0
	v_addc_co_u32_e32 v1, vcc, 0, v29, vcc
	v_cmp_lt_u64_e32 vcc, v[2:3], v[0:1]
	s_and_saveexec_b64 s[12:13], vcc
	s_cbranch_execz .LBB2_4806
; %bb.4798:
	s_mov_b32 s26, 0
	s_mov_b64 s[14:15], 0
                                        ; implicit-def: $sgpr16_sgpr17
                                        ; implicit-def: $sgpr18_sgpr19
	s_branch .LBB2_4800
.LBB2_4799:                             ;   in Loop: Header=BB2_4800 Depth=1
	s_or_b64 exec, exec, s[22:23]
	s_and_b64 s[20:21], exec, s[24:25]
	s_or_b64 s[14:15], s[20:21], s[14:15]
	s_andn2_b64 s[16:17], s[16:17], exec
	s_and_b64 s[20:21], s[18:19], exec
	s_or_b64 s[16:17], s[16:17], s[20:21]
	s_andn2_b64 exec, exec, s[14:15]
	s_cbranch_execz .LBB2_4804
.LBB2_4800:                             ; =>This Inner Loop Header: Depth=1
	s_add_i32 s26, s26, 1
	s_cmpk_lg_i32 s26, 0x2710
	s_cselect_b64 s[20:21], -1, 0
	s_and_b64 vcc, exec, s[20:21]
	s_cbranch_vccz .LBB2_4802
; %bb.4801:                             ;   in Loop: Header=BB2_4800 Depth=1
	s_mov_b64 s[24:25], -1
	s_or_b64 s[18:19], s[18:19], exec
	s_and_saveexec_b64 s[22:23], s[20:21]
	s_cbranch_execz .LBB2_4799
	s_branch .LBB2_4803
.LBB2_4802:                             ;   in Loop: Header=BB2_4800 Depth=1
	s_trap 2
	ds_read_b64 v[2:3], v0
	s_andn2_b64 s[20:21], s[20:21], exec
	s_mov_b32 s26, 0
	s_waitcnt lgkmcnt(0)
	flat_load_dword v2, v[2:3] glc
	s_waitcnt vmcnt(0) lgkmcnt(0)
	buffer_wbinvl1_vol
	v_cmp_eq_u32_e32 vcc, 0, v2
	s_and_b64 s[22:23], vcc, exec
	s_or_b64 s[20:21], s[20:21], s[22:23]
	s_mov_b64 s[24:25], -1
	s_or_b64 s[18:19], s[18:19], exec
	s_and_saveexec_b64 s[22:23], s[20:21]
	s_cbranch_execz .LBB2_4799
.LBB2_4803:                             ;   in Loop: Header=BB2_4800 Depth=1
	s_sleep 1
	s_trap 2
	ds_read_b64 v[2:3], v0
	s_waitcnt lgkmcnt(0)
	s_andn2_b64 s[18:19], s[18:19], exec
	v_cmp_ge_u64_e32 vcc, v[2:3], v[0:1]
	s_orn2_b64 s[24:25], vcc, exec
	s_branch .LBB2_4799
.LBB2_4804:
	s_or_b64 exec, exec, s[14:15]
	s_and_saveexec_b64 s[14:15], s[16:17]
	s_xor_b64 s[14:15], exec, s[14:15]
	s_cbranch_execz .LBB2_4806
; %bb.4805:
	v_mov_b32_e32 v0, 1
	ds_write_b32 v0, v0
	s_trap 2
.LBB2_4806:
	s_or_b64 exec, exec, s[12:13]
	;;#ASMSTART
	s_wakeup
	;;#ASMEND
.LBB2_4807:
	s_or_b64 exec, exec, s[10:11]
.LBB2_4808:
	s_andn2_saveexec_b64 s[4:5], s[4:5]
	s_cbranch_execz .LBB2_4810
; %bb.4809:
	s_waitcnt lgkmcnt(0)
	buffer_wbinvl1_vol
	s_barrier
.LBB2_4810:
	s_or_b64 exec, exec, s[6:7]
.LBB2_4811:
	s_andn2_saveexec_b64 s[26:27], s[28:29]
	s_cbranch_execz .LBB2_4813
; %bb.4812:
	s_getpc_b64 s[4:5]
	s_add_u32 s4, s4, __PRETTY_FUNCTION__._ZN10PrimitivesI14__hip_fp8_e4m38FuncProdIS0_E12FanSymmetricILi1EELi0E11ProtoSimpleILi2ELi2ELi0ELi1ELi0ELi0EELi0ELb0ELi0ELi0ELi0EEC2EiiPKiS9_PKvPvmhhhP15ncclDevWorkCollP14ncclDevWorkP2pii@rel32@lo+4
	s_addc_u32 s5, s5, __PRETTY_FUNCTION__._ZN10PrimitivesI14__hip_fp8_e4m38FuncProdIS0_E12FanSymmetricILi1EELi0E11ProtoSimpleILi2ELi2ELi0ELi1ELi0ELi0EELi0ELb0ELi0ELi0ELi0EEC2EiiPKiS9_PKvPvmhhhP15ncclDevWorkCollP14ncclDevWorkP2pii@rel32@hi+12
	s_getpc_b64 s[6:7]
	s_add_u32 s6, s6, __assert_fail@rel32@lo+4
	s_addc_u32 s7, s7, __assert_fail@rel32@hi+12
	v_mov_b32_e32 v0, s4
	v_mov_b32_e32 v1, s5
	s_swappc_b64 s[30:31], s[6:7]
	; divergent unreachable
.LBB2_4813:
	s_or_b64 exec, exec, s[26:27]
	buffer_load_dword v61, off, s[0:3], s33 ; 4-byte Folded Reload
	buffer_load_dword v60, off, s[0:3], s33 offset:4 ; 4-byte Folded Reload
	buffer_load_dword v59, off, s[0:3], s33 offset:8 ; 4-byte Folded Reload
	;; [unrolled: 1-line block ×13, first 2 shown]
	v_readlane_b32 s30, v63, 32
	v_readlane_b32 s31, v63, 33
	;; [unrolled: 1-line block ×34, first 2 shown]
	s_mov_b32 s32, s33
	v_readlane_b32 s4, v63, 34
	s_or_saveexec_b64 s[6:7], -1
	buffer_load_dword v63, off, s[0:3], s33 offset:304 ; 4-byte Folded Reload
	buffer_load_dword v62, off, s[0:3], s33 offset:308 ; 4-byte Folded Reload
	s_mov_b64 exec, s[6:7]
	s_mov_b32 s33, s4
	s_waitcnt vmcnt(0) lgkmcnt(0)
	s_setpc_b64 s[30:31]
.Lfunc_end2:
	.size	_ZN12_GLOBAL__N_17runRingI14__hip_fp8_e4m38FuncProdIS1_E11ProtoSimpleILi2ELi2ELi0ELi1ELi0ELi0EELi0ELi0ELi1ELi0EEEviiP15ncclDevWorkColl, .Lfunc_end2-_ZN12_GLOBAL__N_17runRingI14__hip_fp8_e4m38FuncProdIS1_E11ProtoSimpleILi2ELi2ELi0ELi1ELi0ELi0EELi0ELi0ELi1ELi0EEEviiP15ncclDevWorkColl
                                        ; -- End function
	.set .L_ZN12_GLOBAL__N_17runRingI14__hip_fp8_e4m38FuncProdIS1_E11ProtoSimpleILi2ELi2ELi0ELi1ELi0ELi0EELi0ELi0ELi1ELi0EEEviiP15ncclDevWorkColl.num_vgpr, max(64, .L__assert_fail.num_vgpr)
	.set .L_ZN12_GLOBAL__N_17runRingI14__hip_fp8_e4m38FuncProdIS1_E11ProtoSimpleILi2ELi2ELi0ELi1ELi0ELi0EELi0ELi0ELi1ELi0EEEviiP15ncclDevWorkColl.num_agpr, max(0, .L__assert_fail.num_agpr)
	.set .L_ZN12_GLOBAL__N_17runRingI14__hip_fp8_e4m38FuncProdIS1_E11ProtoSimpleILi2ELi2ELi0ELi1ELi0ELi0EELi0ELi0ELi1ELi0EEEviiP15ncclDevWorkColl.numbered_sgpr, max(100, .L__assert_fail.numbered_sgpr)
	.set .L_ZN12_GLOBAL__N_17runRingI14__hip_fp8_e4m38FuncProdIS1_E11ProtoSimpleILi2ELi2ELi0ELi1ELi0ELi0EELi0ELi0ELi1ELi0EEEviiP15ncclDevWorkColl.num_named_barrier, max(0, .L__assert_fail.num_named_barrier)
	.set .L_ZN12_GLOBAL__N_17runRingI14__hip_fp8_e4m38FuncProdIS1_E11ProtoSimpleILi2ELi2ELi0ELi1ELi0ELi0EELi0ELi0ELi1ELi0EEEviiP15ncclDevWorkColl.private_seg_size, 320+max(.L__assert_fail.private_seg_size)
	.set .L_ZN12_GLOBAL__N_17runRingI14__hip_fp8_e4m38FuncProdIS1_E11ProtoSimpleILi2ELi2ELi0ELi1ELi0ELi0EELi0ELi0ELi1ELi0EEEviiP15ncclDevWorkColl.uses_vcc, or(1, .L__assert_fail.uses_vcc)
	.set .L_ZN12_GLOBAL__N_17runRingI14__hip_fp8_e4m38FuncProdIS1_E11ProtoSimpleILi2ELi2ELi0ELi1ELi0ELi0EELi0ELi0ELi1ELi0EEEviiP15ncclDevWorkColl.uses_flat_scratch, or(0, .L__assert_fail.uses_flat_scratch)
	.set .L_ZN12_GLOBAL__N_17runRingI14__hip_fp8_e4m38FuncProdIS1_E11ProtoSimpleILi2ELi2ELi0ELi1ELi0ELi0EELi0ELi0ELi1ELi0EEEviiP15ncclDevWorkColl.has_dyn_sized_stack, or(0, .L__assert_fail.has_dyn_sized_stack)
	.set .L_ZN12_GLOBAL__N_17runRingI14__hip_fp8_e4m38FuncProdIS1_E11ProtoSimpleILi2ELi2ELi0ELi1ELi0ELi0EELi0ELi0ELi1ELi0EEEviiP15ncclDevWorkColl.has_recursion, or(1, .L__assert_fail.has_recursion)
	.set .L_ZN12_GLOBAL__N_17runRingI14__hip_fp8_e4m38FuncProdIS1_E11ProtoSimpleILi2ELi2ELi0ELi1ELi0ELi0EELi0ELi0ELi1ELi0EEEviiP15ncclDevWorkColl.has_indirect_call, or(0, .L__assert_fail.has_indirect_call)
	.section	.AMDGPU.csdata,"",@progbits
; Function info:
; codeLenInByte = 146620
; TotalNumSgprs: 104
; NumVgprs: 64
; ScratchSize: 384
; MemoryBound: 1
	.text
	.p2align	2                               ; -- Begin function _Z51ncclDevFunc_AllReduce_RING_SIMPLE_Prod_f8e4m3_0_0_1v
	.type	_Z51ncclDevFunc_AllReduce_RING_SIMPLE_Prod_f8e4m3_0_0_1v,@function
_Z51ncclDevFunc_AllReduce_RING_SIMPLE_Prod_f8e4m3_0_0_1v: ; @_Z51ncclDevFunc_AllReduce_RING_SIMPLE_Prod_f8e4m3_0_0_1v
; %bb.0:
	s_waitcnt vmcnt(0) expcnt(0) lgkmcnt(0)
	s_mov_b32 s4, s33
	s_mov_b32 s33, s32
	s_or_saveexec_b64 s[6:7], -1
	buffer_store_dword v43, off, s[0:3], s33 offset:20 ; 4-byte Folded Spill
	buffer_store_dword v44, off, s[0:3], s33 offset:24 ; 4-byte Folded Spill
	s_mov_b64 exec, s[6:7]
	v_writelane_b32 v44, s4, 38
	v_writelane_b32 v44, s100, 36
	;; [unrolled: 1-line block ×3, first 2 shown]
	s_addk_i32 s32, 0x800
	buffer_store_dword v40, off, s[0:3], s33 offset:12 ; 4-byte Folded Spill
	buffer_store_dword v41, off, s[0:3], s33 offset:8 ; 4-byte Folded Spill
	buffer_store_dword v42, off, s[0:3], s33 offset:4 ; 4-byte Folded Spill
	buffer_store_dword v62, off, s[0:3], s33 ; 4-byte Folded Spill
	v_writelane_b32 v44, s34, 0
	v_writelane_b32 v44, s35, 1
	;; [unrolled: 1-line block ×36, first 2 shown]
	s_trap 2
	ds_read_b32 v0, v0
                                        ; implicit-def: $vgpr43 : SGPR spill to VGPR lane
	v_mov_b32_e32 v40, v31
	v_writelane_b32 v43, s12, 0
	v_writelane_b32 v43, s8, 1
	;; [unrolled: 1-line block ×3, first 2 shown]
	s_waitcnt lgkmcnt(0)
	v_cmp_gt_i32_e32 vcc, 1, v0
	s_cbranch_vccnz .LBB3_8
; %bb.1:
	s_mov_b32 s6, 0
	v_and_b32_e32 v41, 0x3ff, v40
	v_mov_b32_e32 v42, 6
	s_branch .LBB3_3
.LBB3_2:                                ;   in Loop: Header=BB3_3 Depth=1
	s_or_b64 exec, exec, s[8:9]
	s_trap 2
	ds_read_b32 v0, v0
	s_add_i32 s6, s6, 1
	s_waitcnt lgkmcnt(0)
	v_cmp_lt_i32_e32 vcc, s6, v0
	s_cbranch_vccz .LBB3_8
.LBB3_3:                                ; =>This Inner Loop Header: Depth=1
	s_trap 2
	ds_read_b32 v0, v0
	s_cmp_eq_u32 s6, 0
	s_cbranch_scc1 .LBB3_6
; %bb.4:                                ;   in Loop: Header=BB3_3 Depth=1
	s_trap 2
	s_waitcnt lgkmcnt(0)
	ds_read_b32 v1, v0
	s_waitcnt lgkmcnt(0)
	v_xor_b32_e32 v1, v1, v0
	v_and_b32_e32 v1, 0xff0000, v1
	v_cmp_eq_u32_e32 vcc, 0, v1
	s_cbranch_vccnz .LBB3_6
; %bb.5:                                ;   in Loop: Header=BB3_3 Depth=1
	s_waitcnt vmcnt(0)
	s_barrier
	ds_read_b32 v0, v0
.LBB3_6:                                ;   in Loop: Header=BB3_3 Depth=1
	s_waitcnt lgkmcnt(0)
	v_lshlrev_b32_sdwa v1, v42, v0 dst_sel:DWORD dst_unused:UNUSED_PAD src0_sel:DWORD src1_sel:BYTE_2
	v_cmp_lt_u32_e32 vcc, v41, v1
	s_and_saveexec_b64 s[8:9], vcc
	s_cbranch_execz .LBB3_2
; %bb.7:                                ;   in Loop: Header=BB3_3 Depth=1
	v_writelane_b32 v43, s6, 3
	v_writelane_b32 v43, s8, 4
	s_mov_b64 s[4:5], src_shared_base
	s_getpc_b64 s[6:7]
	s_add_u32 s6, s6, _ZN12_GLOBAL__N_17runRingI14__hip_fp8_e4m38FuncProdIS1_E11ProtoSimpleILi2ELi2ELi0ELi1ELi0ELi0EELi0ELi0ELi1ELi0EEEviiP15ncclDevWorkColl@rel32@lo+4
	s_addc_u32 s7, s7, _ZN12_GLOBAL__N_17runRingI14__hip_fp8_e4m38FuncProdIS1_E11ProtoSimpleILi2ELi2ELi0ELi1ELi0ELi0EELi0ELi0ELi1ELi0EEEviiP15ncclDevWorkColl@rel32@hi+12
	v_writelane_b32 v43, s9, 5
	s_or_saveexec_b64 s[100:101], -1
	buffer_store_dword v43, off, s[0:3], s33 offset:16 ; 4-byte Folded Spill
	s_mov_b64 exec, s[100:101]
	v_readlane_b32 s8, v43, 1
	v_readlane_b32 s9, v43, 2
	;; [unrolled: 1-line block ×3, first 2 shown]
	v_mov_b32_e32 v31, v40
	v_mov_b32_e32 v0, v41
	;; [unrolled: 1-line block ×3, first 2 shown]
	s_swappc_b64 s[30:31], s[6:7]
	s_or_saveexec_b64 s[100:101], -1
	buffer_load_dword v43, off, s[0:3], s33 offset:16 ; 4-byte Folded Reload
	s_mov_b64 exec, s[100:101]
	s_waitcnt vmcnt(0)
	v_readlane_b32 s8, v43, 4
	v_readlane_b32 s9, v43, 5
	;; [unrolled: 1-line block ×3, first 2 shown]
	s_branch .LBB3_2
.LBB3_8:
	buffer_load_dword v62, off, s[0:3], s33 ; 4-byte Folded Reload
	buffer_load_dword v42, off, s[0:3], s33 offset:4 ; 4-byte Folded Reload
	buffer_load_dword v41, off, s[0:3], s33 offset:8 ; 4-byte Folded Reload
	;; [unrolled: 1-line block ×3, first 2 shown]
	v_readlane_b32 s30, v44, 34
	v_readlane_b32 s31, v44, 35
	;; [unrolled: 1-line block ×36, first 2 shown]
	s_mov_b32 s32, s33
	v_readlane_b32 s4, v44, 38
	v_readlane_b32 s100, v44, 36
	;; [unrolled: 1-line block ×3, first 2 shown]
	s_or_saveexec_b64 s[6:7], -1
	buffer_load_dword v43, off, s[0:3], s33 offset:20 ; 4-byte Folded Reload
	buffer_load_dword v44, off, s[0:3], s33 offset:24 ; 4-byte Folded Reload
	s_mov_b64 exec, s[6:7]
	s_mov_b32 s33, s4
	s_waitcnt vmcnt(0)
	s_setpc_b64 s[30:31]
.Lfunc_end3:
	.size	_Z51ncclDevFunc_AllReduce_RING_SIMPLE_Prod_f8e4m3_0_0_1v, .Lfunc_end3-_Z51ncclDevFunc_AllReduce_RING_SIMPLE_Prod_f8e4m3_0_0_1v
                                        ; -- End function
	.set .L_Z51ncclDevFunc_AllReduce_RING_SIMPLE_Prod_f8e4m3_0_0_1v.num_vgpr, max(63, .L_ZN12_GLOBAL__N_17runRingI14__hip_fp8_e4m38FuncProdIS1_E11ProtoSimpleILi2ELi2ELi0ELi1ELi0ELi0EELi0ELi0ELi1ELi0EEEviiP15ncclDevWorkColl.num_vgpr)
	.set .L_Z51ncclDevFunc_AllReduce_RING_SIMPLE_Prod_f8e4m3_0_0_1v.num_agpr, max(0, .L_ZN12_GLOBAL__N_17runRingI14__hip_fp8_e4m38FuncProdIS1_E11ProtoSimpleILi2ELi2ELi0ELi1ELi0ELi0EELi0ELi0ELi1ELi0EEEviiP15ncclDevWorkColl.num_agpr)
	.set .L_Z51ncclDevFunc_AllReduce_RING_SIMPLE_Prod_f8e4m3_0_0_1v.numbered_sgpr, max(102, .L_ZN12_GLOBAL__N_17runRingI14__hip_fp8_e4m38FuncProdIS1_E11ProtoSimpleILi2ELi2ELi0ELi1ELi0ELi0EELi0ELi0ELi1ELi0EEEviiP15ncclDevWorkColl.numbered_sgpr)
	.set .L_Z51ncclDevFunc_AllReduce_RING_SIMPLE_Prod_f8e4m3_0_0_1v.num_named_barrier, max(0, .L_ZN12_GLOBAL__N_17runRingI14__hip_fp8_e4m38FuncProdIS1_E11ProtoSimpleILi2ELi2ELi0ELi1ELi0ELi0EELi0ELi0ELi1ELi0EEEviiP15ncclDevWorkColl.num_named_barrier)
	.set .L_Z51ncclDevFunc_AllReduce_RING_SIMPLE_Prod_f8e4m3_0_0_1v.private_seg_size, 32+max(.L_ZN12_GLOBAL__N_17runRingI14__hip_fp8_e4m38FuncProdIS1_E11ProtoSimpleILi2ELi2ELi0ELi1ELi0ELi0EELi0ELi0ELi1ELi0EEEviiP15ncclDevWorkColl.private_seg_size)
	.set .L_Z51ncclDevFunc_AllReduce_RING_SIMPLE_Prod_f8e4m3_0_0_1v.uses_vcc, or(1, .L_ZN12_GLOBAL__N_17runRingI14__hip_fp8_e4m38FuncProdIS1_E11ProtoSimpleILi2ELi2ELi0ELi1ELi0ELi0EELi0ELi0ELi1ELi0EEEviiP15ncclDevWorkColl.uses_vcc)
	.set .L_Z51ncclDevFunc_AllReduce_RING_SIMPLE_Prod_f8e4m3_0_0_1v.uses_flat_scratch, or(0, .L_ZN12_GLOBAL__N_17runRingI14__hip_fp8_e4m38FuncProdIS1_E11ProtoSimpleILi2ELi2ELi0ELi1ELi0ELi0EELi0ELi0ELi1ELi0EEEviiP15ncclDevWorkColl.uses_flat_scratch)
	.set .L_Z51ncclDevFunc_AllReduce_RING_SIMPLE_Prod_f8e4m3_0_0_1v.has_dyn_sized_stack, or(0, .L_ZN12_GLOBAL__N_17runRingI14__hip_fp8_e4m38FuncProdIS1_E11ProtoSimpleILi2ELi2ELi0ELi1ELi0ELi0EELi0ELi0ELi1ELi0EEEviiP15ncclDevWorkColl.has_dyn_sized_stack)
	.set .L_Z51ncclDevFunc_AllReduce_RING_SIMPLE_Prod_f8e4m3_0_0_1v.has_recursion, or(1, .L_ZN12_GLOBAL__N_17runRingI14__hip_fp8_e4m38FuncProdIS1_E11ProtoSimpleILi2ELi2ELi0ELi1ELi0ELi0EELi0ELi0ELi1ELi0EEEviiP15ncclDevWorkColl.has_recursion)
	.set .L_Z51ncclDevFunc_AllReduce_RING_SIMPLE_Prod_f8e4m3_0_0_1v.has_indirect_call, or(0, .L_ZN12_GLOBAL__N_17runRingI14__hip_fp8_e4m38FuncProdIS1_E11ProtoSimpleILi2ELi2ELi0ELi1ELi0ELi0EELi0ELi0ELi1ELi0EEEviiP15ncclDevWorkColl.has_indirect_call)
	.section	.AMDGPU.csdata,"",@progbits
; Function info:
; codeLenInByte = 1124
; TotalNumSgprs: 106
; NumVgprs: 64
; ScratchSize: 416
; MemoryBound: 0
	.text
	.p2align	2                               ; -- Begin function _ZN12_GLOBAL__N_17runRingI14__hip_fp8_e4m38FuncProdIS1_E11ProtoSimpleILi2ELi2ELi0ELi2ELi0ELi0EELi0ELi0ELi2ELi0EEEviiP15ncclDevWorkColl
	.type	_ZN12_GLOBAL__N_17runRingI14__hip_fp8_e4m38FuncProdIS1_E11ProtoSimpleILi2ELi2ELi0ELi2ELi0ELi0EELi0ELi0ELi2ELi0EEEviiP15ncclDevWorkColl,@function
_ZN12_GLOBAL__N_17runRingI14__hip_fp8_e4m38FuncProdIS1_E11ProtoSimpleILi2ELi2ELi0ELi2ELi0ELi0EELi0ELi0ELi2ELi0EEEviiP15ncclDevWorkColl: ; @_ZN12_GLOBAL__N_17runRingI14__hip_fp8_e4m38FuncProdIS1_E11ProtoSimpleILi2ELi2ELi0ELi2ELi0ELi0EELi0ELi0ELi2ELi0EEEviiP15ncclDevWorkColl
; %bb.0:
	s_waitcnt vmcnt(0) expcnt(0) lgkmcnt(0)
	s_mov_b32 s4, s33
	s_mov_b32 s33, s32
	s_or_saveexec_b64 s[6:7], -1
	buffer_store_dword v63, off, s[0:3], s33 offset:336 ; 4-byte Folded Spill
	buffer_store_dword v62, off, s[0:3], s33 offset:340 ; 4-byte Folded Spill
	s_mov_b64 exec, s[6:7]
	v_writelane_b32 v63, s4, 34
	s_addk_i32 s32, 0x5800
	buffer_store_dword v40, off, s[0:3], s33 offset:52 ; 4-byte Folded Spill
	buffer_store_dword v41, off, s[0:3], s33 offset:48 ; 4-byte Folded Spill
	;; [unrolled: 1-line block ×13, first 2 shown]
	buffer_store_dword v61, off, s[0:3], s33 ; 4-byte Folded Spill
	v_writelane_b32 v63, s34, 0
	v_writelane_b32 v63, s35, 1
	;; [unrolled: 1-line block ×34, first 2 shown]
	buffer_store_dword v31, off, s[0:3], s33 offset:320 ; 4-byte Folded Spill
	buffer_store_dword v1, off, s[0:3], s33 offset:308 ; 4-byte Folded Spill
	s_trap 2
	flat_load_dword v1, v[2:3]
	ds_read_b32 v4, v0
	v_mov_b32_e32 v41, v0
                                        ; implicit-def: $vgpr14_vgpr15
                                        ; implicit-def: $vgpr5_vgpr6
                                        ; kill: killed $vgpr5_vgpr6
                                        ; implicit-def: $vgpr42_vgpr43
	s_waitcnt lgkmcnt(0)
	v_readfirstlane_b32 s66, v4
	s_waitcnt vmcnt(0)
	v_cmp_ne_u32_sdwa s[4:5], v4, v1 src0_sel:DWORD src1_sel:BYTE_0
	s_and_saveexec_b64 s[6:7], s[4:5]
	s_xor_b64 s[4:5], exec, s[6:7]
	s_cbranch_execz .LBB4_6
; %bb.1:
	v_not_b32_sdwa v0, v1 dst_sel:DWORD dst_unused:UNUSED_PAD src0_sel:BYTE_0
	v_cmp_ne_u32_sdwa s[6:7], v4, v1 src0_sel:DWORD src1_sel:BYTE_1
                                        ; implicit-def: $vgpr14_vgpr15
                                        ; implicit-def: $vgpr5_vgpr6
                                        ; kill: killed $vgpr5_vgpr6
                                        ; implicit-def: $vgpr42_vgpr43
	s_and_saveexec_b64 s[10:11], s[6:7]
	s_xor_b64 s[6:7], exec, s[10:11]
	s_cbranch_execz .LBB4_3
; %bb.2:
	flat_load_dwordx4 v[5:8], v[2:3] offset:72
	flat_load_dwordx2 v[9:10], v[2:3] offset:96
	v_add_u32_e32 v0, v4, v0
	v_ashrrev_i32_e32 v1, 31, v0
	s_waitcnt vmcnt(0) lgkmcnt(0)
	v_mul_lo_u32 v1, v7, v1
	v_mad_u64_u32 v[4:5], s[10:11], v7, v0, v[5:6]
	v_mul_lo_u32 v0, v8, v0
	v_mov_b32_e32 v43, v8
	v_lshrrev_b64 v[14:15], 12, v[9:10]
	v_mov_b32_e32 v42, v7
	v_add3_u32 v5, v0, v5, v1
	buffer_store_dword v4, off, s[0:3], s33 offset:276 ; 4-byte Folded Spill
	s_nop 0
	buffer_store_dword v5, off, s[0:3], s33 offset:280 ; 4-byte Folded Spill
                                        ; implicit-def: $vgpr1
                                        ; implicit-def: $vgpr0
.LBB4_3:
	s_andn2_saveexec_b64 s[6:7], s[6:7]
	s_cbranch_execz .LBB4_5
; %bb.4:
	flat_load_dwordx4 v[4:7], v[2:3] offset:72
	flat_load_dwordx4 v[42:45], v[2:3] offset:88
	v_add_u32_sdwa v0, v1, v0 dst_sel:DWORD dst_unused:UNUSED_PAD src0_sel:BYTE_1 src1_sel:DWORD
	v_ashrrev_i32_e32 v1, 31, v0
	s_waitcnt vmcnt(0) lgkmcnt(0)
	v_mul_lo_u32 v1, v6, v1
	v_mad_u64_u32 v[4:5], s[10:11], v6, v0, v[4:5]
	v_mul_lo_u32 v0, v7, v0
	v_lshrrev_b32_e32 v14, 1, v45
	v_add3_u32 v5, v0, v5, v1
	buffer_store_dword v4, off, s[0:3], s33 offset:276 ; 4-byte Folded Spill
	s_nop 0
	buffer_store_dword v5, off, s[0:3], s33 offset:280 ; 4-byte Folded Spill
.LBB4_5:
	s_or_b64 exec, exec, s[6:7]
.LBB4_6:
	s_andn2_saveexec_b64 s[4:5], s[4:5]
	s_cbranch_execz .LBB4_8
; %bb.7:
	flat_load_dwordx2 v[0:1], v[2:3] offset:96
	flat_load_dwordx2 v[42:43], v[2:3] offset:72
	s_waitcnt vmcnt(0) lgkmcnt(0)
	v_lshlrev_b64 v[14:15], 9, v[0:1]
	v_mov_b32_e32 v0, 0
	v_mov_b32_e32 v1, 0
	buffer_store_dword v0, off, s[0:3], s33 offset:276 ; 4-byte Folded Spill
	s_nop 0
	buffer_store_dword v1, off, s[0:3], s33 offset:280 ; 4-byte Folded Spill
.LBB4_8:
	s_or_b64 exec, exec, s[4:5]
	s_trap 2
	buffer_load_dword v5, off, s[0:3], s33 offset:308 ; 4-byte Folded Reload
	ds_read_b64 v[0:1], v0
	s_waitcnt lgkmcnt(0)
	v_cmp_ne_u32_e32 vcc, -1, v0
	v_cndmask_b32_e64 v0, 0, 1, vcc
	v_cmp_ne_u32_e32 vcc, -1, v1
	v_addc_co_u32_e64 v1, s[4:5], 0, v0, vcc
	v_lshlrev_b32_e32 v4, 1, v1
	s_waitcnt vmcnt(0)
	v_cmp_le_u32_e64 s[4:5], v4, v5
	s_and_saveexec_b64 s[6:7], s[4:5]
	s_xor_b64 s[28:29], exec, s[6:7]
	s_cbranch_execnz .LBB4_9
; %bb.6922:
	s_getpc_b64 s[98:99]
.Lpost_getpc5:
	s_add_u32 s98, s98, (.LBB4_6919-.Lpost_getpc5)&4294967295
	s_addc_u32 s99, s99, (.LBB4_6919-.Lpost_getpc5)>>32
	s_setpc_b64 s[98:99]
.LBB4_9:
	flat_load_dwordx4 v[10:13], v[2:3] offset:16
	flat_load_dwordx2 v[15:16], v[2:3] offset:104
	flat_load_ushort v7, v[2:3] offset:8
	flat_load_dword v6, v[2:3] offset:4
	s_trap 2
	s_load_dword s4, s[8:9], 0x0
	v_mov_b32_e32 v4, 0
	s_waitcnt lgkmcnt(0)
	s_cmp_lt_u32 s12, s4
	s_cselect_b32 s4, 12, 18
	s_add_u32 s4, s8, s4
	s_addc_u32 s5, s9, 0
	global_load_ushort v4, v4, s[4:5]
	v_cmp_ge_i32_e64 s[4:5], v41, v0
	s_waitcnt vmcnt(0)
	buffer_store_dword v4, off, s[0:3], s33 offset:324 ; 4-byte Folded Spill
	ds_read_b32 v4, v0
	s_waitcnt lgkmcnt(0)
	v_readfirstlane_b32 s24, v4
	v_mov_b32_e32 v4, 4
	s_and_saveexec_b64 s[6:7], s[4:5]
	s_cbranch_execz .LBB4_19
; %bb.10:
	v_cmp_ge_u32_e64 s[4:5], v41, v1
                                        ; implicit-def: $vgpr4
	s_and_saveexec_b64 s[10:11], s[4:5]
	s_xor_b64 s[4:5], exec, s[10:11]
	s_cbranch_execz .LBB4_16
; %bb.11:
	buffer_load_dword v5, off, s[0:3], s33 offset:308 ; 4-byte Folded Reload
	v_cndmask_b32_e64 v4, 0, 1, vcc
	s_waitcnt vmcnt(0)
	v_sub_u32_e32 v4, v5, v4
	v_cmp_ge_u32_e32 vcc, v41, v4
	s_and_saveexec_b64 s[10:11], vcc
	s_xor_b64 s[10:11], exec, s[10:11]
; %bb.12:
                                        ; implicit-def: $vgpr1
; %bb.13:
	s_or_saveexec_b64 s[10:11], s[10:11]
	v_mov_b32_e32 v4, 16
	s_xor_b64 exec, exec, s[10:11]
	s_cbranch_execz .LBB4_15
; %bb.14:
	buffer_load_dword v4, off, s[0:3], s33 offset:308 ; 4-byte Folded Reload
	s_waitcnt vmcnt(0)
	v_sub_u32_e32 v1, v4, v1
	v_cmp_lt_i32_e32 vcc, v41, v1
	v_cndmask_b32_e64 v4, 32, 0, vcc
.LBB4_15:
	s_or_b64 exec, exec, s[10:11]
.LBB4_16:
	s_andn2_saveexec_b64 s[4:5], s[4:5]
; %bb.17:
	v_mov_b32_e32 v4, 8
; %bb.18:
	s_or_b64 exec, exec, s[4:5]
.LBB4_19:
	s_or_b64 exec, exec, s[6:7]
	v_and_b32_e32 v1, 36, v4
	v_cmp_ne_u32_e32 vcc, 0, v1
	v_mov_b32_e32 v8, -1
	s_and_saveexec_b64 s[4:5], vcc
	s_cbranch_execz .LBB4_21
; %bb.20:
	s_trap 2
	ds_read_b32 v8, v0
.LBB4_21:
	s_or_b64 exec, exec, s[4:5]
	v_and_b32_e32 v1, 24, v4
	v_cmp_ne_u32_e64 s[4:5], 0, v1
	s_and_saveexec_b64 s[6:7], s[4:5]
	s_cbranch_execz .LBB4_23
; %bb.22:
	s_trap 2
	s_waitcnt lgkmcnt(0)
	ds_read_b32 v8, v0
.LBB4_23:
	s_or_b64 exec, exec, s[6:7]
	v_lshrrev_b64 v[5:6], 31, v[6:7]
	v_mov_b32_e32 v6, 0
	v_mov_b32_e32 v7, 0
	buffer_store_dword v6, off, s[0:3], s33 offset:312 ; 4-byte Folded Spill
	s_nop 0
	buffer_store_dword v7, off, s[0:3], s33 offset:316 ; 4-byte Folded Spill
	v_mov_b32_e32 v6, 0
	v_mov_b32_e32 v7, 0
	buffer_store_dword v6, off, s[0:3], s33 offset:84 ; 4-byte Folded Spill
	s_nop 0
	buffer_store_dword v7, off, s[0:3], s33 offset:88 ; 4-byte Folded Spill
	s_waitcnt lgkmcnt(0)
	buffer_store_dword v8, off, s[0:3], s33 offset:92 ; 4-byte Folded Spill
	buffer_store_dword v9, off, s[0:3], s33 offset:96 ; 4-byte Folded Spill
	v_and_b32_e32 v1, 3, v5
                                        ; implicit-def: $vgpr5_vgpr6
                                        ; kill: killed $vgpr5_vgpr6
                                        ; implicit-def: $vgpr5
                                        ; kill: killed $vgpr5
                                        ; implicit-def: $vgpr5_vgpr6
                                        ; kill: killed $vgpr5_vgpr6
                                        ; implicit-def: $vgpr5_vgpr6
                                        ; kill: killed $vgpr5_vgpr6
                                        ; implicit-def: $vgpr48_vgpr49
                                        ; implicit-def: $vgpr32_vgpr33
	s_and_saveexec_b64 s[4:5], vcc
	s_cbranch_execz .LBB4_33
; %bb.24:
	s_trap 2
	ds_read_b64 v[5:6], v0
	v_ashrrev_i32_e32 v9, 31, v8
	v_lshlrev_b64 v[17:18], 3, v[8:9]
	v_and_b32_e32 v7, 0xffff, v1
	s_movk_i32 s6, 0xa8
	s_waitcnt lgkmcnt(0)
	v_add_co_u32_e32 v5, vcc, v5, v17
	v_addc_co_u32_e32 v6, vcc, v6, v18, vcc
	flat_load_dwordx2 v[5:6], v[5:6]
	s_waitcnt vmcnt(0) lgkmcnt(0)
	v_mad_u64_u32 v[17:18], s[6:7], v7, s6, v[5:6]
	flat_load_dword v5, v[17:18] offset:640
	s_waitcnt vmcnt(0) lgkmcnt(0)
	v_cmp_eq_u32_e32 vcc, 1, v5
                                        ; implicit-def: $vgpr5_vgpr6
                                        ; kill: killed $vgpr5_vgpr6
	s_and_saveexec_b64 s[6:7], vcc
	s_cbranch_execz .LBB4_26
; %bb.25:
	flat_load_dwordx2 v[19:20], v[17:18] offset:648
	v_or_b32_e32 v4, 0x2000, v4
	s_waitcnt vmcnt(0) lgkmcnt(0)
	flat_load_dwordx2 v[5:6], v[19:20]
	s_trap 2
	s_waitcnt vmcnt(0) lgkmcnt(0)
	ds_write_b64 v0, v[5:6]
	flat_load_dwordx2 v[5:6], v[19:20] offset:8
	s_waitcnt vmcnt(0) lgkmcnt(0)
	ds_write_b64 v0, v[5:6]
	buffer_store_dword v19, off, s[0:3], s33 offset:328 ; 4-byte Folded Spill
	s_nop 0
	buffer_store_dword v20, off, s[0:3], s33 offset:332 ; 4-byte Folded Spill
	flat_load_dwordx2 v[5:6], v[19:20] offset:16
	s_waitcnt vmcnt(0) lgkmcnt(0)
	ds_write_b64 v0, v[5:6]
.LBB4_26:
	s_or_b64 exec, exec, s[6:7]
	flat_load_dwordx2 v[5:6], v[17:18] offset:608
	v_and_b32_e32 v7, 32, v4
                                        ; implicit-def: $vgpr32_vgpr33
	s_waitcnt vmcnt(0) lgkmcnt(0)
	v_add_co_u32_e32 v5, vcc, 3, v5
	v_addc_co_u32_e32 v6, vcc, 0, v6, vcc
	v_and_b32_e32 v5, -4, v5
	v_cmp_ne_u32_e32 vcc, 0, v7
	buffer_store_dword v5, off, s[0:3], s33 offset:56 ; 4-byte Folded Spill
	s_nop 0
	buffer_store_dword v6, off, s[0:3], s33 offset:60 ; 4-byte Folded Spill
	s_and_saveexec_b64 s[6:7], vcc
	s_cbranch_execz .LBB4_28
; %bb.27:
	flat_load_dwordx2 v[32:33], v[17:18] offset:560
	buffer_load_dword v5, off, s[0:3], s33 offset:56 ; 4-byte Folded Reload
	buffer_load_dword v6, off, s[0:3], s33 offset:60 ; 4-byte Folded Reload
	s_waitcnt vmcnt(0) lgkmcnt(0)
	flat_store_dwordx2 v[32:33], v[5:6]
.LBB4_28:
	s_or_b64 exec, exec, s[6:7]
	v_add_co_u32_e32 v5, vcc, 0x1f8, v17
	v_addc_co_u32_e32 v6, vcc, 0, v18, vcc
	buffer_store_dword v5, off, s[0:3], s33 offset:312 ; 4-byte Folded Spill
	s_nop 0
	buffer_store_dword v6, off, s[0:3], s33 offset:316 ; 4-byte Folded Spill
	v_mov_b32_e32 v6, 0
	v_and_b32_e32 v5, 4, v4
	v_mov_b32_e32 v7, 0
	buffer_store_dword v6, off, s[0:3], s33 offset:84 ; 4-byte Folded Spill
	s_nop 0
	buffer_store_dword v7, off, s[0:3], s33 offset:88 ; 4-byte Folded Spill
	buffer_store_dword v8, off, s[0:3], s33 offset:92 ; 4-byte Folded Spill
	;; [unrolled: 1-line block ×3, first 2 shown]
	v_cmp_ne_u32_e32 vcc, 0, v5
                                        ; implicit-def: $vgpr5
                                        ; kill: killed $vgpr5
                                        ; implicit-def: $vgpr5_vgpr6
                                        ; kill: killed $vgpr5_vgpr6
                                        ; implicit-def: $vgpr48_vgpr49
	s_and_saveexec_b64 s[6:7], vcc
	s_cbranch_execz .LBB4_32
; %bb.29:
	v_and_b32_e32 v5, 0x800, v4
	v_cmp_eq_u32_e32 vcc, 0, v5
	s_and_saveexec_b64 s[10:11], vcc
	s_cbranch_execz .LBB4_31
; %bb.30:
	s_trap 2
	buffer_load_dword v5, off, s[0:3], s33 offset:312 ; 4-byte Folded Reload
	buffer_load_dword v6, off, s[0:3], s33 offset:316 ; 4-byte Folded Reload
	s_waitcnt vmcnt(0)
	ds_write_b64 v0, v[5:6]
.LBB4_31:
	s_or_b64 exec, exec, s[10:11]
	flat_load_dwordx2 v[32:33], v[17:18] offset:552
	s_waitcnt vmcnt(0) lgkmcnt(0)
	flat_load_dwordx2 v[48:49], v[32:33] glc
	flat_load_dwordx2 v[19:20], v[17:18] offset:600
	flat_load_dword v5, v[17:18] offset:576
	s_waitcnt vmcnt(0) lgkmcnt(0)
	v_cmp_eq_u64_e32 vcc, 0, v[19:20]
	buffer_store_dword v5, off, s[0:3], s33 offset:116 ; 4-byte Folded Spill
	flat_load_dwordx2 v[5:6], v[17:18] offset:520
	s_waitcnt vmcnt(0) lgkmcnt(0)
	buffer_store_dword v5, off, s[0:3], s33 offset:76 ; 4-byte Folded Spill
	s_nop 0
	buffer_store_dword v6, off, s[0:3], s33 offset:80 ; 4-byte Folded Spill
	v_or_b32_e32 v5, 0x100, v4
	v_mov_b32_e32 v6, v19
	v_mov_b32_e32 v7, v20
	v_cndmask_b32_e32 v4, v5, v4, vcc
	buffer_store_dword v6, off, s[0:3], s33 offset:84 ; 4-byte Folded Spill
	s_nop 0
	buffer_store_dword v7, off, s[0:3], s33 offset:88 ; 4-byte Folded Spill
	buffer_store_dword v8, off, s[0:3], s33 offset:92 ; 4-byte Folded Spill
	;; [unrolled: 1-line block ×3, first 2 shown]
.LBB4_32:
	s_or_b64 exec, exec, s[6:7]
.LBB4_33:
	s_or_b64 exec, exec, s[4:5]
	v_and_b32_e32 v5, 24, v4
	v_cmp_ne_u32_e32 vcc, 0, v5
                                        ; implicit-def: $vgpr5_vgpr6
                                        ; kill: killed $vgpr5_vgpr6
	s_and_saveexec_b64 s[4:5], vcc
	s_cbranch_execz .LBB4_41
; %bb.34:
	s_trap 2
	ds_read_b64 v[5:6], v0
	v_ashrrev_i32_e32 v9, 31, v8
	v_lshlrev_b64 v[7:8], 3, v[8:9]
	v_and_b32_e32 v1, 0xffff, v1
	s_movk_i32 s6, 0xa8
	s_waitcnt lgkmcnt(0)
	v_add_co_u32_e32 v5, vcc, v5, v7
	v_addc_co_u32_e32 v6, vcc, v6, v8, vcc
	flat_load_dwordx2 v[5:6], v[5:6]
	s_waitcnt vmcnt(0) lgkmcnt(0)
	v_mad_u64_u32 v[5:6], s[6:7], v1, s6, v[5:6]
	buffer_store_dword v5, off, s[0:3], s33 offset:312 ; 4-byte Folded Spill
	s_nop 0
	buffer_store_dword v6, off, s[0:3], s33 offset:316 ; 4-byte Folded Spill
	v_or_b32_e32 v1, 0x100, v4
	flat_load_dwordx4 v[5:8], v[5:6] offset:96
	s_waitcnt vmcnt(0) lgkmcnt(0)
	buffer_store_dword v5, off, s[0:3], s33 offset:84 ; 4-byte Folded Spill
	s_nop 0
	buffer_store_dword v6, off, s[0:3], s33 offset:88 ; 4-byte Folded Spill
	buffer_store_dword v7, off, s[0:3], s33 offset:92 ; 4-byte Folded Spill
	;; [unrolled: 1-line block ×3, first 2 shown]
	v_cmp_eq_u64_e32 vcc, 0, v[5:6]
                                        ; implicit-def: $vgpr5_vgpr6
                                        ; kill: killed $vgpr5_vgpr6
	v_cndmask_b32_e32 v4, v1, v4, vcc
	v_and_b32_e32 v1, 16, v4
	v_cmp_ne_u32_e32 vcc, 0, v1
	s_and_saveexec_b64 s[6:7], vcc
	s_cbranch_execz .LBB4_36
; %bb.35:
	buffer_load_dword v5, off, s[0:3], s33 offset:312 ; 4-byte Folded Reload
	buffer_load_dword v6, off, s[0:3], s33 offset:316 ; 4-byte Folded Reload
	s_waitcnt vmcnt(0)
	flat_load_dwordx2 v[32:33], v[5:6] offset:48
	flat_load_dwordx2 v[7:8], v[5:6] offset:120
	s_waitcnt vmcnt(0) lgkmcnt(0)
	buffer_store_dword v7, off, s[0:3], s33 offset:100 ; 4-byte Folded Spill
	s_nop 0
	buffer_store_dword v8, off, s[0:3], s33 offset:104 ; 4-byte Folded Spill
	flat_load_dwordx2 v[5:6], v[5:6] offset:16
	s_waitcnt vmcnt(0) lgkmcnt(0)
	buffer_store_dword v5, off, s[0:3], s33 offset:76 ; 4-byte Folded Spill
	s_nop 0
	buffer_store_dword v6, off, s[0:3], s33 offset:80 ; 4-byte Folded Spill
.LBB4_36:
	s_or_b64 exec, exec, s[6:7]
	buffer_load_dword v5, off, s[0:3], s33 offset:84 ; 4-byte Folded Reload
	buffer_load_dword v6, off, s[0:3], s33 offset:88 ; 4-byte Folded Reload
	;; [unrolled: 1-line block ×4, first 2 shown]
	s_waitcnt vmcnt(1)
	v_add_co_u32_e32 v1, vcc, 3, v7
	s_waitcnt vmcnt(0)
	v_addc_co_u32_e32 v6, vcc, 0, v8, vcc
	v_and_b32_e32 v5, -4, v1
	v_and_b32_e32 v1, 8, v4
	v_cmp_ne_u32_e32 vcc, 0, v1
	buffer_store_dword v5, off, s[0:3], s33 offset:56 ; 4-byte Folded Spill
	s_nop 0
	buffer_store_dword v6, off, s[0:3], s33 offset:60 ; 4-byte Folded Spill
	s_and_saveexec_b64 s[6:7], vcc
	s_cbranch_execz .LBB4_40
; %bb.37:
	v_and_b32_e32 v1, 0x800, v4
	v_cmp_eq_u32_e32 vcc, 0, v1
	s_and_saveexec_b64 s[10:11], vcc
	s_cbranch_execz .LBB4_39
; %bb.38:
	s_trap 2
	buffer_load_dword v5, off, s[0:3], s33 offset:312 ; 4-byte Folded Reload
	buffer_load_dword v6, off, s[0:3], s33 offset:316 ; 4-byte Folded Reload
	s_waitcnt vmcnt(0)
	ds_write_b64 v0, v[5:6]
.LBB4_39:
	s_or_b64 exec, exec, s[10:11]
	buffer_load_dword v5, off, s[0:3], s33 offset:312 ; 4-byte Folded Reload
	buffer_load_dword v6, off, s[0:3], s33 offset:316 ; 4-byte Folded Reload
	s_waitcnt vmcnt(0)
	flat_load_dwordx2 v[32:33], v[5:6] offset:56
	s_waitcnt vmcnt(0) lgkmcnt(0)
	flat_load_dwordx2 v[48:49], v[32:33] glc
	flat_load_dword v1, v[5:6] offset:72
	s_nop 0
	flat_load_dwordx2 v[5:6], v[5:6] offset:16
	s_waitcnt vmcnt(0) lgkmcnt(0)
	buffer_store_dword v1, off, s[0:3], s33 offset:116 ; 4-byte Folded Spill
	buffer_store_dword v5, off, s[0:3], s33 offset:76 ; 4-byte Folded Spill
	s_nop 0
	buffer_store_dword v6, off, s[0:3], s33 offset:80 ; 4-byte Folded Spill
.LBB4_40:
	s_or_b64 exec, exec, s[6:7]
.LBB4_41:
	s_or_b64 exec, exec, s[4:5]
	v_cmp_eq_u32_e64 s[4:5], 0, v41
	s_and_saveexec_b64 s[6:7], s[4:5]
	s_cbranch_execz .LBB4_43
; %bb.42:
	flat_load_dwordx2 v[5:6], v[2:3] offset:32
	v_mov_b32_e32 v7, v12
	v_mov_b32_e32 v8, v13
	;; [unrolled: 1-line block ×4, first 2 shown]
	ds_write2_b64 v0, v[7:8], v[9:10] offset1:1
	s_trap 2
	s_waitcnt vmcnt(0) lgkmcnt(0)
	ds_write_b64 v0, v[5:6]
	ds_write_b64 v0, v[15:16]
.LBB4_43:
	s_or_b64 exec, exec, s[6:7]
	v_mov_b32_e32 v38, 0
	v_mov_b32_e32 v39, 0
	v_cmp_lt_i64_e32 vcc, 0, v[42:43]
	s_mov_b64 s[6:7], exec
                                        ; implicit-def: $vgpr62 : SGPR spill to VGPR lane
	v_writelane_b32 v62, s6, 0
	v_writelane_b32 v62, s7, 1
	s_and_b64 s[6:7], s[6:7], vcc
	s_mov_b64 exec, s[6:7]
	s_cbranch_execnz .LBB4_44
; %bb.6924:
	s_getpc_b64 s[98:99]
.Lpost_getpc6:
	s_add_u32 s98, s98, (.LBB4_6885-.Lpost_getpc6)&4294967295
	s_addc_u32 s99, s99, (.LBB4_6885-.Lpost_getpc6)>>32
	s_setpc_b64 s[98:99]
.LBB4_44:
	buffer_load_dword v7, off, s[0:3], s33 offset:308 ; 4-byte Folded Reload
	buffer_load_dword v1, off, s[0:3], s33 offset:320 ; 4-byte Folded Reload
	;; [unrolled: 1-line block ×3, first 2 shown]
	flat_load_dword v5, v[2:3] offset:4
	v_and_b32_e32 v2, 0x3ffffe00, v14
	s_ashr_i32 s67, s66, 31
	s_add_u32 s81, s66, -1
	s_addc_u32 s82, s67, -1
	s_add_i32 s83, s66, s66
	s_not_b32 s21, s66
	s_movk_i32 s20, 0x400
	s_cmp_gt_i32 s66, 0
	s_cselect_b32 s21, s21, -1
	s_ashr_i32 s22, s24, 31
	s_add_i32 s84, s21, s83
	s_lshr_b32 s25, s22, 25
	v_mov_b32_e32 v3, 0
	s_add_i32 s24, s24, s25
	s_ashr_i32 s85, s84, 31
	s_ashr_i32 s86, s24, 7
	s_cmp_gt_i32 s66, 2
	s_cselect_b64 s[74:75], -1, 0
	s_add_i32 s26, s66, 1
	v_writelane_b32 v62, s28, 2
	s_mov_b32 s56, -1
	v_mov_b32_e32 v38, 0
	v_mov_b32_e32 v14, 0
	v_writelane_b32 v62, s29, 3
	s_mov_b32 s57, 0xffffff
	s_movk_i32 s68, 0xffc0
	s_mov_b64 s[60:61], 0
	v_mov_b32_e32 v39, 0
	s_movk_i32 s69, 0x108
	s_movk_i32 s70, 0x80
	;; [unrolled: 1-line block ×3, first 2 shown]
	s_mov_b64 s[62:63], 0x7f800000
	s_mov_b64 s[72:73], 0x43e00001
	s_movk_i32 s80, 0x7a
	v_mov_b32_e32 v15, 0
	s_mov_b64 s[88:89], 0xffffff
	s_waitcnt vmcnt(0)
	v_cmp_ge_i32_e32 vcc, v41, v7
	v_cmp_eq_u32_e64 s[6:7], 64, v7
	v_ashrrev_i32_e32 v6, 31, v6
	buffer_store_dword v6, off, s[0:3], s33 offset:136 ; 4-byte Folded Spill
	s_trap 2
	buffer_load_dword v6, off, s[0:3], s33 offset:324 ; 4-byte Folded Reload
	v_cmp_ne_u32_e64 s[10:11], 64, v7
	v_lshrrev_b32_e32 v29, 6, v7
	v_and_b32_e32 v47, 0x3fc0, v7
	v_and_b32_e32 v1, 63, v1
	v_lshlrev_b32_e32 v9, 11, v29
	s_waitcnt vmcnt(0)
	v_cmp_ne_u32_sdwa s[58:59], v7, v6 src0_sel:DWORD src1_sel:WORD_0
	buffer_load_dword v7, off, s[0:3], s33 offset:100 ; 4-byte Folded Reload
	buffer_load_dword v8, off, s[0:3], s33 offset:104 ; 4-byte Folded Reload
	v_ashrrev_i32_e32 v6, 31, v41
	buffer_store_dword v9, off, s[0:3], s33 offset:72 ; 4-byte Folded Spill
	v_subrev_u32_e32 v9, 64, v47
	buffer_store_dword v9, off, s[0:3], s33 offset:120 ; 4-byte Folded Spill
	s_waitcnt vmcnt(0)
	v_cmp_eq_u64_e64 s[12:13], 0, v[7:8]
	v_cmp_ne_u64_e64 s[14:15], 0, v[7:8]
	v_mad_i64_i32 v[7:8], s[16:17], v2, s66, 0
	v_cmp_eq_u32_e64 s[16:17], 0, v1
	v_lshrrev_b32_e32 v1, 26, v6
	v_lshlrev_b32_e32 v6, 12, v29
	buffer_store_dword v6, off, s[0:3], s33 offset:236 ; 4-byte Folded Spill
	v_lshlrev_b32_e32 v6, 10, v29
	v_add_u32_e32 v1, v41, v1
	buffer_store_dword v6, off, s[0:3], s33 offset:68 ; 4-byte Folded Spill
	v_add_u32_e32 v10, 0xfffffc00, v6
	v_ashrrev_i32_e32 v6, 31, v9
	v_ashrrev_i32_e32 v11, 6, v1
	v_and_b32_e32 v1, 0xffffffc0, v1
	v_add_co_u32_e64 v9, s[18:19], 64, v9
	buffer_store_dword v9, off, s[0:3], s33 offset:128 ; 4-byte Folded Spill
	buffer_store_dword v6, off, s[0:3], s33 offset:124 ; 4-byte Folded Spill
	v_addc_co_u32_e64 v6, s[18:19], 0, v6, s[18:19]
	v_sub_u32_e32 v9, v41, v1
	v_lshlrev_b32_e32 v1, 12, v11
	v_ashrrev_i32_e32 v12, 31, v10
	buffer_store_dword v10, off, s[0:3], s33 offset:140 ; 4-byte Folded Spill
	v_add_co_u32_e64 v10, s[18:19], s20, v10
	v_lshl_add_u32 v1, v9, 4, v1
	buffer_store_dword v6, off, s[0:3], s33 offset:132 ; 4-byte Folded Spill
	buffer_store_dword v11, off, s[0:3], s33 offset:112 ; 4-byte Folded Spill
	v_lshlrev_b32_e32 v6, 11, v11
	buffer_store_dword v10, off, s[0:3], s33 offset:148 ; 4-byte Folded Spill
	buffer_store_dword v12, off, s[0:3], s33 offset:144 ; 4-byte Folded Spill
	v_addc_co_u32_e64 v10, s[18:19], 0, v12, s[18:19]
	v_cmp_lt_i32_e64 s[20:21], v9, v0
	v_cmp_le_i32_e64 s[22:23], v9, v0
	v_ashrrev_i32_e32 v0, 31, v1
	buffer_store_dword v10, off, s[0:3], s33 offset:152 ; 4-byte Folded Spill
	buffer_store_dword v9, off, s[0:3], s33 offset:196 ; 4-byte Folded Spill
	;; [unrolled: 1-line block ×4, first 2 shown]
	v_sub_u32_e32 v0, v1, v6
	buffer_store_dword v0, off, s[0:3], s33 offset:228 ; 4-byte Folded Spill
	v_ashrrev_i32_e32 v0, 31, v0
	buffer_store_dword v0, off, s[0:3], s33 offset:232 ; 4-byte Folded Spill
	buffer_store_dword v2, off, s[0:3], s33 offset:220 ; 4-byte Folded Spill
	s_nop 0
	buffer_store_dword v3, off, s[0:3], s33 offset:224 ; 4-byte Folded Spill
	buffer_store_dword v41, off, s[0:3], s33 offset:172 ; 4-byte Folded Spill
	s_waitcnt lgkmcnt(0)
	v_and_b32_e32 v0, 1, v5
	v_cmp_eq_u32_e64 s[24:25], 1, v0
	s_xor_b64 s[76:77], s[24:25], -1
	s_cmp_ge_i32 s26, s66
	s_cselect_b32 s27, s66, 0
	v_mov_b32_e32 v5, v7
	s_sub_i32 s96, s26, s27
	v_mov_b32_e32 v1, v42
	v_cmp_gt_i32_e64 s[18:19], 1, v9
	v_mov_b32_e32 v6, v8
	s_add_i32 s87, s66, -2
	s_xor_b64 s[78:79], vcc, -1
	s_ashr_i32 s97, s96, 31
	v_bfrev_b32_e32 v0, 60
	v_mov_b32_e32 v2, v43
	buffer_store_dword v1, off, s[0:3], s33 offset:284 ; 4-byte Folded Spill
	s_nop 0
	buffer_store_dword v2, off, s[0:3], s33 offset:288 ; 4-byte Folded Spill
	buffer_store_dword v3, off, s[0:3], s33 offset:292 ; 4-byte Folded Spill
	;; [unrolled: 1-line block ×6, first 2 shown]
	s_nop 0
	buffer_store_dword v6, off, s[0:3], s33 offset:304 ; 4-byte Folded Spill
	s_branch .LBB4_47
.LBB4_45:                               ;   in Loop: Header=BB4_47 Depth=1
	s_or_b64 exec, exec, s[40:41]
.LBB4_46:                               ;   in Loop: Header=BB4_47 Depth=1
	s_or_b64 exec, exec, s[28:29]
	buffer_load_dword v14, off, s[0:3], s33 offset:256 ; 4-byte Folded Reload
	buffer_load_dword v15, off, s[0:3], s33 offset:260 ; 4-byte Folded Reload
	;; [unrolled: 1-line block ×4, first 2 shown]
	s_waitcnt vmcnt(0)
	v_add_co_u32_e32 v14, vcc, v14, v5
	v_addc_co_u32_e32 v15, vcc, v15, v6, vcc
	v_cmp_ge_i64_e32 vcc, v[14:15], v[42:43]
	s_or_b64 s[60:61], vcc, s[60:61]
	s_andn2_b64 exec, exec, s[60:61]
	s_cbranch_execnz .LBB4_47
; %bb.6926:
	s_getpc_b64 s[98:99]
.Lpost_getpc7:
	s_add_u32 s98, s98, (.LBB4_6884-.Lpost_getpc7)&4294967295
	s_addc_u32 s99, s99, (.LBB4_6884-.Lpost_getpc7)>>32
	s_setpc_b64 s[98:99]
.LBB4_47:                               ; =>This Loop Header: Depth=1
                                        ;     Child Loop BB4_57 Depth 2
                                        ;       Child Loop BB4_65 Depth 3
                                        ;       Child Loop BB4_89 Depth 3
	;; [unrolled: 1-line block ×9, first 2 shown]
                                        ;     Child Loop BB4_199 Depth 2
                                        ;       Child Loop BB4_205 Depth 3
                                        ;       Child Loop BB4_229 Depth 3
	;; [unrolled: 1-line block ×3, first 2 shown]
                                        ;     Child Loop BB4_271 Depth 2
                                        ;       Child Loop BB4_274 Depth 3
                                        ;         Child Loop BB4_282 Depth 4
                                        ;         Child Loop BB4_310 Depth 4
	;; [unrolled: 1-line block ×9, first 2 shown]
                                        ;       Child Loop BB4_2308 Depth 3
                                        ;         Child Loop BB4_2314 Depth 4
                                        ;         Child Loop BB4_2342 Depth 4
	;; [unrolled: 1-line block ×3, first 2 shown]
                                        ;     Child Loop BB4_2384 Depth 2
                                        ;       Child Loop BB4_2392 Depth 3
                                        ;       Child Loop BB4_2420 Depth 3
                                        ;       Child Loop BB4_2439 Depth 3
                                        ;       Child Loop BB4_4388 Depth 3
                                        ;       Child Loop BB4_5289 Depth 3
                                        ;       Child Loop BB4_5745 Depth 3
                                        ;       Child Loop BB4_6262 Depth 3
                                        ;       Child Loop BB4_2468 Depth 3
                                        ;       Child Loop BB4_3368 Depth 3
                                        ;         Child Loop BB4_3797 Depth 4
                                        ;       Child Loop BB4_3827 Depth 3
                                        ;       Child Loop BB4_4343 Depth 3
                                        ;         Child Loop BB4_4376 Depth 4
                                        ;       Child Loop BB4_6303 Depth 3
                                        ;       Child Loop BB4_6322 Depth 3
                                        ;     Child Loop BB4_6341 Depth 2
                                        ;       Child Loop BB4_6347 Depth 3
                                        ;       Child Loop BB4_6375 Depth 3
	;; [unrolled: 1-line block ×3, first 2 shown]
                                        ;     Child Loop BB4_6416 Depth 2
                                        ;       Child Loop BB4_6419 Depth 3
                                        ;         Child Loop BB4_6427 Depth 4
                                        ;         Child Loop BB4_6455 Depth 4
	;; [unrolled: 1-line block ×9, first 2 shown]
                                        ;           Child Loop BB4_6509 Depth 5
                                        ;         Child Loop BB4_6518 Depth 4
                                        ;         Child Loop BB4_6523 Depth 4
                                        ;           Child Loop BB4_6524 Depth 5
                                        ;         Child Loop BB4_6562 Depth 4
                                        ;         Child Loop BB4_6581 Depth 4
                                        ;       Child Loop BB4_6599 Depth 3
                                        ;         Child Loop BB4_6605 Depth 4
                                        ;         Child Loop BB4_6633 Depth 4
	;; [unrolled: 1-line block ×3, first 2 shown]
                                        ;     Child Loop BB4_6678 Depth 2
                                        ;       Child Loop BB4_6686 Depth 3
                                        ;       Child Loop BB4_6710 Depth 3
                                        ;       Child Loop BB4_6729 Depth 3
                                        ;       Child Loop BB4_6755 Depth 3
                                        ;       Child Loop BB4_6760 Depth 3
                                        ;       Child Loop BB4_6768 Depth 3
                                        ;       Child Loop BB4_6773 Depth 3
                                        ;       Child Loop BB4_6782 Depth 3
                                        ;       Child Loop BB4_6801 Depth 3
                                        ;     Child Loop BB4_6818 Depth 2
                                        ;       Child Loop BB4_6824 Depth 3
                                        ;       Child Loop BB4_6848 Depth 3
	;; [unrolled: 1-line block ×3, first 2 shown]
	v_sub_co_u32_e32 v1, vcc, v42, v14
	v_subb_co_u32_e32 v2, vcc, v43, v15, vcc
	buffer_store_dword v1, off, s[0:3], s33 offset:212 ; 4-byte Folded Spill
	s_nop 0
	buffer_store_dword v2, off, s[0:3], s33 offset:216 ; 4-byte Folded Spill
	v_cmp_lt_i64_e32 vcc, v[1:2], v[5:6]
	s_and_saveexec_b64 s[28:29], vcc
	s_cbranch_execz .LBB4_53
; %bb.48:                               ;   in Loop: Header=BB4_47 Depth=1
	buffer_load_dword v5, off, s[0:3], s33 offset:212 ; 4-byte Folded Reload
	buffer_load_dword v6, off, s[0:3], s33 offset:216 ; 4-byte Folded Reload
	v_mov_b32_e32 v1, s82
                                        ; implicit-def: $vgpr8_vgpr9
	s_waitcnt vmcnt(0)
	v_add_co_u32_e32 v2, vcc, s81, v5
	s_waitcnt vmcnt(0)
	v_addc_co_u32_e32 v5, vcc, v1, v6, vcc
	v_or_b32_e32 v7, s67, v5
	v_mov_b32_e32 v6, v3
	v_cmp_ne_u64_e32 vcc, 0, v[6:7]
	s_and_saveexec_b64 s[26:27], vcc
	s_xor_b64 s[40:41], exec, s[26:27]
	s_cbranch_execz .LBB4_50
; %bb.49:                               ;   in Loop: Header=BB4_47 Depth=1
	s_ashr_i32 s42, s67, 31
	s_add_u32 s26, s66, s42
	s_mov_b32 s43, s42
	s_addc_u32 s27, s67, s42
	s_xor_b64 s[90:91], s[26:27], s[42:43]
	v_cvt_f32_u32_e32 v1, s90
	v_cvt_f32_u32_e32 v6, s91
	s_sub_u32 s43, 0, s90
	s_subb_u32 s44, 0, s91
	v_ashrrev_i32_e32 v7, 31, v5
	v_mac_f32_e32 v1, 0x4f800000, v6
	v_rcp_f32_e32 v1, v1
	v_mul_f32_e32 v1, 0x5f7ffffc, v1
	v_mul_f32_e32 v6, 0x2f800000, v1
	v_trunc_f32_e32 v6, v6
	v_mac_f32_e32 v1, 0xcf800000, v6
	v_cvt_u32_f32_e32 v6, v6
	v_cvt_u32_f32_e32 v1, v1
	v_readfirstlane_b32 s45, v6
	v_readfirstlane_b32 s26, v1
	s_mul_i32 s27, s43, s45
	s_mul_hi_u32 s47, s43, s26
	s_mul_i32 s46, s44, s26
	s_add_i32 s27, s47, s27
	s_add_i32 s27, s27, s46
	s_mul_i32 s92, s43, s26
	s_mul_i32 s47, s26, s27
	s_mul_hi_u32 s93, s26, s92
	s_mul_hi_u32 s46, s26, s27
	s_add_u32 s47, s93, s47
	s_addc_u32 s46, 0, s46
	s_mul_hi_u32 s94, s45, s92
	s_mul_i32 s92, s45, s92
	s_add_u32 s47, s47, s92
	s_mul_hi_u32 s93, s45, s27
	s_addc_u32 s46, s46, s94
	s_addc_u32 s47, s93, 0
	s_mul_i32 s27, s45, s27
	s_add_u32 s27, s46, s27
	s_addc_u32 s46, 0, s47
	s_add_u32 s47, s26, s27
	s_cselect_b64 s[26:27], -1, 0
	s_cmp_lg_u64 s[26:27], 0
	s_addc_u32 s45, s45, s46
	s_mul_i32 s26, s43, s45
	s_mul_hi_u32 s27, s43, s47
	s_add_i32 s26, s27, s26
	s_mul_i32 s44, s44, s47
	s_add_i32 s26, s26, s44
	s_mul_i32 s43, s43, s47
	s_mul_hi_u32 s44, s45, s43
	s_mul_i32 s46, s45, s43
	s_mul_i32 s93, s47, s26
	s_mul_hi_u32 s43, s47, s43
	s_mul_hi_u32 s92, s47, s26
	s_add_u32 s43, s43, s93
	s_addc_u32 s92, 0, s92
	s_add_u32 s43, s43, s46
	s_mul_hi_u32 s27, s45, s26
	s_addc_u32 s43, s92, s44
	s_addc_u32 s27, s27, 0
	s_mul_i32 s26, s45, s26
	s_add_u32 s26, s43, s26
	s_addc_u32 s43, 0, s27
	s_add_u32 s44, s47, s26
	s_cselect_b64 s[26:27], -1, 0
	s_cmp_lg_u64 s[26:27], 0
	v_add_co_u32_e32 v1, vcc, v2, v7
	s_addc_u32 s43, s45, s43
	v_xor_b32_e32 v8, v1, v7
	v_mad_u64_u32 v[1:2], s[26:27], v8, s43, 0
	v_mul_hi_u32 v6, v8, s44
	v_addc_co_u32_e32 v5, vcc, v5, v7, vcc
	v_xor_b32_e32 v9, v5, v7
	v_add_co_u32_e32 v10, vcc, v6, v1
	v_addc_co_u32_e32 v11, vcc, 0, v2, vcc
	v_mad_u64_u32 v[1:2], s[26:27], v9, s44, 0
	v_mad_u64_u32 v[5:6], s[26:27], v9, s43, 0
	v_add_co_u32_e32 v1, vcc, v10, v1
	v_addc_co_u32_e32 v1, vcc, v11, v2, vcc
	v_addc_co_u32_e32 v2, vcc, 0, v6, vcc
	v_add_co_u32_e32 v5, vcc, v1, v5
	v_addc_co_u32_e32 v6, vcc, 0, v2, vcc
	v_mul_lo_u32 v10, s91, v5
	v_mul_lo_u32 v11, s90, v6
	v_mad_u64_u32 v[1:2], s[26:27], s90, v5, 0
	v_add3_u32 v2, v2, v11, v10
	v_sub_u32_e32 v10, v9, v2
	v_mov_b32_e32 v11, s91
	v_sub_co_u32_e32 v1, vcc, v8, v1
	v_subb_co_u32_e64 v8, s[26:27], v10, v11, vcc
	v_subrev_co_u32_e64 v10, s[26:27], s90, v1
	v_subbrev_co_u32_e64 v8, s[26:27], 0, v8, s[26:27]
	v_cmp_le_u32_e64 s[26:27], s91, v8
	v_cndmask_b32_e64 v11, 0, -1, s[26:27]
	v_cmp_le_u32_e64 s[26:27], s90, v10
	v_cndmask_b32_e64 v10, 0, -1, s[26:27]
	v_cmp_eq_u32_e64 s[26:27], s91, v8
	v_cndmask_b32_e64 v8, v11, v10, s[26:27]
	v_add_co_u32_e64 v10, s[26:27], 2, v5
	v_subb_co_u32_e32 v2, vcc, v9, v2, vcc
	v_addc_co_u32_e64 v11, s[26:27], 0, v6, s[26:27]
	v_cmp_le_u32_e32 vcc, s91, v2
	v_add_co_u32_e64 v12, s[26:27], 1, v5
	v_cndmask_b32_e64 v9, 0, -1, vcc
	v_cmp_le_u32_e32 vcc, s90, v1
	v_addc_co_u32_e64 v13, s[26:27], 0, v6, s[26:27]
	v_cndmask_b32_e64 v1, 0, -1, vcc
	v_cmp_eq_u32_e32 vcc, s91, v2
	v_cmp_ne_u32_e64 s[26:27], 0, v8
	v_cndmask_b32_e32 v1, v9, v1, vcc
	v_cmp_ne_u32_e32 vcc, 0, v1
	v_cndmask_b32_e64 v2, v12, v10, s[26:27]
	v_cndmask_b32_e64 v8, v13, v11, s[26:27]
	v_cndmask_b32_e32 v2, v5, v2, vcc
	v_xor_b32_e32 v5, s42, v7
	v_cndmask_b32_e32 v1, v6, v8, vcc
	v_xor_b32_e32 v2, v2, v5
	v_xor_b32_e32 v1, v1, v5
	v_sub_co_u32_e32 v8, vcc, v2, v5
	v_subb_co_u32_e32 v9, vcc, v1, v5, vcc
                                        ; implicit-def: $vgpr2
.LBB4_50:                               ;   in Loop: Header=BB4_47 Depth=1
	s_andn2_saveexec_b64 s[40:41], s[40:41]
	s_cbranch_execz .LBB4_52
; %bb.51:                               ;   in Loop: Header=BB4_47 Depth=1
	v_cvt_f32_u32_e32 v1, s66
	s_sub_i32 s26, 0, s66
	v_rcp_iflag_f32_e32 v1, v1
	v_mul_f32_e32 v1, 0x4f7ffffe, v1
	v_cvt_u32_f32_e32 v1, v1
	v_mul_lo_u32 v5, s26, v1
	v_mul_hi_u32 v5, v1, v5
	v_add_u32_e32 v1, v1, v5
	v_mul_hi_u32 v1, v2, v1
	v_mul_lo_u32 v5, v1, s66
	v_sub_u32_e32 v2, v2, v5
	v_cmp_le_u32_e32 vcc, s66, v2
	v_subrev_u32_e32 v5, s66, v2
	v_cndmask_b32_e32 v2, v2, v5, vcc
	v_cmp_le_u32_e64 s[26:27], s66, v2
	v_add_u32_e32 v2, 1, v1
	v_cndmask_b32_e32 v1, v1, v2, vcc
	v_add_u32_e32 v2, 1, v1
	v_cndmask_b32_e64 v2, v1, v2, s[26:27]
	v_mov_b32_e32 v9, v3
	v_mov_b32_e32 v8, v2
.LBB4_52:                               ;   in Loop: Header=BB4_47 Depth=1
	s_or_b64 exec, exec, s[40:41]
	v_add_co_u32_e32 v1, vcc, 15, v8
	v_addc_co_u32_e32 v2, vcc, 0, v9, vcc
	v_and_b32_e32 v1, -16, v1
	buffer_store_dword v1, off, s[0:3], s33 offset:220 ; 4-byte Folded Spill
	s_nop 0
	buffer_store_dword v2, off, s[0:3], s33 offset:224 ; 4-byte Folded Spill
.LBB4_53:                               ;   in Loop: Header=BB4_47 Depth=1
	s_or_b64 exec, exec, s[28:29]
	buffer_load_dword v5, off, s[0:3], s33 offset:220 ; 4-byte Folded Reload
	buffer_load_dword v6, off, s[0:3], s33 offset:224 ; 4-byte Folded Reload
	s_waitcnt vmcnt(0)
	v_mul_lo_u32 v2, v5, s85
	s_waitcnt vmcnt(0)
	v_mul_lo_u32 v1, v6, s84
	v_mad_u64_u32 v[10:11], s[26:27], v5, s84, 0
	v_add3_u32 v11, v11, v2, v1
	buffer_load_dword v1, off, s[0:3], s33 offset:276 ; 4-byte Folded Reload
	buffer_load_dword v2, off, s[0:3], s33 offset:280 ; 4-byte Folded Reload
	s_waitcnt vmcnt(0)
	v_add_co_u32_e32 v1, vcc, v14, v1
	buffer_store_dword v1, off, s[0:3], s33 offset:156 ; 4-byte Folded Spill
	buffer_store_dword v14, off, s[0:3], s33 offset:256 ; 4-byte Folded Spill
	s_nop 0
	buffer_store_dword v15, off, s[0:3], s33 offset:260 ; 4-byte Folded Spill
	s_waitcnt vmcnt(3)
	v_addc_co_u32_e32 v1, vcc, v15, v2, vcc
	buffer_store_dword v1, off, s[0:3], s33 offset:160 ; 4-byte Folded Spill
	buffer_load_dword v1, off, s[0:3], s33 offset:212 ; 4-byte Folded Reload
	s_nop 0
	buffer_load_dword v2, off, s[0:3], s33 offset:216 ; 4-byte Folded Reload
	s_waitcnt vmcnt(0)
	v_sub_co_u32_e32 v1, vcc, v1, v10
	s_waitcnt vmcnt(0)
	v_subb_co_u32_e32 v2, vcc, v2, v11, vcc
	v_cmp_lt_i64_e32 vcc, v[5:6], v[1:2]
	v_mov_b32_e32 v2, 0
	v_cndmask_b32_e32 v1, v1, v5, vcc
	v_max_i32_e32 v5, 0, v1
	v_add_u32_e32 v6, 31, v5
	v_lshrrev_b32_e32 v6, 1, v6
	v_and_b32_e32 v6, 0x3ffffff0, v6
	v_cmp_lt_i32_e32 vcc, 0, v1
	v_max_i32_e32 v8, s86, v6
	s_and_b64 s[26:27], s[78:79], vcc
	v_mov_b32_e32 v6, 0
	s_and_saveexec_b64 s[28:29], s[26:27]
	s_cbranch_execz .LBB4_195
; %bb.54:                               ;   in Loop: Header=BB4_47 Depth=1
	s_mov_b32 s46, 1
	s_mov_b64 s[42:43], -1
	v_mov_b32_e32 v6, 0
	s_mov_b64 s[40:41], 0
	s_branch .LBB4_57
.LBB4_55:                               ;   in Loop: Header=BB4_57 Depth=2
	s_or_b64 exec, exec, s[90:91]
	buffer_load_dword v1, off, s[0:3], s33 offset:56 ; 4-byte Folded Reload
	buffer_load_dword v2, off, s[0:3], s33 offset:60 ; 4-byte Folded Reload
	s_waitcnt vmcnt(0)
	v_add_co_u32_e32 v1, vcc, 2, v1
	v_addc_co_u32_e32 v2, vcc, 0, v2, vcc
	buffer_store_dword v1, off, s[0:3], s33 offset:56 ; 4-byte Folded Spill
	s_nop 0
	buffer_store_dword v2, off, s[0:3], s33 offset:60 ; 4-byte Folded Spill
	flat_store_dwordx2 v[32:33], v[1:2]
.LBB4_56:                               ;   in Loop: Header=BB4_57 Depth=2
	s_or_b64 exec, exec, s[26:27]
	v_add_u32_e32 v6, v8, v6
	v_cmp_ge_i32_e32 vcc, v6, v5
	s_xor_b64 s[26:27], s[42:43], -1
	s_or_b64 s[26:27], s[26:27], vcc
	s_and_b64 s[26:27], exec, s[26:27]
	s_or_b64 s[40:41], s[26:27], s[40:41]
	s_mov_b64 s[42:43], 0
	v_mov_b32_e32 v2, s46
	s_mov_b32 s46, 2
	s_andn2_b64 exec, exec, s[40:41]
	s_cbranch_execz .LBB4_194
.LBB4_57:                               ;   Parent Loop BB4_47 Depth=1
                                        ; =>  This Loop Header: Depth=2
                                        ;       Child Loop BB4_65 Depth 3
                                        ;       Child Loop BB4_89 Depth 3
	;; [unrolled: 1-line block ×9, first 2 shown]
	s_and_saveexec_b64 s[26:27], s[4:5]
	s_cbranch_execz .LBB4_59
; %bb.58:                               ;   in Loop: Header=BB4_57 Depth=2
	s_trap 2
	buffer_load_dword v7, off, s[0:3], s33 offset:156 ; 4-byte Folded Reload
	ds_read_b64 v[1:2], v0
	s_waitcnt vmcnt(0) lgkmcnt(0)
	v_add_co_u32_e32 v1, vcc, v1, v7
	buffer_load_dword v7, off, s[0:3], s33 offset:160 ; 4-byte Folded Reload
	s_waitcnt vmcnt(0)
	v_addc_co_u32_e32 v2, vcc, v2, v7, vcc
	v_add_co_u32_e32 v1, vcc, v1, v10
	v_addc_co_u32_e32 v2, vcc, v2, v11, vcc
	v_ashrrev_i32_e32 v7, 31, v6
	v_add_co_u32_e32 v1, vcc, v1, v6
	v_addc_co_u32_e32 v2, vcc, v2, v7, vcc
	ds_write_b64 v0, v[1:2]
	v_mov_b32_e32 v2, v3
	ds_write_b64 v0, v[2:3]
.LBB4_59:                               ;   in Loop: Header=BB4_57 Depth=2
	s_or_b64 exec, exec, s[26:27]
	v_sub_u32_e32 v1, v5, v6
	v_min_i32_e32 v8, v8, v1
	v_and_b32_e32 v1, 8, v4
	v_cmp_ne_u32_e32 vcc, 0, v1
	s_and_saveexec_b64 s[90:91], vcc
	s_cbranch_execz .LBB4_81
; %bb.60:                               ;   in Loop: Header=BB4_57 Depth=2
	buffer_load_dword v12, off, s[0:3], s33 offset:56 ; 4-byte Folded Reload
	buffer_load_dword v13, off, s[0:3], s33 offset:60 ; 4-byte Folded Reload
	s_waitcnt lgkmcnt(0)
	v_add_co_u32_e32 v1, vcc, 8, v48
	v_addc_co_u32_e32 v2, vcc, 0, v49, vcc
	s_waitcnt vmcnt(0)
	v_add_co_u32_e32 v12, vcc, 2, v12
	s_waitcnt vmcnt(0)
	v_addc_co_u32_e32 v13, vcc, 0, v13, vcc
	v_cmp_lt_u64_e32 vcc, v[1:2], v[12:13]
	s_and_saveexec_b64 s[92:93], vcc
	s_cbranch_execz .LBB4_72
; %bb.61:                               ;   in Loop: Header=BB4_57 Depth=2
	v_and_b32_e32 v1, 64, v4
	s_mov_b32 s47, 0
	v_cmp_eq_u32_e32 vcc, 0, v1
	s_mov_b64 s[94:95], 0
                                        ; implicit-def: $sgpr30_sgpr31
                                        ; implicit-def: $sgpr34_sgpr35
                                        ; implicit-def: $sgpr36_sgpr37
	s_branch .LBB4_65
.LBB4_62:                               ;   in Loop: Header=BB4_65 Depth=3
	s_waitcnt vmcnt(0) lgkmcnt(0)
	v_add_co_u32_e64 v14, s[26:27], 8, v48
	v_addc_co_u32_e64 v15, s[26:27], 0, v49, s[26:27]
	v_cmp_ge_u64_e64 s[26:27], v[14:15], v[12:13]
	s_or_b64 s[50:51], s[50:51], exec
	s_orn2_b64 s[48:49], s[26:27], exec
.LBB4_63:                               ;   in Loop: Header=BB4_65 Depth=3
	s_or_b64 exec, exec, s[54:55]
	s_andn2_b64 s[26:27], s[36:37], exec
	s_and_b64 s[44:45], s[50:51], exec
	s_or_b64 s[36:37], s[26:27], s[44:45]
	s_andn2_b64 s[26:27], s[34:35], exec
	s_and_b64 s[44:45], s[48:49], exec
	s_or_b64 s[34:35], s[26:27], s[44:45]
.LBB4_64:                               ;   in Loop: Header=BB4_65 Depth=3
	s_or_b64 exec, exec, s[38:39]
	s_and_b64 s[26:27], exec, s[34:35]
	s_or_b64 s[94:95], s[26:27], s[94:95]
	s_andn2_b64 s[26:27], s[30:31], exec
	s_and_b64 s[44:45], s[36:37], exec
	s_or_b64 s[30:31], s[26:27], s[44:45]
	s_andn2_b64 exec, exec, s[94:95]
	s_cbranch_execz .LBB4_69
.LBB4_65:                               ;   Parent Loop BB4_47 Depth=1
                                        ;     Parent Loop BB4_57 Depth=2
                                        ; =>    This Inner Loop Header: Depth=3
	s_sleep 1
	s_waitcnt vmcnt(0) lgkmcnt(0)
	flat_load_dwordx2 v[48:49], v[32:33] glc
	s_or_b64 s[36:37], s[36:37], exec
	s_or_b64 s[34:35], s[34:35], exec
                                        ; implicit-def: $vgpr2
	s_and_saveexec_b64 s[38:39], vcc
	s_cbranch_execz .LBB4_64
; %bb.66:                               ;   in Loop: Header=BB4_65 Depth=3
	s_cmpk_lt_i32 s47, 0x270f
	s_cselect_b64 s[52:53], -1, 0
	s_cmpk_gt_i32 s47, 0x270e
	s_mov_b64 s[48:49], -1
	s_cbranch_scc0 .LBB4_68
; %bb.67:                               ;   in Loop: Header=BB4_65 Depth=3
	s_trap 2
	ds_read_b64 v[1:2], v0
	s_andn2_b64 s[44:45], s[52:53], exec
	s_mov_b32 s47, 0
	s_mov_b64 s[50:51], 0
	s_waitcnt vmcnt(0) lgkmcnt(0)
	flat_load_dword v2, v[1:2] glc
	s_waitcnt vmcnt(0) lgkmcnt(0)
	buffer_wbinvl1_vol
	v_cmp_eq_u32_e64 s[26:27], 0, v2
	s_and_b64 s[26:27], s[26:27], exec
	s_or_b64 s[52:53], s[44:45], s[26:27]
	s_and_saveexec_b64 s[54:55], s[52:53]
	s_cbranch_execz .LBB4_63
	s_branch .LBB4_62
.LBB4_68:                               ;   in Loop: Header=BB4_65 Depth=3
	s_add_i32 s47, s47, 1
	s_mov_b64 s[50:51], -1
                                        ; implicit-def: $vgpr2
	s_and_saveexec_b64 s[54:55], s[52:53]
	s_cbranch_execz .LBB4_63
	s_branch .LBB4_62
.LBB4_69:                               ;   in Loop: Header=BB4_57 Depth=2
	s_or_b64 exec, exec, s[94:95]
	s_xor_b64 s[26:27], s[30:31], -1
	s_and_saveexec_b64 s[44:45], s[26:27]
	s_xor_b64 s[26:27], exec, s[44:45]
	s_cbranch_execz .LBB4_71
; %bb.70:                               ;   in Loop: Header=BB4_57 Depth=2
	v_or_b32_e32 v4, 64, v4
	s_waitcnt lgkmcnt(0)
	ds_write_b32 v0, v2
	s_trap 2
.LBB4_71:                               ;   in Loop: Header=BB4_57 Depth=2
	s_or_b64 exec, exec, s[26:27]
.LBB4_72:                               ;   in Loop: Header=BB4_57 Depth=2
	s_or_b64 exec, exec, s[92:93]
	v_and_b32_e32 v1, 0x100, v4
	;;#ASMSTART
	s_wakeup
	;;#ASMEND
	v_cmp_ne_u32_e32 vcc, 0, v1
	buffer_load_dword v1, off, s[0:3], s33 offset:56 ; 4-byte Folded Reload
	buffer_load_dword v2, off, s[0:3], s33 offset:60 ; 4-byte Folded Reload
	s_mov_b64 s[26:27], -1
                                        ; implicit-def: $vgpr14_vgpr15
	s_waitcnt vmcnt(0)
	v_and_b32_e32 v2, 7, v1
	s_and_saveexec_b64 s[92:93], vcc
	s_cbranch_execz .LBB4_76
; %bb.73:                               ;   in Loop: Header=BB4_57 Depth=2
	buffer_load_dword v14, off, s[0:3], s33 offset:84 ; 4-byte Folded Reload
	buffer_load_dword v15, off, s[0:3], s33 offset:88 ; 4-byte Folded Reload
	;; [unrolled: 1-line block ×4, first 2 shown]
	v_ashrrev_i32_e32 v9, 31, v8
	s_waitcnt vmcnt(0)
	v_mad_u64_u32 v[16:17], s[26:27], v2, 24, v[14:15]
                                        ; implicit-def: $vgpr14_vgpr15
	flat_load_dword v1, v[16:17]
	s_nop 0
	flat_store_dwordx2 v[16:17], v[8:9] offset:8
	s_waitcnt vmcnt(0) lgkmcnt(0)
	v_cmp_ne_u32_e32 vcc, 1, v1
	v_cmp_eq_u32_e64 s[26:27], 1, v1
	s_and_saveexec_b64 s[94:95], s[26:27]
	s_cbranch_execz .LBB4_75
; %bb.74:                               ;   in Loop: Header=BB4_57 Depth=2
	flat_load_dword v14, v[16:17] offset:4 glc
	s_waitcnt vmcnt(0) lgkmcnt(0)
	v_ashrrev_i32_e32 v15, 31, v14
.LBB4_75:                               ;   in Loop: Header=BB4_57 Depth=2
	s_or_b64 exec, exec, s[94:95]
	s_orn2_b64 s[26:27], vcc, exec
.LBB4_76:                               ;   in Loop: Header=BB4_57 Depth=2
	s_or_b64 exec, exec, s[92:93]
	s_and_saveexec_b64 s[92:93], s[26:27]
	s_cbranch_execz .LBB4_78
; %bb.77:                               ;   in Loop: Header=BB4_57 Depth=2
	buffer_load_dword v1, off, s[0:3], s33 offset:116 ; 4-byte Folded Reload
	s_waitcnt vmcnt(0)
	v_mad_i64_i32 v[14:15], s[26:27], v2, v1, 0
.LBB4_78:                               ;   in Loop: Header=BB4_57 Depth=2
	s_or_b64 exec, exec, s[92:93]
	buffer_load_dword v1, off, s[0:3], s33 offset:76 ; 4-byte Folded Reload
	buffer_load_dword v2, off, s[0:3], s33 offset:80 ; 4-byte Folded Reload
	s_waitcnt vmcnt(0)
	v_add_co_u32_e32 v1, vcc, v1, v14
	v_addc_co_u32_e32 v2, vcc, v2, v15, vcc
	ds_write_b64 v0, v[1:2] offset:784
	v_and_b32_e32 v1, 0x2000, v4
	v_cmp_ne_u32_e32 vcc, 0, v1
	s_and_saveexec_b64 s[26:27], vcc
	s_cbranch_execz .LBB4_80
; %bb.79:                               ;   in Loop: Header=BB4_57 Depth=2
	ds_read_b64 v[1:2], v0 offset:872
	s_waitcnt lgkmcnt(0)
	v_add_co_u32_e32 v1, vcc, 1, v1
	v_addc_co_u32_e32 v2, vcc, 0, v2, vcc
	ds_write_b64 v0, v[1:2] offset:872
.LBB4_80:                               ;   in Loop: Header=BB4_57 Depth=2
	s_or_b64 exec, exec, s[26:27]
	buffer_store_dword v12, off, s[0:3], s33 offset:56 ; 4-byte Folded Spill
	s_nop 0
	buffer_store_dword v13, off, s[0:3], s33 offset:60 ; 4-byte Folded Spill
.LBB4_81:                               ;   in Loop: Header=BB4_57 Depth=2
	s_or_b64 exec, exec, s[90:91]
	s_and_saveexec_b64 s[26:27], s[10:11]
	s_cbranch_execz .LBB4_100
; %bb.82:                               ;   in Loop: Header=BB4_57 Depth=2
	s_and_saveexec_b64 s[44:45], s[58:59]
	s_xor_b64 s[90:91], exec, s[44:45]
	s_cbranch_execz .LBB4_97
; %bb.83:                               ;   in Loop: Header=BB4_57 Depth=2
	s_and_saveexec_b64 s[92:93], s[16:17]
	s_cbranch_execz .LBB4_96
; %bb.84:                               ;   in Loop: Header=BB4_57 Depth=2
	s_mov_b64 s[30:31], exec
	v_mbcnt_lo_u32_b32 v1, s30, 0
	v_mbcnt_hi_u32_b32 v1, s31, v1
	v_cmp_eq_u32_e32 vcc, 0, v1
	s_waitcnt vmcnt(0) lgkmcnt(0)
	buffer_wbinvl1_vol
	s_and_saveexec_b64 s[94:95], vcc
	s_cbranch_execz .LBB4_86
; %bb.85:                               ;   in Loop: Header=BB4_57 Depth=2
	s_bcnt1_i32_b64 s44, s[30:31]
	v_mov_b32_e32 v2, s44
	ds_add_u64 v0, v[2:3]
	s_trap 2
.LBB4_86:                               ;   in Loop: Header=BB4_57 Depth=2
	s_or_b64 exec, exec, s[94:95]
	s_trap 2
	ds_read_b64 v[1:2], v0
	s_waitcnt lgkmcnt(0)
	v_add_co_u32_e32 v38, vcc, v38, v29
	v_addc_co_u32_e32 v39, vcc, 0, v39, vcc
	v_cmp_lt_u64_e32 vcc, v[1:2], v[38:39]
	s_and_saveexec_b64 s[94:95], vcc
	s_cbranch_execz .LBB4_95
; %bb.87:                               ;   in Loop: Header=BB4_57 Depth=2
	s_mov_b32 s44, 0
	s_mov_b64 s[30:31], 0
                                        ; implicit-def: $sgpr34_sgpr35
                                        ; implicit-def: $sgpr36_sgpr37
	s_branch .LBB4_89
.LBB4_88:                               ;   in Loop: Header=BB4_89 Depth=3
	s_or_b64 exec, exec, s[48:49]
	s_and_b64 vcc, exec, vcc
	s_or_b64 s[30:31], vcc, s[30:31]
	s_andn2_b64 vcc, s[34:35], exec
	s_and_b64 s[34:35], s[36:37], exec
	s_or_b64 s[34:35], vcc, s[34:35]
	s_andn2_b64 exec, exec, s[30:31]
	s_cbranch_execz .LBB4_93
.LBB4_89:                               ;   Parent Loop BB4_47 Depth=1
                                        ;     Parent Loop BB4_57 Depth=2
                                        ; =>    This Inner Loop Header: Depth=3
	s_add_i32 s44, s44, 1
	s_cmpk_lg_i32 s44, 0x2710
	s_cselect_b64 s[38:39], -1, 0
	s_and_b64 vcc, exec, s[38:39]
	s_cbranch_vccz .LBB4_91
; %bb.90:                               ;   in Loop: Header=BB4_89 Depth=3
	s_mov_b64 vcc, -1
	s_or_b64 s[36:37], s[36:37], exec
	s_and_saveexec_b64 s[48:49], s[38:39]
	s_cbranch_execz .LBB4_88
	s_branch .LBB4_92
.LBB4_91:                               ;   in Loop: Header=BB4_89 Depth=3
	s_trap 2
	ds_read_b64 v[1:2], v0
	s_andn2_b64 s[38:39], s[38:39], exec
	s_mov_b32 s44, 0
	s_waitcnt lgkmcnt(0)
	flat_load_dword v1, v[1:2] glc
	s_waitcnt vmcnt(0) lgkmcnt(0)
	buffer_wbinvl1_vol
	v_cmp_eq_u32_e32 vcc, 0, v1
	s_and_b64 vcc, vcc, exec
	s_or_b64 s[38:39], s[38:39], vcc
	s_mov_b64 vcc, -1
	s_or_b64 s[36:37], s[36:37], exec
	s_and_saveexec_b64 s[48:49], s[38:39]
	s_cbranch_execz .LBB4_88
.LBB4_92:                               ;   in Loop: Header=BB4_89 Depth=3
	s_sleep 1
	s_trap 2
	ds_read_b64 v[1:2], v0
	s_waitcnt lgkmcnt(0)
	s_andn2_b64 s[36:37], s[36:37], exec
	v_cmp_ge_u64_e32 vcc, v[1:2], v[38:39]
	s_orn2_b64 vcc, vcc, exec
	s_branch .LBB4_88
.LBB4_93:                               ;   in Loop: Header=BB4_57 Depth=2
	s_or_b64 exec, exec, s[30:31]
	s_and_saveexec_b64 s[44:45], s[34:35]
	s_xor_b64 s[44:45], exec, s[44:45]
	s_cbranch_execz .LBB4_95
; %bb.94:                               ;   in Loop: Header=BB4_57 Depth=2
	v_mov_b32_e32 v1, 1
	ds_write_b32 v0, v1
	s_trap 2
.LBB4_95:                               ;   in Loop: Header=BB4_57 Depth=2
	s_or_b64 exec, exec, s[94:95]
	;;#ASMSTART
	s_wakeup
	;;#ASMEND
.LBB4_96:                               ;   in Loop: Header=BB4_57 Depth=2
	s_or_b64 exec, exec, s[92:93]
.LBB4_97:                               ;   in Loop: Header=BB4_57 Depth=2
	s_andn2_saveexec_b64 s[90:91], s[90:91]
	s_cbranch_execz .LBB4_99
; %bb.98:                               ;   in Loop: Header=BB4_57 Depth=2
	s_waitcnt vmcnt(0) lgkmcnt(0)
	buffer_wbinvl1_vol
	s_barrier
.LBB4_99:                               ;   in Loop: Header=BB4_57 Depth=2
	s_or_b64 exec, exec, s[90:91]
.LBB4_100:                              ;   in Loop: Header=BB4_57 Depth=2
	s_or_b64 exec, exec, s[26:27]
	s_trap 2
	ds_read_b32 v7, v0
	v_and_b32_e32 v1, 0x4000, v4
	v_cmp_ne_u32_e32 vcc, 0, v1
	s_xor_b64 s[26:27], s[6:7], -1
	s_and_b64 s[44:45], s[26:27], vcc
	s_and_saveexec_b64 s[26:27], s[44:45]
	s_cbranch_execz .LBB4_119
; %bb.101:                              ;   in Loop: Header=BB4_57 Depth=2
	s_and_saveexec_b64 s[44:45], s[58:59]
	s_xor_b64 s[90:91], exec, s[44:45]
	s_cbranch_execz .LBB4_116
; %bb.102:                              ;   in Loop: Header=BB4_57 Depth=2
	s_and_saveexec_b64 s[92:93], s[16:17]
	s_cbranch_execz .LBB4_115
; %bb.103:                              ;   in Loop: Header=BB4_57 Depth=2
	s_mov_b64 s[30:31], exec
	v_mbcnt_lo_u32_b32 v1, s30, 0
	v_mbcnt_hi_u32_b32 v1, s31, v1
	v_cmp_eq_u32_e32 vcc, 0, v1
	s_waitcnt vmcnt(0) lgkmcnt(0)
	buffer_wbinvl1_vol
	s_and_saveexec_b64 s[94:95], vcc
	s_cbranch_execz .LBB4_105
; %bb.104:                              ;   in Loop: Header=BB4_57 Depth=2
	s_bcnt1_i32_b64 s44, s[30:31]
	v_mov_b32_e32 v2, s44
	ds_add_u64 v0, v[2:3]
	s_trap 2
.LBB4_105:                              ;   in Loop: Header=BB4_57 Depth=2
	s_or_b64 exec, exec, s[94:95]
	s_trap 2
	ds_read_b64 v[1:2], v0
	s_waitcnt lgkmcnt(0)
	v_add_co_u32_e32 v38, vcc, v38, v29
	v_addc_co_u32_e32 v39, vcc, 0, v39, vcc
	v_cmp_lt_u64_e32 vcc, v[1:2], v[38:39]
	s_and_saveexec_b64 s[94:95], vcc
	s_cbranch_execz .LBB4_114
; %bb.106:                              ;   in Loop: Header=BB4_57 Depth=2
	s_mov_b32 s44, 0
	s_mov_b64 s[30:31], 0
                                        ; implicit-def: $sgpr34_sgpr35
                                        ; implicit-def: $sgpr36_sgpr37
	s_branch .LBB4_108
.LBB4_107:                              ;   in Loop: Header=BB4_108 Depth=3
	s_or_b64 exec, exec, s[48:49]
	s_and_b64 vcc, exec, vcc
	s_or_b64 s[30:31], vcc, s[30:31]
	s_andn2_b64 vcc, s[34:35], exec
	s_and_b64 s[34:35], s[36:37], exec
	s_or_b64 s[34:35], vcc, s[34:35]
	s_andn2_b64 exec, exec, s[30:31]
	s_cbranch_execz .LBB4_112
.LBB4_108:                              ;   Parent Loop BB4_47 Depth=1
                                        ;     Parent Loop BB4_57 Depth=2
                                        ; =>    This Inner Loop Header: Depth=3
	s_add_i32 s44, s44, 1
	s_cmpk_lg_i32 s44, 0x2710
	s_cselect_b64 s[38:39], -1, 0
	s_and_b64 vcc, exec, s[38:39]
	s_cbranch_vccz .LBB4_110
; %bb.109:                              ;   in Loop: Header=BB4_108 Depth=3
	s_mov_b64 vcc, -1
	s_or_b64 s[36:37], s[36:37], exec
	s_and_saveexec_b64 s[48:49], s[38:39]
	s_cbranch_execz .LBB4_107
	s_branch .LBB4_111
.LBB4_110:                              ;   in Loop: Header=BB4_108 Depth=3
	s_trap 2
	ds_read_b64 v[1:2], v0
	s_andn2_b64 s[38:39], s[38:39], exec
	s_mov_b32 s44, 0
	s_waitcnt lgkmcnt(0)
	flat_load_dword v1, v[1:2] glc
	s_waitcnt vmcnt(0) lgkmcnt(0)
	buffer_wbinvl1_vol
	v_cmp_eq_u32_e32 vcc, 0, v1
	s_and_b64 vcc, vcc, exec
	s_or_b64 s[38:39], s[38:39], vcc
	s_mov_b64 vcc, -1
	s_or_b64 s[36:37], s[36:37], exec
	s_and_saveexec_b64 s[48:49], s[38:39]
	s_cbranch_execz .LBB4_107
.LBB4_111:                              ;   in Loop: Header=BB4_108 Depth=3
	s_sleep 1
	s_trap 2
	ds_read_b64 v[1:2], v0
	s_waitcnt lgkmcnt(0)
	s_andn2_b64 s[36:37], s[36:37], exec
	v_cmp_ge_u64_e32 vcc, v[1:2], v[38:39]
	s_orn2_b64 vcc, vcc, exec
	s_branch .LBB4_107
.LBB4_112:                              ;   in Loop: Header=BB4_57 Depth=2
	s_or_b64 exec, exec, s[30:31]
	s_and_saveexec_b64 s[44:45], s[34:35]
	s_xor_b64 s[44:45], exec, s[44:45]
	s_cbranch_execz .LBB4_114
; %bb.113:                              ;   in Loop: Header=BB4_57 Depth=2
	v_mov_b32_e32 v1, 1
	ds_write_b32 v0, v1
	s_trap 2
.LBB4_114:                              ;   in Loop: Header=BB4_57 Depth=2
	s_or_b64 exec, exec, s[94:95]
	;;#ASMSTART
	s_wakeup
	;;#ASMEND
.LBB4_115:                              ;   in Loop: Header=BB4_57 Depth=2
	s_or_b64 exec, exec, s[92:93]
.LBB4_116:                              ;   in Loop: Header=BB4_57 Depth=2
	s_andn2_saveexec_b64 s[90:91], s[90:91]
	s_cbranch_execz .LBB4_118
; %bb.117:                              ;   in Loop: Header=BB4_57 Depth=2
	s_waitcnt vmcnt(0) lgkmcnt(0)
	buffer_wbinvl1_vol
	s_barrier
.LBB4_118:                              ;   in Loop: Header=BB4_57 Depth=2
	s_or_b64 exec, exec, s[90:91]
.LBB4_119:                              ;   in Loop: Header=BB4_57 Depth=2
	s_or_b64 exec, exec, s[26:27]
	s_trap 2
	ds_read_b64 v[12:13], v0
	s_waitcnt lgkmcnt(0)
	v_cmp_eq_u64_e32 vcc, 0, v[12:13]
	s_cbranch_vccnz .LBB4_127
; %bb.120:                              ;   in Loop: Header=BB4_57 Depth=2
	s_trap 2
	ds_read_b64 v[14:15], v0
	s_waitcnt lgkmcnt(0)
	v_cmp_eq_u64_e32 vcc, 0, v[14:15]
	s_cbranch_vccnz .LBB4_127
; %bb.121:                              ;   in Loop: Header=BB4_57 Depth=2
	s_mov_b64 s[26:27], -1
	s_and_saveexec_b64 s[90:91], s[18:19]
	s_cbranch_execz .LBB4_123
; %bb.122:                              ;   in Loop: Header=BB4_57 Depth=2
	ds_read_b32 v1, v0 offset:720
	s_waitcnt lgkmcnt(0)
	v_and_b32_e32 v1, 15, v1
	v_cmp_eq_u32_e32 vcc, 0, v1
	s_orn2_b64 s[26:27], vcc, exec
.LBB4_123:                              ;   in Loop: Header=BB4_57 Depth=2
	s_or_b64 exec, exec, s[90:91]
	s_and_saveexec_b64 s[90:91], s[20:21]
	s_cbranch_execz .LBB4_125
; %bb.124:                              ;   in Loop: Header=BB4_57 Depth=2
	ds_read_b32 v1, v0 offset:784
	s_waitcnt lgkmcnt(0)
	v_and_b32_e32 v1, 15, v1
	v_cmp_eq_u32_e32 vcc, 0, v1
	s_and_b64 s[44:45], s[26:27], vcc
	s_andn2_b64 s[26:27], s[26:27], exec
	s_and_b64 s[44:45], s[44:45], exec
	s_or_b64 s[26:27], s[26:27], s[44:45]
.LBB4_125:                              ;   in Loop: Header=BB4_57 Depth=2
	s_or_b64 exec, exec, s[90:91]
	buffer_load_dword v20, off, s[0:3], s33 offset:112 ; 4-byte Folded Reload
	v_cmp_eq_u32_e32 vcc, 0, v7
	s_xor_b64 s[26:27], s[26:27], -1
	v_cndmask_b32_e32 v2, 0, v8, vcc
	v_cndmask_b32_e64 v1, 0, 1, s[26:27]
	s_mov_b64 s[92:93], -1
	v_cmp_ne_u32_e32 vcc, 0, v1
	v_mov_b32_e32 v7, 0
	v_mov_b32_e32 v9, v2
	;; [unrolled: 1-line block ×3, first 2 shown]
	s_cbranch_vccz .LBB4_133
; %bb.126:                              ;   in Loop: Header=BB4_57 Depth=2
	s_and_saveexec_b64 s[26:27], s[92:93]
	s_cbranch_execnz .LBB4_146
	s_branch .LBB4_154
.LBB4_127:                              ;   in Loop: Header=BB4_57 Depth=2
	s_mov_b64 s[26:27], 0
	s_and_saveexec_b64 s[90:91], s[10:11]
	s_cbranch_execnz .LBB4_155
.LBB4_128:                              ;   in Loop: Header=BB4_57 Depth=2
	s_or_b64 exec, exec, s[90:91]
                                        ; implicit-def: $vgpr1
	s_and_saveexec_b64 s[44:45], s[24:25]
	s_xor_b64 s[90:91], exec, s[44:45]
	s_cbranch_execz .LBB4_173
.LBB4_129:                              ;   in Loop: Header=BB4_57 Depth=2
	v_and_b32_e32 v2, 16, v4
	v_cmp_ne_u32_e32 vcc, 0, v2
	v_and_b32_e32 v1, 16, v4
	s_and_b64 s[44:45], vcc, s[26:27]
	s_and_saveexec_b64 s[26:27], s[44:45]
	s_cbranch_execz .LBB4_131
; %bb.130:                              ;   in Loop: Header=BB4_57 Depth=2
	v_mov_b32_e32 v1, 1
	s_waitcnt vmcnt(0) lgkmcnt(0)
	buffer_wbinvl1_vol
.LBB4_131:                              ;   in Loop: Header=BB4_57 Depth=2
	s_or_b64 exec, exec, s[26:27]
	s_andn2_saveexec_b64 s[26:27], s[90:91]
	s_cbranch_execnz .LBB4_174
.LBB4_132:                              ;   in Loop: Header=BB4_57 Depth=2
	s_or_b64 exec, exec, s[26:27]
	v_cmp_ne_u32_e32 vcc, 0, v1
	s_and_saveexec_b64 s[26:27], vcc
	s_cbranch_execz .LBB4_56
	s_branch .LBB4_192
.LBB4_133:                              ;   in Loop: Header=BB4_57 Depth=2
	v_ashrrev_i32_e32 v1, 31, v2
	v_lshrrev_b32_e32 v1, 20, v1
	v_add_u32_e32 v1, v2, v1
	v_ashrrev_i32_e32 v7, 12, v1
	buffer_load_dword v1, off, s[0:3], s33 offset:112 ; 4-byte Folded Reload
	s_waitcnt vmcnt(0)
	v_sub_u32_e32 v21, v7, v1
	v_cmp_lt_i32_e32 vcc, 0, v21
	s_and_saveexec_b64 s[26:27], vcc
	s_cbranch_execz .LBB4_137
; %bb.134:                              ;   in Loop: Header=BB4_57 Depth=2
	buffer_load_dword v9, off, s[0:3], s33 offset:236 ; 4-byte Folded Reload
	buffer_load_dword v20, off, s[0:3], s33 offset:240 ; 4-byte Folded Reload
	buffer_load_dword v54, off, s[0:3], s33 offset:244 ; 4-byte Folded Reload
	v_mov_b32_e32 v17, v15
	v_mov_b32_e32 v19, v13
	s_mov_b64 s[90:91], 0
	v_mov_b32_e32 v16, v14
	v_mov_b32_e32 v18, v12
	;; [unrolled: 1-line block ×3, first 2 shown]
.LBB4_135:                              ;   Parent Loop BB4_47 Depth=1
                                        ;     Parent Loop BB4_57 Depth=2
                                        ; =>    This Inner Loop Header: Depth=3
	s_waitcnt vmcnt(1)
	v_add_co_u32_e32 v30, vcc, v20, v18
	s_waitcnt vmcnt(0)
	v_addc_co_u32_e32 v31, vcc, v54, v19, vcc
	global_load_dwordx4 v[22:25], v[30:31], off glc slc
	global_load_dwordx4 v[26:29], v[30:31], off offset:1024 glc slc
	global_load_dwordx4 v[34:37], v[30:31], off offset:2048 glc slc
	;; [unrolled: 1-line block ×3, first 2 shown]
	v_add_co_u32_e32 v30, vcc, v20, v16
	v_addc_co_u32_e32 v31, vcc, v54, v17, vcc
	v_add_co_u32_e32 v18, vcc, v18, v9
	v_addc_co_u32_e32 v19, vcc, 0, v19, vcc
	v_add_co_u32_e32 v16, vcc, v16, v9
	v_sub_u32_e32 v21, v21, v1
	v_addc_co_u32_e32 v17, vcc, 0, v17, vcc
	v_cmp_gt_i32_e32 vcc, 1, v21
	s_or_b64 s[90:91], vcc, s[90:91]
	s_waitcnt vmcnt(3)
	global_store_dwordx4 v[30:31], v[22:25], off glc slc
	s_waitcnt vmcnt(3)
	global_store_dwordx4 v[30:31], v[26:29], off offset:1024 glc slc
	s_waitcnt vmcnt(3)
	global_store_dwordx4 v[30:31], v[34:37], off offset:2048 glc slc
	;; [unrolled: 2-line block ×3, first 2 shown]
	s_andn2_b64 exec, exec, s[90:91]
	s_cbranch_execnz .LBB4_135
; %bb.136:                              ;   in Loop: Header=BB4_57 Depth=2
	s_or_b64 exec, exec, s[90:91]
	v_mov_b32_e32 v29, v1
.LBB4_137:                              ;   in Loop: Header=BB4_57 Depth=2
	s_or_b64 exec, exec, s[26:27]
	v_lshlrev_b32_e32 v17, 12, v7
	v_cmp_ne_u32_e32 vcc, v2, v17
	s_mov_b64 s[92:93], 0
	v_mov_b32_e32 v7, 0
                                        ; implicit-def: $vgpr9
                                        ; implicit-def: $vgpr16
                                        ; implicit-def: $vgpr20
	s_and_saveexec_b64 s[90:91], vcc
	s_cbranch_execz .LBB4_145
; %bb.138:                              ;   in Loop: Header=BB4_57 Depth=2
	buffer_load_dword v7, off, s[0:3], s33 offset:196 ; 4-byte Folded Reload
	v_lshlrev_b32_e32 v1, 6, v21
	v_sub_u32_e32 v9, v2, v17
	v_ashrrev_i32_e32 v19, 31, v9
	v_lshrrev_b32_e32 v19, 22, v19
	v_add_u32_e32 v19, v9, v19
	v_ashrrev_i32_e32 v20, 10, v19
	v_and_b32_e32 v19, 0xfffffc00, v19
	v_sub_u32_e32 v22, v9, v19
	v_cmp_lt_i32_e32 vcc, 15, v22
	s_waitcnt vmcnt(0)
	v_sub_u32_e32 v1, v7, v1
	v_ashrrev_i32_e32 v7, 31, v1
	v_lshrrev_b32_e32 v7, 26, v7
	v_add_u32_e32 v7, v1, v7
	v_ashrrev_i32_e32 v16, 6, v7
	v_and_b32_e32 v7, 0xffffffc0, v7
	v_sub_u32_e32 v18, v1, v7
	v_lshlrev_b32_e32 v1, 4, v18
	v_lshl_add_u32 v1, v16, 10, v1
	v_sub_u32_e32 v7, v9, v1
	v_addc_co_u32_e64 v9, s[26:27], 0, v20, vcc
	v_sub_u32_e32 v21, v9, v16
	v_cmp_lt_i32_e64 s[26:27], 15, v7
	s_and_saveexec_b64 s[92:93], s[26:27]
	s_cbranch_execz .LBB4_142
; %bb.139:                              ;   in Loop: Header=BB4_57 Depth=2
	buffer_load_dword v16, off, s[0:3], s33 offset:68 ; 4-byte Folded Reload
	v_add_u32_e32 v9, v1, v17
	v_ashrrev_i32_e32 v1, 31, v9
	s_mov_b64 s[94:95], 0
.LBB4_140:                              ;   Parent Loop BB4_47 Depth=1
                                        ;     Parent Loop BB4_57 Depth=2
                                        ; =>    This Inner Loop Header: Depth=3
	v_add_co_u32_e64 v23, s[26:27], v12, v9
	v_addc_co_u32_e64 v24, s[26:27], v13, v1, s[26:27]
	global_load_dwordx4 v[23:26], v[23:24], off glc slc
	v_add_co_u32_e64 v27, s[26:27], v14, v9
	v_addc_co_u32_e64 v28, s[26:27], v15, v1, s[26:27]
	s_waitcnt vmcnt(1)
	v_add_co_u32_e64 v9, s[26:27], v9, v16
	v_sub_u32_e32 v7, v7, v16
	v_addc_co_u32_e64 v1, s[26:27], 0, v1, s[26:27]
	v_cmp_gt_i32_e64 s[26:27], 16, v7
	v_sub_u32_e32 v21, v21, v29
	s_or_b64 s[94:95], s[26:27], s[94:95]
	s_waitcnt vmcnt(0)
	global_store_dwordx4 v[27:28], v[23:26], off glc slc
	s_andn2_b64 exec, exec, s[94:95]
	s_cbranch_execnz .LBB4_140
; %bb.141:                              ;   in Loop: Header=BB4_57 Depth=2
	s_or_b64 exec, exec, s[94:95]
.LBB4_142:                              ;   in Loop: Header=BB4_57 Depth=2
	s_or_b64 exec, exec, s[92:93]
	v_and_b32_e32 v1, 15, v2
	v_cndmask_b32_e32 v9, v22, v1, vcc
	v_mov_b32_e32 v7, 0
	v_cmp_ne_u32_e64 s[26:27], 0, v9
	s_mov_b64 s[94:95], 0
                                        ; implicit-def: $vgpr16
                                        ; implicit-def: $vgpr20
	s_and_saveexec_b64 s[92:93], s[26:27]
	s_cbranch_execz .LBB4_144
; %bb.143:                              ;   in Loop: Header=BB4_57 Depth=2
	v_sub_u32_e32 v1, v22, v1
	v_cndmask_b32_e32 v1, 0, v1, vcc
	v_cmp_lt_i32_e32 vcc, 0, v21
	v_add3_u32 v7, v19, v17, v1
	v_cndmask_b32_e32 v1, 0, v29, vcc
	v_sub_u32_e32 v1, v1, v21
	v_lshl_add_u32 v16, v1, 6, v18
	v_ashrrev_i32_e32 v1, 31, v16
	v_lshrrev_b32_e32 v1, 26, v1
	v_add_u32_e32 v1, v16, v1
	v_ashrrev_i32_e32 v20, 6, v1
	s_mov_b64 s[94:95], exec
.LBB4_144:                              ;   in Loop: Header=BB4_57 Depth=2
	s_or_b64 exec, exec, s[92:93]
	s_and_b64 s[92:93], s[94:95], exec
.LBB4_145:                              ;   in Loop: Header=BB4_57 Depth=2
	s_or_b64 exec, exec, s[90:91]
	s_and_saveexec_b64 s[26:27], s[92:93]
	s_cbranch_execz .LBB4_154
.LBB4_146:                              ;   in Loop: Header=BB4_57 Depth=2
	v_ashrrev_i32_e32 v1, 31, v9
	v_lshrrev_b32_e32 v1, 22, v1
	v_add_u32_e32 v1, v9, v1
	v_ashrrev_i32_e32 v19, 10, v1
	s_waitcnt vmcnt(0)
	v_sub_u32_e32 v17, v19, v20
	v_ashrrev_i32_e32 v1, 31, v16
	v_cmp_lt_i32_e32 vcc, 0, v17
	v_lshrrev_b32_e32 v18, 26, v1
	s_and_saveexec_b64 s[90:91], vcc
	s_cbranch_execz .LBB4_150
; %bb.147:                              ;   in Loop: Header=BB4_57 Depth=2
	buffer_load_dword v54, off, s[0:3], s33 offset:68 ; 4-byte Folded Reload
	v_add_u32_e32 v1, v16, v18
	v_and_b32_e32 v1, 0xffffffc0, v1
	v_sub_u32_e32 v1, v16, v1
	v_lshlrev_b32_e32 v20, 10, v20
	v_add3_u32 v20, v7, v1, v20
	v_ashrrev_i32_e32 v21, 31, v20
	s_mov_b64 s[92:93], 0
	v_mov_b32_e32 v53, v29
.LBB4_148:                              ;   Parent Loop BB4_47 Depth=1
                                        ;     Parent Loop BB4_57 Depth=2
                                        ; =>    This Inner Loop Header: Depth=3
	v_add_co_u32_e32 v22, vcc, v20, v12
	v_addc_co_u32_e32 v23, vcc, v21, v13, vcc
	flat_load_ubyte v1, v[22:23] glc slc
	flat_load_ubyte v24, v[22:23] offset:64 glc slc
	flat_load_ubyte v25, v[22:23] offset:128 glc slc
	;; [unrolled: 1-line block ×15, first 2 shown]
	v_add_co_u32_e32 v22, vcc, v20, v14
	v_addc_co_u32_e32 v23, vcc, v21, v15, vcc
	s_waitcnt vmcnt(0)
	v_add_co_u32_e32 v12, vcc, v12, v54
	v_addc_co_u32_e32 v13, vcc, 0, v13, vcc
	v_add_co_u32_e32 v14, vcc, v14, v54
	v_sub_u32_e32 v17, v17, v53
	v_addc_co_u32_e32 v15, vcc, 0, v15, vcc
	v_cmp_gt_i32_e32 vcc, 1, v17
	s_or_b64 s[92:93], vcc, s[92:93]
	s_waitcnt lgkmcnt(0)
	flat_store_byte v[22:23], v1 glc slc
	flat_store_byte v[22:23], v24 offset:64 glc slc
	flat_store_byte v[22:23], v25 offset:128 glc slc
	;; [unrolled: 1-line block ×15, first 2 shown]
	s_andn2_b64 exec, exec, s[92:93]
	s_cbranch_execnz .LBB4_148
; %bb.149:                              ;   in Loop: Header=BB4_57 Depth=2
	s_or_b64 exec, exec, s[92:93]
	v_mov_b32_e32 v29, v53
.LBB4_150:                              ;   in Loop: Header=BB4_57 Depth=2
	s_or_b64 exec, exec, s[90:91]
	v_lshlrev_b32_e32 v1, 10, v19
	v_cmp_ne_u32_e32 vcc, v9, v1
	s_and_b64 exec, exec, vcc
	s_cbranch_execz .LBB4_154
; %bb.151:                              ;   in Loop: Header=BB4_57 Depth=2
	v_add_u32_e32 v12, v16, v18
	v_and_b32_e32 v12, 0xffffffc0, v12
	v_sub_u32_e32 v12, v16, v12
	v_lshlrev_b32_e32 v13, 6, v17
	v_sub_u32_e32 v12, v12, v13
	v_add_u32_e32 v1, v1, v12
	v_sub_u32_e32 v9, v9, v1
	v_cmp_lt_i32_e32 vcc, 0, v9
	s_and_b64 exec, exec, vcc
	s_cbranch_execz .LBB4_154
; %bb.152:                              ;   in Loop: Header=BB4_57 Depth=2
	s_trap 2
	ds_read_b64 v[12:13], v0
	v_add_u32_e32 v1, v1, v7
	v_ashrrev_i32_e32 v7, 31, v1
	s_mov_b64 s[90:91], 0
.LBB4_153:                              ;   Parent Loop BB4_47 Depth=1
                                        ;     Parent Loop BB4_57 Depth=2
                                        ; =>    This Inner Loop Header: Depth=3
	s_waitcnt lgkmcnt(0)
	v_add_co_u32_e32 v14, vcc, v12, v1
	v_addc_co_u32_e32 v15, vcc, v13, v7, vcc
	flat_load_ubyte v16, v[14:15] glc slc
	v_add_co_u32_e32 v1, vcc, v1, v47
	v_sub_u32_e32 v9, v9, v47
	v_addc_co_u32_e32 v7, vcc, 0, v7, vcc
	v_cmp_gt_i32_e32 vcc, 1, v9
	s_or_b64 s[90:91], vcc, s[90:91]
	s_waitcnt vmcnt(0) lgkmcnt(0)
	flat_store_byte v[14:15], v16 glc slc
	s_andn2_b64 exec, exec, s[90:91]
	s_cbranch_execnz .LBB4_153
.LBB4_154:                              ;   in Loop: Header=BB4_57 Depth=2
	s_or_b64 exec, exec, s[26:27]
	v_cmp_lt_i32_e64 s[26:27], 0, v2
	s_and_saveexec_b64 s[90:91], s[10:11]
	s_cbranch_execz .LBB4_128
.LBB4_155:                              ;   in Loop: Header=BB4_57 Depth=2
	s_and_saveexec_b64 s[44:45], s[58:59]
	s_xor_b64 s[92:93], exec, s[44:45]
	s_cbranch_execz .LBB4_170
; %bb.156:                              ;   in Loop: Header=BB4_57 Depth=2
	s_and_saveexec_b64 s[94:95], s[16:17]
	s_cbranch_execz .LBB4_169
; %bb.157:                              ;   in Loop: Header=BB4_57 Depth=2
	s_mov_b64 s[34:35], exec
	v_mbcnt_lo_u32_b32 v1, s34, 0
	v_mbcnt_hi_u32_b32 v1, s35, v1
	v_cmp_eq_u32_e32 vcc, 0, v1
	s_waitcnt vmcnt(0) lgkmcnt(0)
	buffer_wbinvl1_vol
	s_and_saveexec_b64 s[30:31], vcc
	s_cbranch_execz .LBB4_159
; %bb.158:                              ;   in Loop: Header=BB4_57 Depth=2
	s_bcnt1_i32_b64 s44, s[34:35]
	v_mov_b32_e32 v2, s44
	ds_add_u64 v0, v[2:3]
	s_trap 2
.LBB4_159:                              ;   in Loop: Header=BB4_57 Depth=2
	s_or_b64 exec, exec, s[30:31]
	s_trap 2
	ds_read_b64 v[1:2], v0
	s_waitcnt lgkmcnt(0)
	v_add_co_u32_e32 v38, vcc, v38, v29
	v_addc_co_u32_e32 v39, vcc, 0, v39, vcc
	v_cmp_lt_u64_e32 vcc, v[1:2], v[38:39]
	s_and_saveexec_b64 s[30:31], vcc
	s_cbranch_execz .LBB4_168
; %bb.160:                              ;   in Loop: Header=BB4_57 Depth=2
	s_mov_b32 s44, 0
	s_mov_b64 s[34:35], 0
                                        ; implicit-def: $sgpr36_sgpr37
                                        ; implicit-def: $sgpr38_sgpr39
	s_branch .LBB4_162
.LBB4_161:                              ;   in Loop: Header=BB4_162 Depth=3
	s_or_b64 exec, exec, s[50:51]
	s_and_b64 vcc, exec, vcc
	s_or_b64 s[34:35], vcc, s[34:35]
	s_andn2_b64 vcc, s[36:37], exec
	s_and_b64 s[36:37], s[38:39], exec
	s_or_b64 s[36:37], vcc, s[36:37]
	s_andn2_b64 exec, exec, s[34:35]
	s_cbranch_execz .LBB4_166
.LBB4_162:                              ;   Parent Loop BB4_47 Depth=1
                                        ;     Parent Loop BB4_57 Depth=2
                                        ; =>    This Inner Loop Header: Depth=3
	s_add_i32 s44, s44, 1
	s_cmpk_lg_i32 s44, 0x2710
	s_cselect_b64 s[48:49], -1, 0
	s_and_b64 vcc, exec, s[48:49]
	s_cbranch_vccz .LBB4_164
; %bb.163:                              ;   in Loop: Header=BB4_162 Depth=3
	s_mov_b64 vcc, -1
	s_or_b64 s[38:39], s[38:39], exec
	s_and_saveexec_b64 s[50:51], s[48:49]
	s_cbranch_execz .LBB4_161
	s_branch .LBB4_165
.LBB4_164:                              ;   in Loop: Header=BB4_162 Depth=3
	s_trap 2
	ds_read_b64 v[1:2], v0
	s_andn2_b64 s[48:49], s[48:49], exec
	s_mov_b32 s44, 0
	s_waitcnt lgkmcnt(0)
	flat_load_dword v1, v[1:2] glc
	s_waitcnt vmcnt(0) lgkmcnt(0)
	buffer_wbinvl1_vol
	v_cmp_eq_u32_e32 vcc, 0, v1
	s_and_b64 vcc, vcc, exec
	s_or_b64 s[48:49], s[48:49], vcc
	s_mov_b64 vcc, -1
	s_or_b64 s[38:39], s[38:39], exec
	s_and_saveexec_b64 s[50:51], s[48:49]
	s_cbranch_execz .LBB4_161
.LBB4_165:                              ;   in Loop: Header=BB4_162 Depth=3
	s_sleep 1
	s_trap 2
	ds_read_b64 v[1:2], v0
	s_waitcnt lgkmcnt(0)
	s_andn2_b64 s[38:39], s[38:39], exec
	v_cmp_ge_u64_e32 vcc, v[1:2], v[38:39]
	s_orn2_b64 vcc, vcc, exec
	s_branch .LBB4_161
.LBB4_166:                              ;   in Loop: Header=BB4_57 Depth=2
	s_or_b64 exec, exec, s[34:35]
	s_and_saveexec_b64 s[44:45], s[36:37]
	s_xor_b64 s[44:45], exec, s[44:45]
	s_cbranch_execz .LBB4_168
; %bb.167:                              ;   in Loop: Header=BB4_57 Depth=2
	v_mov_b32_e32 v1, 1
	ds_write_b32 v0, v1
	s_trap 2
.LBB4_168:                              ;   in Loop: Header=BB4_57 Depth=2
	s_or_b64 exec, exec, s[30:31]
	;;#ASMSTART
	s_wakeup
	;;#ASMEND
.LBB4_169:                              ;   in Loop: Header=BB4_57 Depth=2
	s_or_b64 exec, exec, s[94:95]
.LBB4_170:                              ;   in Loop: Header=BB4_57 Depth=2
	s_andn2_saveexec_b64 s[92:93], s[92:93]
	s_cbranch_execz .LBB4_172
; %bb.171:                              ;   in Loop: Header=BB4_57 Depth=2
	s_waitcnt vmcnt(0) lgkmcnt(0)
	buffer_wbinvl1_vol
	s_barrier
.LBB4_172:                              ;   in Loop: Header=BB4_57 Depth=2
	s_or_b64 exec, exec, s[92:93]
	s_or_b64 exec, exec, s[90:91]
                                        ; implicit-def: $vgpr1
	s_and_saveexec_b64 s[44:45], s[24:25]
	s_xor_b64 s[90:91], exec, s[44:45]
	s_cbranch_execnz .LBB4_129
.LBB4_173:                              ;   in Loop: Header=BB4_57 Depth=2
	s_andn2_saveexec_b64 s[26:27], s[90:91]
	s_cbranch_execz .LBB4_132
.LBB4_174:                              ;   in Loop: Header=BB4_57 Depth=2
	s_and_saveexec_b64 s[44:45], s[58:59]
	s_xor_b64 s[90:91], exec, s[44:45]
	s_cbranch_execz .LBB4_189
; %bb.175:                              ;   in Loop: Header=BB4_57 Depth=2
	s_and_saveexec_b64 s[92:93], s[16:17]
	s_cbranch_execz .LBB4_188
; %bb.176:                              ;   in Loop: Header=BB4_57 Depth=2
	s_mov_b64 s[30:31], exec
	v_mbcnt_lo_u32_b32 v1, s30, 0
	v_mbcnt_hi_u32_b32 v1, s31, v1
	v_cmp_eq_u32_e32 vcc, 0, v1
	;;#ASMSTART
	s_waitcnt lgkmcnt(0) vmcnt(0)
	;;#ASMEND
	s_and_saveexec_b64 s[94:95], vcc
	s_cbranch_execz .LBB4_178
; %bb.177:                              ;   in Loop: Header=BB4_57 Depth=2
	s_bcnt1_i32_b64 s44, s[30:31]
	v_mov_b32_e32 v2, s44
	s_waitcnt lgkmcnt(0)
	ds_add_u64 v0, v[2:3]
	s_trap 2
.LBB4_178:                              ;   in Loop: Header=BB4_57 Depth=2
	s_or_b64 exec, exec, s[94:95]
	s_trap 2
	ds_read_b64 v[1:2], v0
	s_waitcnt lgkmcnt(0)
	v_add_co_u32_e32 v38, vcc, v38, v29
	v_addc_co_u32_e32 v39, vcc, 0, v39, vcc
	v_cmp_lt_u64_e32 vcc, v[1:2], v[38:39]
	s_and_saveexec_b64 s[94:95], vcc
	s_cbranch_execz .LBB4_187
; %bb.179:                              ;   in Loop: Header=BB4_57 Depth=2
	s_mov_b32 s44, 0
	s_mov_b64 s[30:31], 0
                                        ; implicit-def: $sgpr34_sgpr35
                                        ; implicit-def: $sgpr36_sgpr37
	s_branch .LBB4_181
.LBB4_180:                              ;   in Loop: Header=BB4_181 Depth=3
	s_or_b64 exec, exec, s[48:49]
	s_and_b64 vcc, exec, vcc
	s_or_b64 s[30:31], vcc, s[30:31]
	s_andn2_b64 vcc, s[34:35], exec
	s_and_b64 s[34:35], s[36:37], exec
	s_or_b64 s[34:35], vcc, s[34:35]
	s_andn2_b64 exec, exec, s[30:31]
	s_cbranch_execz .LBB4_185
.LBB4_181:                              ;   Parent Loop BB4_47 Depth=1
                                        ;     Parent Loop BB4_57 Depth=2
                                        ; =>    This Inner Loop Header: Depth=3
	s_add_i32 s44, s44, 1
	s_cmpk_lg_i32 s44, 0x2710
	s_cselect_b64 s[38:39], -1, 0
	s_and_b64 vcc, exec, s[38:39]
	s_cbranch_vccz .LBB4_183
; %bb.182:                              ;   in Loop: Header=BB4_181 Depth=3
	s_mov_b64 vcc, -1
	s_or_b64 s[36:37], s[36:37], exec
	s_and_saveexec_b64 s[48:49], s[38:39]
	s_cbranch_execz .LBB4_180
	s_branch .LBB4_184
.LBB4_183:                              ;   in Loop: Header=BB4_181 Depth=3
	s_trap 2
	ds_read_b64 v[1:2], v0
	s_andn2_b64 s[38:39], s[38:39], exec
	s_mov_b32 s44, 0
	s_waitcnt vmcnt(0) lgkmcnt(0)
	flat_load_dword v1, v[1:2] glc
	s_waitcnt vmcnt(0) lgkmcnt(0)
	buffer_wbinvl1_vol
	v_cmp_eq_u32_e32 vcc, 0, v1
	s_and_b64 vcc, vcc, exec
	s_or_b64 s[38:39], s[38:39], vcc
	s_mov_b64 vcc, -1
	s_or_b64 s[36:37], s[36:37], exec
	s_and_saveexec_b64 s[48:49], s[38:39]
	s_cbranch_execz .LBB4_180
.LBB4_184:                              ;   in Loop: Header=BB4_181 Depth=3
	s_sleep 1
	s_trap 2
	ds_read_b64 v[1:2], v0
	s_waitcnt lgkmcnt(0)
	s_andn2_b64 s[36:37], s[36:37], exec
	v_cmp_ge_u64_e32 vcc, v[1:2], v[38:39]
	s_orn2_b64 vcc, vcc, exec
	s_branch .LBB4_180
.LBB4_185:                              ;   in Loop: Header=BB4_57 Depth=2
	s_or_b64 exec, exec, s[30:31]
	s_and_saveexec_b64 s[44:45], s[34:35]
	s_xor_b64 s[44:45], exec, s[44:45]
	s_cbranch_execz .LBB4_187
; %bb.186:                              ;   in Loop: Header=BB4_57 Depth=2
	v_mov_b32_e32 v1, 1
	ds_write_b32 v0, v1
	s_trap 2
.LBB4_187:                              ;   in Loop: Header=BB4_57 Depth=2
	s_or_b64 exec, exec, s[94:95]
	;;#ASMSTART
	s_wakeup
	;;#ASMEND
.LBB4_188:                              ;   in Loop: Header=BB4_57 Depth=2
	s_or_b64 exec, exec, s[92:93]
.LBB4_189:                              ;   in Loop: Header=BB4_57 Depth=2
	s_andn2_saveexec_b64 s[90:91], s[90:91]
	s_cbranch_execz .LBB4_191
; %bb.190:                              ;   in Loop: Header=BB4_57 Depth=2
	;;#ASMSTART
	s_waitcnt lgkmcnt(0) vmcnt(0)
	;;#ASMEND
	s_waitcnt vmcnt(0) lgkmcnt(0)
	s_barrier
.LBB4_191:                              ;   in Loop: Header=BB4_57 Depth=2
	s_or_b64 exec, exec, s[90:91]
	v_and_b32_e32 v1, 16, v4
	s_or_b64 exec, exec, s[26:27]
	v_cmp_ne_u32_e32 vcc, 0, v1
	s_and_saveexec_b64 s[26:27], vcc
	s_cbranch_execz .LBB4_56
.LBB4_192:                              ;   in Loop: Header=BB4_57 Depth=2
	s_and_saveexec_b64 s[90:91], s[14:15]
	s_cbranch_execz .LBB4_55
; %bb.193:                              ;   in Loop: Header=BB4_57 Depth=2
	buffer_load_dword v1, off, s[0:3], s33 offset:100 ; 4-byte Folded Reload
	buffer_load_dword v2, off, s[0:3], s33 offset:104 ; 4-byte Folded Reload
	v_mov_b32_e32 v7, 1
	s_waitcnt vmcnt(0)
	flat_store_dword v[1:2], v7
	s_branch .LBB4_55
.LBB4_194:                              ;   in Loop: Header=BB4_47 Depth=1
	s_or_b64 exec, exec, s[40:41]
.LBB4_195:                              ;   in Loop: Header=BB4_47 Depth=1
	s_or_b64 exec, exec, s[28:29]
	v_cmp_gt_i32_e32 vcc, 2, v2
	s_and_saveexec_b64 s[28:29], vcc
	s_cbranch_execz .LBB4_267
; %bb.196:                              ;   in Loop: Header=BB4_47 Depth=1
	v_cmp_eq_u32_e64 s[42:43], 0, v2
	s_mov_b64 s[40:41], 0
	s_branch .LBB4_199
.LBB4_197:                              ;   in Loop: Header=BB4_199 Depth=2
	s_or_b64 exec, exec, s[42:43]
	buffer_load_dword v1, off, s[0:3], s33 offset:56 ; 4-byte Folded Reload
	buffer_load_dword v2, off, s[0:3], s33 offset:60 ; 4-byte Folded Reload
	s_waitcnt vmcnt(0)
	v_add_co_u32_e32 v1, vcc, 2, v1
	v_addc_co_u32_e32 v2, vcc, 0, v2, vcc
	buffer_store_dword v1, off, s[0:3], s33 offset:56 ; 4-byte Folded Spill
	s_nop 0
	buffer_store_dword v2, off, s[0:3], s33 offset:60 ; 4-byte Folded Spill
	flat_store_dwordx2 v[32:33], v[1:2]
.LBB4_198:                              ;   in Loop: Header=BB4_199 Depth=2
	s_or_b64 exec, exec, s[26:27]
	v_add_u32_e32 v6, v8, v6
	s_mov_b64 s[42:43], 0
	s_andn2_b64 exec, exec, s[40:41]
	s_cbranch_execz .LBB4_266
.LBB4_199:                              ;   Parent Loop BB4_47 Depth=1
                                        ; =>  This Loop Header: Depth=2
                                        ;       Child Loop BB4_205 Depth 3
                                        ;       Child Loop BB4_229 Depth 3
	;; [unrolled: 1-line block ×3, first 2 shown]
	v_sub_u32_e32 v1, v5, v6
	v_min_i32_e32 v8, v8, v1
	v_and_b32_e32 v1, 8, v4
	v_cmp_ne_u32_e32 vcc, 0, v1
	s_and_saveexec_b64 s[90:91], vcc
	s_cbranch_execz .LBB4_221
; %bb.200:                              ;   in Loop: Header=BB4_199 Depth=2
	buffer_load_dword v10, off, s[0:3], s33 offset:56 ; 4-byte Folded Reload
	buffer_load_dword v11, off, s[0:3], s33 offset:60 ; 4-byte Folded Reload
	s_waitcnt lgkmcnt(0)
	v_add_co_u32_e32 v1, vcc, 8, v48
	v_addc_co_u32_e32 v2, vcc, 0, v49, vcc
	s_waitcnt vmcnt(0)
	v_add_co_u32_e32 v10, vcc, 2, v10
	v_addc_co_u32_e32 v11, vcc, 0, v11, vcc
	v_cmp_lt_u64_e32 vcc, v[1:2], v[10:11]
	s_and_saveexec_b64 s[92:93], vcc
	s_cbranch_execz .LBB4_212
; %bb.201:                              ;   in Loop: Header=BB4_199 Depth=2
	v_and_b32_e32 v1, 64, v4
	s_mov_b32 s46, 0
	v_cmp_eq_u32_e32 vcc, 0, v1
	s_mov_b64 s[94:95], 0
                                        ; implicit-def: $sgpr30_sgpr31
                                        ; implicit-def: $sgpr34_sgpr35
                                        ; implicit-def: $sgpr36_sgpr37
	s_branch .LBB4_205
.LBB4_202:                              ;   in Loop: Header=BB4_205 Depth=3
	s_waitcnt vmcnt(0) lgkmcnt(0)
	v_add_co_u32_e64 v12, s[26:27], 8, v48
	v_addc_co_u32_e64 v13, s[26:27], 0, v49, s[26:27]
	v_cmp_ge_u64_e64 s[26:27], v[12:13], v[10:11]
	s_or_b64 s[50:51], s[50:51], exec
	s_orn2_b64 s[48:49], s[26:27], exec
.LBB4_203:                              ;   in Loop: Header=BB4_205 Depth=3
	s_or_b64 exec, exec, s[54:55]
	s_andn2_b64 s[26:27], s[36:37], exec
	s_and_b64 s[44:45], s[50:51], exec
	s_or_b64 s[36:37], s[26:27], s[44:45]
	s_andn2_b64 s[26:27], s[34:35], exec
	s_and_b64 s[44:45], s[48:49], exec
	s_or_b64 s[34:35], s[26:27], s[44:45]
.LBB4_204:                              ;   in Loop: Header=BB4_205 Depth=3
	s_or_b64 exec, exec, s[38:39]
	s_and_b64 s[26:27], exec, s[34:35]
	s_or_b64 s[94:95], s[26:27], s[94:95]
	s_andn2_b64 s[26:27], s[30:31], exec
	s_and_b64 s[44:45], s[36:37], exec
	s_or_b64 s[30:31], s[26:27], s[44:45]
	s_andn2_b64 exec, exec, s[94:95]
	s_cbranch_execz .LBB4_209
.LBB4_205:                              ;   Parent Loop BB4_47 Depth=1
                                        ;     Parent Loop BB4_199 Depth=2
                                        ; =>    This Inner Loop Header: Depth=3
	s_sleep 1
	s_waitcnt vmcnt(0) lgkmcnt(0)
	flat_load_dwordx2 v[48:49], v[32:33] glc
	s_or_b64 s[36:37], s[36:37], exec
	s_or_b64 s[34:35], s[34:35], exec
                                        ; implicit-def: $vgpr2
	s_and_saveexec_b64 s[38:39], vcc
	s_cbranch_execz .LBB4_204
; %bb.206:                              ;   in Loop: Header=BB4_205 Depth=3
	s_cmpk_lt_i32 s46, 0x270f
	s_cselect_b64 s[52:53], -1, 0
	s_cmpk_gt_i32 s46, 0x270e
	s_mov_b64 s[48:49], -1
	s_cbranch_scc0 .LBB4_208
; %bb.207:                              ;   in Loop: Header=BB4_205 Depth=3
	s_trap 2
	ds_read_b64 v[1:2], v0
	s_andn2_b64 s[44:45], s[52:53], exec
	s_mov_b32 s46, 0
	s_mov_b64 s[50:51], 0
	s_waitcnt vmcnt(0) lgkmcnt(0)
	flat_load_dword v2, v[1:2] glc
	s_waitcnt vmcnt(0) lgkmcnt(0)
	buffer_wbinvl1_vol
	v_cmp_eq_u32_e64 s[26:27], 0, v2
	s_and_b64 s[26:27], s[26:27], exec
	s_or_b64 s[52:53], s[44:45], s[26:27]
	s_and_saveexec_b64 s[54:55], s[52:53]
	s_cbranch_execz .LBB4_203
	s_branch .LBB4_202
.LBB4_208:                              ;   in Loop: Header=BB4_205 Depth=3
	s_add_i32 s46, s46, 1
	s_mov_b64 s[50:51], -1
                                        ; implicit-def: $vgpr2
	s_and_saveexec_b64 s[54:55], s[52:53]
	s_cbranch_execz .LBB4_203
	s_branch .LBB4_202
.LBB4_209:                              ;   in Loop: Header=BB4_199 Depth=2
	s_or_b64 exec, exec, s[94:95]
	s_xor_b64 s[26:27], s[30:31], -1
	s_and_saveexec_b64 s[44:45], s[26:27]
	s_xor_b64 s[26:27], exec, s[44:45]
	s_cbranch_execz .LBB4_211
; %bb.210:                              ;   in Loop: Header=BB4_199 Depth=2
	v_or_b32_e32 v4, 64, v4
	s_waitcnt lgkmcnt(0)
	ds_write_b32 v0, v2
	s_trap 2
.LBB4_211:                              ;   in Loop: Header=BB4_199 Depth=2
	s_or_b64 exec, exec, s[26:27]
.LBB4_212:                              ;   in Loop: Header=BB4_199 Depth=2
	s_or_b64 exec, exec, s[92:93]
	v_and_b32_e32 v1, 0x100, v4
	;;#ASMSTART
	s_wakeup
	;;#ASMEND
	v_cmp_ne_u32_e32 vcc, 0, v1
	buffer_load_dword v1, off, s[0:3], s33 offset:56 ; 4-byte Folded Reload
	buffer_load_dword v2, off, s[0:3], s33 offset:60 ; 4-byte Folded Reload
	s_mov_b64 s[26:27], -1
                                        ; implicit-def: $vgpr12_vgpr13
	s_waitcnt vmcnt(0)
	v_and_b32_e32 v2, 7, v1
	s_and_saveexec_b64 s[92:93], vcc
	s_cbranch_execz .LBB4_216
; %bb.213:                              ;   in Loop: Header=BB4_199 Depth=2
	buffer_load_dword v12, off, s[0:3], s33 offset:84 ; 4-byte Folded Reload
	buffer_load_dword v13, off, s[0:3], s33 offset:88 ; 4-byte Folded Reload
	;; [unrolled: 1-line block ×4, first 2 shown]
	v_ashrrev_i32_e32 v9, 31, v8
	s_waitcnt vmcnt(0)
	v_mad_u64_u32 v[14:15], s[26:27], v2, 24, v[12:13]
                                        ; implicit-def: $vgpr12_vgpr13
	flat_load_dword v1, v[14:15]
	s_nop 0
	flat_store_dwordx2 v[14:15], v[8:9] offset:8
	s_waitcnt vmcnt(0) lgkmcnt(0)
	v_cmp_ne_u32_e32 vcc, 1, v1
	v_cmp_eq_u32_e64 s[26:27], 1, v1
	s_and_saveexec_b64 s[94:95], s[26:27]
	s_cbranch_execz .LBB4_215
; %bb.214:                              ;   in Loop: Header=BB4_199 Depth=2
	flat_load_dword v12, v[14:15] offset:4 glc
	s_waitcnt vmcnt(0) lgkmcnt(0)
	v_ashrrev_i32_e32 v13, 31, v12
.LBB4_215:                              ;   in Loop: Header=BB4_199 Depth=2
	s_or_b64 exec, exec, s[94:95]
	s_orn2_b64 s[26:27], vcc, exec
.LBB4_216:                              ;   in Loop: Header=BB4_199 Depth=2
	s_or_b64 exec, exec, s[92:93]
	s_and_saveexec_b64 s[92:93], s[26:27]
	s_cbranch_execz .LBB4_218
; %bb.217:                              ;   in Loop: Header=BB4_199 Depth=2
	buffer_load_dword v1, off, s[0:3], s33 offset:116 ; 4-byte Folded Reload
	s_waitcnt vmcnt(0)
	v_mad_i64_i32 v[12:13], s[26:27], v2, v1, 0
.LBB4_218:                              ;   in Loop: Header=BB4_199 Depth=2
	s_or_b64 exec, exec, s[92:93]
	buffer_load_dword v1, off, s[0:3], s33 offset:76 ; 4-byte Folded Reload
	buffer_load_dword v2, off, s[0:3], s33 offset:80 ; 4-byte Folded Reload
	s_waitcnt vmcnt(0)
	v_add_co_u32_e32 v1, vcc, v1, v12
	v_addc_co_u32_e32 v2, vcc, v2, v13, vcc
	ds_write_b64 v0, v[1:2] offset:784
	v_and_b32_e32 v1, 0x2000, v4
	v_cmp_ne_u32_e32 vcc, 0, v1
	s_and_saveexec_b64 s[26:27], vcc
	s_cbranch_execz .LBB4_220
; %bb.219:                              ;   in Loop: Header=BB4_199 Depth=2
	ds_read_b64 v[1:2], v0 offset:872
	s_waitcnt lgkmcnt(0)
	v_add_co_u32_e32 v1, vcc, 1, v1
	v_addc_co_u32_e32 v2, vcc, 0, v2, vcc
	ds_write_b64 v0, v[1:2] offset:872
.LBB4_220:                              ;   in Loop: Header=BB4_199 Depth=2
	s_or_b64 exec, exec, s[26:27]
	buffer_store_dword v10, off, s[0:3], s33 offset:56 ; 4-byte Folded Spill
	s_nop 0
	buffer_store_dword v11, off, s[0:3], s33 offset:60 ; 4-byte Folded Spill
.LBB4_221:                              ;   in Loop: Header=BB4_199 Depth=2
	s_or_b64 exec, exec, s[90:91]
	s_xor_b64 s[26:27], s[42:43], -1
	s_and_b64 s[26:27], exec, s[26:27]
	s_or_b64 s[40:41], s[26:27], s[40:41]
	s_and_saveexec_b64 s[26:27], s[10:11]
	s_cbranch_execz .LBB4_240
; %bb.222:                              ;   in Loop: Header=BB4_199 Depth=2
	s_and_saveexec_b64 s[42:43], s[58:59]
	s_xor_b64 s[42:43], exec, s[42:43]
	s_cbranch_execz .LBB4_237
; %bb.223:                              ;   in Loop: Header=BB4_199 Depth=2
	s_and_saveexec_b64 s[90:91], s[16:17]
	s_cbranch_execz .LBB4_236
; %bb.224:                              ;   in Loop: Header=BB4_199 Depth=2
	s_mov_b64 s[94:95], exec
	v_mbcnt_lo_u32_b32 v1, s94, 0
	v_mbcnt_hi_u32_b32 v1, s95, v1
	v_cmp_eq_u32_e32 vcc, 0, v1
	s_waitcnt vmcnt(0) lgkmcnt(0)
	buffer_wbinvl1_vol
	s_and_saveexec_b64 s[92:93], vcc
	s_cbranch_execz .LBB4_226
; %bb.225:                              ;   in Loop: Header=BB4_199 Depth=2
	s_bcnt1_i32_b64 s44, s[94:95]
	v_mov_b32_e32 v2, s44
	ds_add_u64 v0, v[2:3]
	s_trap 2
.LBB4_226:                              ;   in Loop: Header=BB4_199 Depth=2
	s_or_b64 exec, exec, s[92:93]
	s_trap 2
	ds_read_b64 v[1:2], v0
	s_waitcnt lgkmcnt(0)
	v_add_co_u32_e32 v38, vcc, v38, v29
	v_addc_co_u32_e32 v39, vcc, 0, v39, vcc
	v_cmp_lt_u64_e32 vcc, v[1:2], v[38:39]
	s_and_saveexec_b64 s[92:93], vcc
	s_cbranch_execz .LBB4_235
; %bb.227:                              ;   in Loop: Header=BB4_199 Depth=2
	s_mov_b32 s44, 0
	s_mov_b64 s[94:95], 0
                                        ; implicit-def: $sgpr30_sgpr31
                                        ; implicit-def: $sgpr34_sgpr35
	s_branch .LBB4_229
.LBB4_228:                              ;   in Loop: Header=BB4_229 Depth=3
	s_or_b64 exec, exec, s[38:39]
	s_and_b64 s[46:47], exec, vcc
	s_or_b64 s[94:95], s[46:47], s[94:95]
	s_andn2_b64 s[46:47], s[30:31], exec
	s_and_b64 vcc, s[34:35], exec
	s_or_b64 s[30:31], s[46:47], vcc
	s_andn2_b64 exec, exec, s[94:95]
	s_cbranch_execz .LBB4_233
.LBB4_229:                              ;   Parent Loop BB4_47 Depth=1
                                        ;     Parent Loop BB4_199 Depth=2
                                        ; =>    This Inner Loop Header: Depth=3
	s_add_i32 s44, s44, 1
	s_cmpk_lg_i32 s44, 0x2710
	s_cselect_b64 s[36:37], -1, 0
	s_and_b64 vcc, exec, s[36:37]
	s_cbranch_vccz .LBB4_231
; %bb.230:                              ;   in Loop: Header=BB4_229 Depth=3
	s_mov_b64 vcc, -1
	s_or_b64 s[34:35], s[34:35], exec
	s_and_saveexec_b64 s[38:39], s[36:37]
	s_cbranch_execz .LBB4_228
	s_branch .LBB4_232
.LBB4_231:                              ;   in Loop: Header=BB4_229 Depth=3
	s_trap 2
	ds_read_b64 v[1:2], v0
	s_andn2_b64 s[46:47], s[36:37], exec
	s_mov_b32 s44, 0
	s_waitcnt lgkmcnt(0)
	flat_load_dword v1, v[1:2] glc
	s_waitcnt vmcnt(0) lgkmcnt(0)
	buffer_wbinvl1_vol
	v_cmp_eq_u32_e32 vcc, 0, v1
	s_and_b64 vcc, vcc, exec
	s_or_b64 s[36:37], s[46:47], vcc
	s_mov_b64 vcc, -1
	s_or_b64 s[34:35], s[34:35], exec
	s_and_saveexec_b64 s[38:39], s[36:37]
	s_cbranch_execz .LBB4_228
.LBB4_232:                              ;   in Loop: Header=BB4_229 Depth=3
	s_sleep 1
	s_trap 2
	ds_read_b64 v[1:2], v0
	s_waitcnt lgkmcnt(0)
	s_andn2_b64 s[34:35], s[34:35], exec
	v_cmp_ge_u64_e32 vcc, v[1:2], v[38:39]
	s_orn2_b64 vcc, vcc, exec
	s_branch .LBB4_228
.LBB4_233:                              ;   in Loop: Header=BB4_199 Depth=2
	s_or_b64 exec, exec, s[94:95]
	s_and_saveexec_b64 s[44:45], s[30:31]
	s_xor_b64 s[44:45], exec, s[44:45]
	s_cbranch_execz .LBB4_235
; %bb.234:                              ;   in Loop: Header=BB4_199 Depth=2
	v_mov_b32_e32 v1, 1
	ds_write_b32 v0, v1
	s_trap 2
.LBB4_235:                              ;   in Loop: Header=BB4_199 Depth=2
	s_or_b64 exec, exec, s[92:93]
	;;#ASMSTART
	s_wakeup
	;;#ASMEND
.LBB4_236:                              ;   in Loop: Header=BB4_199 Depth=2
	s_or_b64 exec, exec, s[90:91]
.LBB4_237:                              ;   in Loop: Header=BB4_199 Depth=2
	s_andn2_saveexec_b64 s[42:43], s[42:43]
	s_cbranch_execz .LBB4_239
; %bb.238:                              ;   in Loop: Header=BB4_199 Depth=2
	s_waitcnt vmcnt(0) lgkmcnt(0)
	buffer_wbinvl1_vol
	s_barrier
.LBB4_239:                              ;   in Loop: Header=BB4_199 Depth=2
	s_or_b64 exec, exec, s[42:43]
.LBB4_240:                              ;   in Loop: Header=BB4_199 Depth=2
	s_or_b64 exec, exec, s[26:27]
                                        ; implicit-def: $vgpr2
	s_and_saveexec_b64 s[26:27], s[24:25]
	s_xor_b64 s[26:27], exec, s[26:27]
	s_cbranch_execz .LBB4_245
; %bb.241:                              ;   in Loop: Header=BB4_199 Depth=2
	s_trap 2
	ds_read_b32 v1, v0
	v_cmp_lt_i32_e32 vcc, 0, v8
	v_and_b32_e32 v2, 16, v4
	s_waitcnt lgkmcnt(0)
	v_readfirstlane_b32 s42, v1
	s_cmp_eq_u32 s42, 0
	s_cselect_b64 s[42:43], -1, 0
	v_and_b32_e32 v1, 16, v4
	s_and_b64 s[42:43], vcc, s[42:43]
	v_cmp_ne_u32_e32 vcc, 0, v1
	s_and_b64 s[44:45], vcc, s[42:43]
	s_and_saveexec_b64 s[42:43], s[44:45]
	s_cbranch_execz .LBB4_243
; %bb.242:                              ;   in Loop: Header=BB4_199 Depth=2
	v_mov_b32_e32 v2, 1
	s_waitcnt vmcnt(0)
	buffer_wbinvl1_vol
.LBB4_243:                              ;   in Loop: Header=BB4_199 Depth=2
	s_or_b64 exec, exec, s[42:43]
	s_andn2_saveexec_b64 s[26:27], s[26:27]
	s_cbranch_execnz .LBB4_246
.LBB4_244:                              ;   in Loop: Header=BB4_199 Depth=2
	s_or_b64 exec, exec, s[26:27]
	v_cmp_ne_u32_e32 vcc, 0, v2
	s_and_saveexec_b64 s[26:27], vcc
	s_cbranch_execz .LBB4_198
	s_branch .LBB4_264
.LBB4_245:                              ;   in Loop: Header=BB4_199 Depth=2
	s_andn2_saveexec_b64 s[26:27], s[26:27]
	s_cbranch_execz .LBB4_244
.LBB4_246:                              ;   in Loop: Header=BB4_199 Depth=2
	s_and_saveexec_b64 s[42:43], s[58:59]
	s_xor_b64 s[42:43], exec, s[42:43]
	s_cbranch_execz .LBB4_261
; %bb.247:                              ;   in Loop: Header=BB4_199 Depth=2
	s_and_saveexec_b64 s[90:91], s[16:17]
	s_cbranch_execz .LBB4_260
; %bb.248:                              ;   in Loop: Header=BB4_199 Depth=2
	s_mov_b64 s[94:95], exec
	v_mbcnt_lo_u32_b32 v1, s94, 0
	v_mbcnt_hi_u32_b32 v1, s95, v1
	v_cmp_eq_u32_e32 vcc, 0, v1
	;;#ASMSTART
	s_waitcnt lgkmcnt(0) vmcnt(0)
	;;#ASMEND
	s_and_saveexec_b64 s[92:93], vcc
	s_cbranch_execz .LBB4_250
; %bb.249:                              ;   in Loop: Header=BB4_199 Depth=2
	s_bcnt1_i32_b64 s44, s[94:95]
	v_mov_b32_e32 v2, s44
	s_waitcnt lgkmcnt(0)
	ds_add_u64 v0, v[2:3]
	s_trap 2
.LBB4_250:                              ;   in Loop: Header=BB4_199 Depth=2
	s_or_b64 exec, exec, s[92:93]
	s_trap 2
	ds_read_b64 v[1:2], v0
	s_waitcnt lgkmcnt(0)
	v_add_co_u32_e32 v38, vcc, v38, v29
	v_addc_co_u32_e32 v39, vcc, 0, v39, vcc
	v_cmp_lt_u64_e32 vcc, v[1:2], v[38:39]
	s_and_saveexec_b64 s[92:93], vcc
	s_cbranch_execz .LBB4_259
; %bb.251:                              ;   in Loop: Header=BB4_199 Depth=2
	s_mov_b32 s44, 0
	s_mov_b64 s[94:95], 0
                                        ; implicit-def: $sgpr30_sgpr31
                                        ; implicit-def: $sgpr34_sgpr35
	s_branch .LBB4_253
.LBB4_252:                              ;   in Loop: Header=BB4_253 Depth=3
	s_or_b64 exec, exec, s[38:39]
	s_and_b64 s[46:47], exec, vcc
	s_or_b64 s[94:95], s[46:47], s[94:95]
	s_andn2_b64 s[46:47], s[30:31], exec
	s_and_b64 vcc, s[34:35], exec
	s_or_b64 s[30:31], s[46:47], vcc
	s_andn2_b64 exec, exec, s[94:95]
	s_cbranch_execz .LBB4_257
.LBB4_253:                              ;   Parent Loop BB4_47 Depth=1
                                        ;     Parent Loop BB4_199 Depth=2
                                        ; =>    This Inner Loop Header: Depth=3
	s_add_i32 s44, s44, 1
	s_cmpk_lg_i32 s44, 0x2710
	s_cselect_b64 s[36:37], -1, 0
	s_and_b64 vcc, exec, s[36:37]
	s_cbranch_vccz .LBB4_255
; %bb.254:                              ;   in Loop: Header=BB4_253 Depth=3
	s_mov_b64 vcc, -1
	s_or_b64 s[34:35], s[34:35], exec
	s_and_saveexec_b64 s[38:39], s[36:37]
	s_cbranch_execz .LBB4_252
	s_branch .LBB4_256
.LBB4_255:                              ;   in Loop: Header=BB4_253 Depth=3
	s_trap 2
	ds_read_b64 v[1:2], v0
	s_andn2_b64 s[46:47], s[36:37], exec
	s_mov_b32 s44, 0
	s_waitcnt vmcnt(0) lgkmcnt(0)
	flat_load_dword v1, v[1:2] glc
	s_waitcnt vmcnt(0) lgkmcnt(0)
	buffer_wbinvl1_vol
	v_cmp_eq_u32_e32 vcc, 0, v1
	s_and_b64 vcc, vcc, exec
	s_or_b64 s[36:37], s[46:47], vcc
	s_mov_b64 vcc, -1
	s_or_b64 s[34:35], s[34:35], exec
	s_and_saveexec_b64 s[38:39], s[36:37]
	s_cbranch_execz .LBB4_252
.LBB4_256:                              ;   in Loop: Header=BB4_253 Depth=3
	s_sleep 1
	s_trap 2
	ds_read_b64 v[1:2], v0
	s_waitcnt lgkmcnt(0)
	s_andn2_b64 s[34:35], s[34:35], exec
	v_cmp_ge_u64_e32 vcc, v[1:2], v[38:39]
	s_orn2_b64 vcc, vcc, exec
	s_branch .LBB4_252
.LBB4_257:                              ;   in Loop: Header=BB4_199 Depth=2
	s_or_b64 exec, exec, s[94:95]
	s_and_saveexec_b64 s[44:45], s[30:31]
	s_xor_b64 s[44:45], exec, s[44:45]
	s_cbranch_execz .LBB4_259
; %bb.258:                              ;   in Loop: Header=BB4_199 Depth=2
	v_mov_b32_e32 v1, 1
	ds_write_b32 v0, v1
	s_trap 2
.LBB4_259:                              ;   in Loop: Header=BB4_199 Depth=2
	s_or_b64 exec, exec, s[92:93]
	;;#ASMSTART
	s_wakeup
	;;#ASMEND
.LBB4_260:                              ;   in Loop: Header=BB4_199 Depth=2
	s_or_b64 exec, exec, s[90:91]
.LBB4_261:                              ;   in Loop: Header=BB4_199 Depth=2
	s_andn2_saveexec_b64 s[42:43], s[42:43]
	s_cbranch_execz .LBB4_263
; %bb.262:                              ;   in Loop: Header=BB4_199 Depth=2
	;;#ASMSTART
	s_waitcnt lgkmcnt(0) vmcnt(0)
	;;#ASMEND
	s_waitcnt vmcnt(0) lgkmcnt(0)
	s_barrier
.LBB4_263:                              ;   in Loop: Header=BB4_199 Depth=2
	s_or_b64 exec, exec, s[42:43]
	v_and_b32_e32 v2, 16, v4
	s_or_b64 exec, exec, s[26:27]
	v_cmp_ne_u32_e32 vcc, 0, v2
	s_and_saveexec_b64 s[26:27], vcc
	s_cbranch_execz .LBB4_198
.LBB4_264:                              ;   in Loop: Header=BB4_199 Depth=2
	s_and_saveexec_b64 s[42:43], s[14:15]
	s_cbranch_execz .LBB4_197
; %bb.265:                              ;   in Loop: Header=BB4_199 Depth=2
	buffer_load_dword v1, off, s[0:3], s33 offset:100 ; 4-byte Folded Reload
	buffer_load_dword v2, off, s[0:3], s33 offset:104 ; 4-byte Folded Reload
	v_mov_b32_e32 v7, 1
	s_waitcnt vmcnt(0)
	flat_store_dword v[1:2], v7
	s_branch .LBB4_197
.LBB4_266:                              ;   in Loop: Header=BB4_47 Depth=1
	s_or_b64 exec, exec, s[40:41]
.LBB4_267:                              ;   in Loop: Header=BB4_47 Depth=1
	s_or_b64 exec, exec, s[28:29]
	v_cndmask_b32_e64 v1, 0, 1, s[74:75]
	v_cmp_ne_u32_e64 s[26:27], 1, v1
	s_andn2_b64 vcc, exec, s[74:75]
	s_cbranch_vccnz .LBB4_2381
; %bb.268:                              ;   in Loop: Header=BB4_47 Depth=1
	s_mov_b32 s46, 2
	s_branch .LBB4_271
.LBB4_269:                              ;   in Loop: Header=BB4_271 Depth=2
	s_or_b64 exec, exec, s[42:43]
.LBB4_270:                              ;   in Loop: Header=BB4_271 Depth=2
	s_or_b64 exec, exec, s[40:41]
	s_add_i32 s46, s46, 1
	s_cmp_eq_u32 s46, s66
	s_cbranch_scc1 .LBB4_2380
.LBB4_271:                              ;   Parent Loop BB4_47 Depth=1
                                        ; =>  This Loop Header: Depth=2
                                        ;       Child Loop BB4_274 Depth 3
                                        ;         Child Loop BB4_282 Depth 4
                                        ;         Child Loop BB4_310 Depth 4
	;; [unrolled: 1-line block ×9, first 2 shown]
                                        ;       Child Loop BB4_2308 Depth 3
                                        ;         Child Loop BB4_2314 Depth 4
                                        ;         Child Loop BB4_2342 Depth 4
	;; [unrolled: 1-line block ×3, first 2 shown]
	buffer_load_dword v5, off, s[0:3], s33 offset:220 ; 4-byte Folded Reload
	buffer_load_dword v6, off, s[0:3], s33 offset:224 ; 4-byte Folded Reload
	s_sub_i32 s28, s83, s46
	s_cmp_ge_i32 s28, s66
	s_cselect_b32 s29, s66, 0
	s_sub_i32 s28, s28, s29
	s_ashr_i32 s40, s28, 31
	v_mov_b32_e32 v61, 0
	s_waitcnt vmcnt(0)
	v_mul_lo_u32 v2, v5, s40
	v_mul_lo_u32 v1, v6, s28
	v_mad_u64_u32 v[7:8], s[28:29], v5, s28, 0
	v_add3_u32 v8, v8, v2, v1
	buffer_load_dword v1, off, s[0:3], s33 offset:212 ; 4-byte Folded Reload
	buffer_load_dword v2, off, s[0:3], s33 offset:216 ; 4-byte Folded Reload
	s_waitcnt vmcnt(0)
	v_sub_co_u32_e32 v1, vcc, v1, v7
	buffer_store_dword v7, off, s[0:3], s33 offset:164 ; 4-byte Folded Spill
	s_nop 0
	buffer_store_dword v8, off, s[0:3], s33 offset:168 ; 4-byte Folded Spill
	v_subb_co_u32_e32 v2, vcc, v2, v8, vcc
	v_cmp_lt_i64_e32 vcc, v[5:6], v[1:2]
	v_cndmask_b32_e32 v1, v1, v5, vcc
	v_max_i32_e32 v20, 0, v1
	v_add_u32_e32 v2, 31, v20
	v_lshrrev_b32_e32 v2, 1, v2
	v_and_b32_e32 v2, 0x3ffffff0, v2
	v_cmp_lt_i32_e32 vcc, 0, v1
	v_max_i32_e32 v44, s86, v2
	s_and_b64 s[28:29], s[78:79], vcc
	v_mov_b32_e32 v2, 0
	s_and_saveexec_b64 s[42:43], s[28:29]
	s_cbranch_execz .LBB4_2304
; %bb.272:                              ;   in Loop: Header=BB4_271 Depth=2
	s_mov_b32 s47, 1
	s_mov_b64 s[92:93], -1
	v_mov_b32_e32 v61, 0
	s_mov_b64 s[90:91], 0
	buffer_store_dword v20, off, s[0:3], s33 offset:188 ; 4-byte Folded Spill
	s_branch .LBB4_274
.LBB4_273:                              ;   in Loop: Header=BB4_274 Depth=3
	s_or_b64 exec, exec, s[28:29]
	v_add_u32_e32 v61, v44, v61
	v_cmp_ge_i32_e32 vcc, v61, v20
	s_xor_b64 s[28:29], s[92:93], -1
	s_or_b64 s[28:29], s[28:29], vcc
	s_and_b64 s[28:29], exec, s[28:29]
	s_or_b64 s[90:91], s[28:29], s[90:91]
	s_mov_b64 s[92:93], 0
	v_mov_b32_e32 v2, s47
	s_mov_b32 s47, 2
	s_andn2_b64 exec, exec, s[90:91]
	s_cbranch_execz .LBB4_2305
.LBB4_274:                              ;   Parent Loop BB4_47 Depth=1
                                        ;     Parent Loop BB4_271 Depth=2
                                        ; =>    This Loop Header: Depth=3
                                        ;         Child Loop BB4_282 Depth 4
                                        ;         Child Loop BB4_310 Depth 4
	;; [unrolled: 1-line block ×9, first 2 shown]
	s_and_saveexec_b64 s[28:29], s[4:5]
	s_cbranch_execz .LBB4_276
; %bb.275:                              ;   in Loop: Header=BB4_274 Depth=3
	s_trap 2
	buffer_load_dword v5, off, s[0:3], s33 offset:156 ; 4-byte Folded Reload
	ds_read_b64 v[1:2], v0
	s_waitcnt vmcnt(0) lgkmcnt(0)
	v_add_co_u32_e32 v1, vcc, v1, v5
	buffer_load_dword v5, off, s[0:3], s33 offset:160 ; 4-byte Folded Reload
	s_waitcnt vmcnt(0)
	v_addc_co_u32_e32 v2, vcc, v2, v5, vcc
	buffer_load_dword v5, off, s[0:3], s33 offset:164 ; 4-byte Folded Reload
	buffer_load_dword v6, off, s[0:3], s33 offset:168 ; 4-byte Folded Reload
	s_waitcnt vmcnt(1)
	v_add_co_u32_e32 v1, vcc, v1, v5
	s_waitcnt vmcnt(0)
	v_addc_co_u32_e32 v2, vcc, v2, v6, vcc
	v_ashrrev_i32_e32 v5, 31, v61
	v_add_co_u32_e32 v1, vcc, v1, v61
	v_addc_co_u32_e32 v2, vcc, v2, v5, vcc
	ds_write_b64 v0, v[1:2]
	v_mov_b32_e32 v2, v3
	ds_write_b64 v0, v[2:3]
.LBB4_276:                              ;   in Loop: Header=BB4_274 Depth=3
	s_or_b64 exec, exec, s[28:29]
	v_sub_u32_e32 v1, v20, v61
	v_min_i32_e32 v44, v44, v1
	v_and_b32_e32 v1, 12, v4
	v_cmp_ne_u32_e32 vcc, 0, v1
	s_and_saveexec_b64 s[40:41], vcc
	s_cbranch_execz .LBB4_302
; %bb.277:                              ;   in Loop: Header=BB4_274 Depth=3
	buffer_load_dword v8, off, s[0:3], s33 offset:56 ; 4-byte Folded Reload
	buffer_load_dword v9, off, s[0:3], s33 offset:60 ; 4-byte Folded Reload
	v_and_b32_e32 v2, 8, v4
	s_waitcnt lgkmcnt(0)
	v_add_co_u32_e32 v5, vcc, v48, v2
	v_addc_co_u32_e32 v6, vcc, 0, v49, vcc
	s_waitcnt vmcnt(0)
	v_add_co_u32_e32 v8, vcc, 2, v8
	s_waitcnt vmcnt(0)
	v_addc_co_u32_e32 v9, vcc, 0, v9, vcc
	v_cmp_lt_u64_e32 vcc, v[5:6], v[8:9]
	s_and_saveexec_b64 s[94:95], vcc
	s_cbranch_execz .LBB4_289
; %bb.278:                              ;   in Loop: Header=BB4_274 Depth=3
	v_and_b32_e32 v1, 64, v4
	s_mov_b32 s44, 0
	v_cmp_eq_u32_e32 vcc, 0, v1
	s_mov_b64 s[30:31], 0
                                        ; implicit-def: $sgpr34_sgpr35
                                        ; implicit-def: $sgpr36_sgpr37
                                        ; implicit-def: $sgpr38_sgpr39
	s_branch .LBB4_282
.LBB4_279:                              ;   in Loop: Header=BB4_282 Depth=4
	s_waitcnt vmcnt(0) lgkmcnt(0)
	v_add_co_u32_e64 v6, s[28:29], v48, v2
	v_addc_co_u32_e64 v7, s[28:29], 0, v49, s[28:29]
	v_cmp_ge_u64_e64 s[28:29], v[6:7], v[8:9]
	s_or_b64 s[52:53], s[52:53], exec
	s_orn2_b64 s[50:51], s[28:29], exec
.LBB4_280:                              ;   in Loop: Header=BB4_282 Depth=4
	s_or_b64 exec, exec, s[64:65]
	s_andn2_b64 s[28:29], s[38:39], exec
	s_and_b64 s[38:39], s[52:53], exec
	s_or_b64 s[38:39], s[28:29], s[38:39]
	s_andn2_b64 s[28:29], s[36:37], exec
	s_and_b64 s[36:37], s[50:51], exec
	s_or_b64 s[36:37], s[28:29], s[36:37]
.LBB4_281:                              ;   in Loop: Header=BB4_282 Depth=4
	s_or_b64 exec, exec, s[48:49]
	s_and_b64 s[28:29], exec, s[36:37]
	s_or_b64 s[30:31], s[28:29], s[30:31]
	s_andn2_b64 s[28:29], s[34:35], exec
	s_and_b64 s[34:35], s[38:39], exec
	s_or_b64 s[34:35], s[28:29], s[34:35]
	s_andn2_b64 exec, exec, s[30:31]
	s_cbranch_execz .LBB4_286
.LBB4_282:                              ;   Parent Loop BB4_47 Depth=1
                                        ;     Parent Loop BB4_271 Depth=2
                                        ;       Parent Loop BB4_274 Depth=3
                                        ; =>      This Inner Loop Header: Depth=4
	s_sleep 1
	s_waitcnt vmcnt(0) lgkmcnt(0)
	flat_load_dwordx2 v[48:49], v[32:33] glc
	s_or_b64 s[38:39], s[38:39], exec
	s_or_b64 s[36:37], s[36:37], exec
                                        ; implicit-def: $vgpr5
	s_and_saveexec_b64 s[48:49], vcc
	s_cbranch_execz .LBB4_281
; %bb.283:                              ;   in Loop: Header=BB4_282 Depth=4
	s_cmpk_lt_i32 s44, 0x270f
	s_cselect_b64 s[54:55], -1, 0
	s_cmpk_gt_i32 s44, 0x270e
	s_mov_b64 s[50:51], -1
	s_cbranch_scc0 .LBB4_285
; %bb.284:                              ;   in Loop: Header=BB4_282 Depth=4
	s_trap 2
	ds_read_b64 v[5:6], v0
	s_andn2_b64 s[54:55], s[54:55], exec
	s_mov_b32 s44, 0
	s_mov_b64 s[52:53], 0
	s_waitcnt vmcnt(0) lgkmcnt(0)
	flat_load_dword v5, v[5:6] glc
	s_waitcnt vmcnt(0) lgkmcnt(0)
	buffer_wbinvl1_vol
	v_cmp_eq_u32_e64 s[28:29], 0, v5
	s_and_b64 s[28:29], s[28:29], exec
	s_or_b64 s[54:55], s[54:55], s[28:29]
	s_and_saveexec_b64 s[64:65], s[54:55]
	s_cbranch_execz .LBB4_280
	s_branch .LBB4_279
.LBB4_285:                              ;   in Loop: Header=BB4_282 Depth=4
	s_add_i32 s44, s44, 1
	s_mov_b64 s[52:53], -1
                                        ; implicit-def: $vgpr5
	s_and_saveexec_b64 s[64:65], s[54:55]
	s_cbranch_execz .LBB4_280
	s_branch .LBB4_279
.LBB4_286:                              ;   in Loop: Header=BB4_274 Depth=3
	s_or_b64 exec, exec, s[30:31]
	s_xor_b64 s[28:29], s[34:35], -1
	s_and_saveexec_b64 s[44:45], s[28:29]
	s_xor_b64 s[28:29], exec, s[44:45]
	s_cbranch_execz .LBB4_288
; %bb.287:                              ;   in Loop: Header=BB4_274 Depth=3
	v_or_b32_e32 v4, 64, v4
	s_waitcnt lgkmcnt(0)
	ds_write_b32 v0, v5
	s_trap 2
.LBB4_288:                              ;   in Loop: Header=BB4_274 Depth=3
	s_or_b64 exec, exec, s[28:29]
.LBB4_289:                              ;   in Loop: Header=BB4_274 Depth=3
	s_or_b64 exec, exec, s[94:95]
	v_and_b32_e32 v1, 0x108, v4
	v_cmp_ne_u32_e32 vcc, s69, v1
	;;#ASMSTART
	s_wakeup
	;;#ASMEND
	s_and_saveexec_b64 s[28:29], vcc
	s_xor_b64 s[28:29], exec, s[28:29]
                                        ; implicit-def: $vgpr5
	s_cbranch_execz .LBB4_291
; %bb.290:                              ;   in Loop: Header=BB4_274 Depth=3
	buffer_load_dword v5, off, s[0:3], s33 offset:56 ; 4-byte Folded Reload
	buffer_load_dword v6, off, s[0:3], s33 offset:60 ; 4-byte Folded Reload
                                        ; implicit-def: $vgpr6_vgpr7
                                        ; kill: killed $vgpr6_vgpr7
	s_waitcnt vmcnt(0)
	v_and_b32_e32 v5, 7, v5
.LBB4_291:                              ;   in Loop: Header=BB4_274 Depth=3
	s_andn2_saveexec_b64 s[28:29], s[28:29]
	s_cbranch_execz .LBB4_293
; %bb.292:                              ;   in Loop: Header=BB4_274 Depth=3
	buffer_load_dword v5, off, s[0:3], s33 offset:56 ; 4-byte Folded Reload
	buffer_load_dword v6, off, s[0:3], s33 offset:60 ; 4-byte Folded Reload
	;; [unrolled: 1-line block ×6, first 2 shown]
	v_ashrrev_i32_e32 v45, 31, v44
	s_waitcnt vmcnt(0)
	v_and_b32_e32 v5, 7, v5
	v_mad_u64_u32 v[6:7], s[44:45], v5, 24, v[10:11]
	flat_store_dwordx2 v[6:7], v[44:45] offset:8
.LBB4_293:                              ;   in Loop: Header=BB4_274 Depth=3
	s_or_b64 exec, exec, s[28:29]
	v_and_b32_e32 v1, 0x100, v4
	v_cmp_ne_u32_e32 vcc, 0, v1
	s_mov_b64 s[28:29], -1
                                        ; implicit-def: $vgpr10_vgpr11
	s_and_saveexec_b64 s[94:95], vcc
	s_cbranch_execz .LBB4_297
; %bb.294:                              ;   in Loop: Header=BB4_274 Depth=3
	buffer_load_dword v10, off, s[0:3], s33 offset:84 ; 4-byte Folded Reload
	buffer_load_dword v11, off, s[0:3], s33 offset:88 ; 4-byte Folded Reload
	;; [unrolled: 1-line block ×4, first 2 shown]
	s_waitcnt vmcnt(0)
	v_mad_u64_u32 v[12:13], s[28:29], v5, 24, v[10:11]
                                        ; implicit-def: $vgpr10_vgpr11
	v_mov_b32_e32 v1, v13
	v_mad_u64_u32 v[6:7], s[28:29], v3, 24, v[1:2]
	v_mov_b32_e32 v13, v6
	flat_load_dword v1, v[12:13]
	s_waitcnt vmcnt(0) lgkmcnt(0)
	v_cmp_ne_u32_e32 vcc, 1, v1
	v_cmp_eq_u32_e64 s[28:29], 1, v1
	s_and_saveexec_b64 s[30:31], s[28:29]
	s_cbranch_execz .LBB4_296
; %bb.295:                              ;   in Loop: Header=BB4_274 Depth=3
	flat_load_dword v10, v[12:13] offset:4 glc
	s_waitcnt vmcnt(0) lgkmcnt(0)
	v_ashrrev_i32_e32 v11, 31, v10
.LBB4_296:                              ;   in Loop: Header=BB4_274 Depth=3
	s_or_b64 exec, exec, s[30:31]
	s_orn2_b64 s[28:29], vcc, exec
.LBB4_297:                              ;   in Loop: Header=BB4_274 Depth=3
	s_or_b64 exec, exec, s[94:95]
	s_and_saveexec_b64 s[94:95], s[28:29]
	s_cbranch_execz .LBB4_299
; %bb.298:                              ;   in Loop: Header=BB4_274 Depth=3
	buffer_load_dword v7, off, s[0:3], s33 offset:116 ; 4-byte Folded Reload
	buffer_load_dword v6, off, s[0:3], s33 offset:136 ; 4-byte Folded Reload
	s_waitcnt vmcnt(0)
	v_mul_lo_u32 v1, v3, v7
	v_mul_lo_u32 v6, v5, v6
	v_mad_u64_u32 v[10:11], s[28:29], v5, v7, 0
	v_add3_u32 v11, v11, v6, v1
.LBB4_299:                              ;   in Loop: Header=BB4_274 Depth=3
	s_or_b64 exec, exec, s[94:95]
	v_cmp_eq_u32_e32 vcc, 0, v2
	v_mov_b32_e32 v1, 0xc8
	v_mov_b32_e32 v2, 0x90
	v_cndmask_b32_e32 v5, v1, v2, vcc
	buffer_load_dword v1, off, s[0:3], s33 offset:76 ; 4-byte Folded Reload
	buffer_load_dword v2, off, s[0:3], s33 offset:80 ; 4-byte Folded Reload
	v_add_u32_e32 v5, v0, v5
	s_waitcnt vmcnt(0)
	v_add_co_u32_e32 v1, vcc, v1, v10
	v_addc_co_u32_e32 v2, vcc, v2, v11, vcc
	ds_write_b64 v5, v[1:2] offset:584
	v_and_b32_e32 v1, 0x2000, v4
	v_cmp_ne_u32_e32 vcc, 0, v1
	s_and_saveexec_b64 s[28:29], vcc
	s_cbranch_execz .LBB4_301
; %bb.300:                              ;   in Loop: Header=BB4_274 Depth=3
	ds_read_b64 v[1:2], v0 offset:872
	s_waitcnt lgkmcnt(0)
	v_add_co_u32_e32 v1, vcc, 1, v1
	v_addc_co_u32_e32 v2, vcc, 0, v2, vcc
	ds_write_b64 v0, v[1:2] offset:872
.LBB4_301:                              ;   in Loop: Header=BB4_274 Depth=3
	s_or_b64 exec, exec, s[28:29]
	buffer_store_dword v8, off, s[0:3], s33 offset:56 ; 4-byte Folded Spill
	s_nop 0
	buffer_store_dword v9, off, s[0:3], s33 offset:60 ; 4-byte Folded Spill
.LBB4_302:                              ;   in Loop: Header=BB4_274 Depth=3
	s_or_b64 exec, exec, s[40:41]
	s_and_saveexec_b64 s[28:29], s[10:11]
	s_cbranch_execz .LBB4_321
; %bb.303:                              ;   in Loop: Header=BB4_274 Depth=3
	s_and_saveexec_b64 s[40:41], s[58:59]
	s_xor_b64 s[40:41], exec, s[40:41]
	s_cbranch_execz .LBB4_318
; %bb.304:                              ;   in Loop: Header=BB4_274 Depth=3
	s_and_saveexec_b64 s[94:95], s[16:17]
	s_cbranch_execz .LBB4_317
; %bb.305:                              ;   in Loop: Header=BB4_274 Depth=3
	s_mov_b64 s[34:35], exec
	v_mbcnt_lo_u32_b32 v1, s34, 0
	v_mbcnt_hi_u32_b32 v1, s35, v1
	v_cmp_eq_u32_e32 vcc, 0, v1
	s_waitcnt vmcnt(0) lgkmcnt(0)
	buffer_wbinvl1_vol
	s_and_saveexec_b64 s[30:31], vcc
	s_cbranch_execz .LBB4_307
; %bb.306:                              ;   in Loop: Header=BB4_274 Depth=3
	s_bcnt1_i32_b64 s44, s[34:35]
	v_mov_b32_e32 v2, s44
	ds_add_u64 v0, v[2:3]
	s_trap 2
.LBB4_307:                              ;   in Loop: Header=BB4_274 Depth=3
	s_or_b64 exec, exec, s[30:31]
	s_trap 2
	ds_read_b64 v[1:2], v0
	s_waitcnt lgkmcnt(0)
	v_add_co_u32_e32 v38, vcc, v38, v29
	v_addc_co_u32_e32 v39, vcc, 0, v39, vcc
	v_cmp_lt_u64_e32 vcc, v[1:2], v[38:39]
	s_and_saveexec_b64 s[30:31], vcc
	s_cbranch_execz .LBB4_316
; %bb.308:                              ;   in Loop: Header=BB4_274 Depth=3
	s_mov_b32 s44, 0
	s_mov_b64 s[34:35], 0
                                        ; implicit-def: $sgpr36_sgpr37
                                        ; implicit-def: $sgpr38_sgpr39
	s_branch .LBB4_310
.LBB4_309:                              ;   in Loop: Header=BB4_310 Depth=4
	s_or_b64 exec, exec, s[50:51]
	s_and_b64 vcc, exec, vcc
	s_or_b64 s[34:35], vcc, s[34:35]
	s_andn2_b64 vcc, s[36:37], exec
	s_and_b64 s[36:37], s[38:39], exec
	s_or_b64 s[36:37], vcc, s[36:37]
	s_andn2_b64 exec, exec, s[34:35]
	s_cbranch_execz .LBB4_314
.LBB4_310:                              ;   Parent Loop BB4_47 Depth=1
                                        ;     Parent Loop BB4_271 Depth=2
                                        ;       Parent Loop BB4_274 Depth=3
                                        ; =>      This Inner Loop Header: Depth=4
	s_add_i32 s44, s44, 1
	s_cmpk_lg_i32 s44, 0x2710
	s_cselect_b64 s[48:49], -1, 0
	s_and_b64 vcc, exec, s[48:49]
	s_cbranch_vccz .LBB4_312
; %bb.311:                              ;   in Loop: Header=BB4_310 Depth=4
	s_mov_b64 vcc, -1
	s_or_b64 s[38:39], s[38:39], exec
	s_and_saveexec_b64 s[50:51], s[48:49]
	s_cbranch_execz .LBB4_309
	s_branch .LBB4_313
.LBB4_312:                              ;   in Loop: Header=BB4_310 Depth=4
	s_trap 2
	ds_read_b64 v[1:2], v0
	s_andn2_b64 s[48:49], s[48:49], exec
	s_mov_b32 s44, 0
	s_waitcnt lgkmcnt(0)
	flat_load_dword v1, v[1:2] glc
	s_waitcnt vmcnt(0) lgkmcnt(0)
	buffer_wbinvl1_vol
	v_cmp_eq_u32_e32 vcc, 0, v1
	s_and_b64 vcc, vcc, exec
	s_or_b64 s[48:49], s[48:49], vcc
	s_mov_b64 vcc, -1
	s_or_b64 s[38:39], s[38:39], exec
	s_and_saveexec_b64 s[50:51], s[48:49]
	s_cbranch_execz .LBB4_309
.LBB4_313:                              ;   in Loop: Header=BB4_310 Depth=4
	s_sleep 1
	s_trap 2
	ds_read_b64 v[1:2], v0
	s_waitcnt lgkmcnt(0)
	s_andn2_b64 s[38:39], s[38:39], exec
	v_cmp_ge_u64_e32 vcc, v[1:2], v[38:39]
	s_orn2_b64 vcc, vcc, exec
	s_branch .LBB4_309
.LBB4_314:                              ;   in Loop: Header=BB4_274 Depth=3
	s_or_b64 exec, exec, s[34:35]
	s_and_saveexec_b64 s[44:45], s[36:37]
	s_xor_b64 s[44:45], exec, s[44:45]
	s_cbranch_execz .LBB4_316
; %bb.315:                              ;   in Loop: Header=BB4_274 Depth=3
	v_mov_b32_e32 v1, 1
	ds_write_b32 v0, v1
	s_trap 2
.LBB4_316:                              ;   in Loop: Header=BB4_274 Depth=3
	s_or_b64 exec, exec, s[30:31]
	;;#ASMSTART
	s_wakeup
	;;#ASMEND
.LBB4_317:                              ;   in Loop: Header=BB4_274 Depth=3
	s_or_b64 exec, exec, s[94:95]
.LBB4_318:                              ;   in Loop: Header=BB4_274 Depth=3
	s_andn2_saveexec_b64 s[40:41], s[40:41]
	s_cbranch_execz .LBB4_320
; %bb.319:                              ;   in Loop: Header=BB4_274 Depth=3
	s_waitcnt vmcnt(0) lgkmcnt(0)
	buffer_wbinvl1_vol
	s_barrier
.LBB4_320:                              ;   in Loop: Header=BB4_274 Depth=3
	s_or_b64 exec, exec, s[40:41]
.LBB4_321:                              ;   in Loop: Header=BB4_274 Depth=3
	s_or_b64 exec, exec, s[28:29]
	s_trap 2
	ds_read_b32 v5, v0
	v_and_b32_e32 v1, 0x4000, v4
	v_cmp_ne_u32_e32 vcc, 0, v1
	s_xor_b64 s[28:29], s[6:7], -1
	s_and_b64 s[40:41], s[28:29], vcc
	s_and_saveexec_b64 s[28:29], s[40:41]
	s_cbranch_execz .LBB4_340
; %bb.322:                              ;   in Loop: Header=BB4_274 Depth=3
	s_and_saveexec_b64 s[40:41], s[58:59]
	s_xor_b64 s[40:41], exec, s[40:41]
	s_cbranch_execz .LBB4_337
; %bb.323:                              ;   in Loop: Header=BB4_274 Depth=3
	s_and_saveexec_b64 s[94:95], s[16:17]
	s_cbranch_execz .LBB4_336
; %bb.324:                              ;   in Loop: Header=BB4_274 Depth=3
	s_mov_b64 s[34:35], exec
	v_mbcnt_lo_u32_b32 v1, s34, 0
	v_mbcnt_hi_u32_b32 v1, s35, v1
	v_cmp_eq_u32_e32 vcc, 0, v1
	s_waitcnt vmcnt(0) lgkmcnt(0)
	buffer_wbinvl1_vol
	s_and_saveexec_b64 s[30:31], vcc
	s_cbranch_execz .LBB4_326
; %bb.325:                              ;   in Loop: Header=BB4_274 Depth=3
	s_bcnt1_i32_b64 s44, s[34:35]
	v_mov_b32_e32 v2, s44
	ds_add_u64 v0, v[2:3]
	s_trap 2
.LBB4_326:                              ;   in Loop: Header=BB4_274 Depth=3
	s_or_b64 exec, exec, s[30:31]
	s_trap 2
	ds_read_b64 v[1:2], v0
	s_waitcnt lgkmcnt(0)
	v_add_co_u32_e32 v38, vcc, v38, v29
	v_addc_co_u32_e32 v39, vcc, 0, v39, vcc
	v_cmp_lt_u64_e32 vcc, v[1:2], v[38:39]
	s_and_saveexec_b64 s[30:31], vcc
	s_cbranch_execz .LBB4_335
; %bb.327:                              ;   in Loop: Header=BB4_274 Depth=3
	s_mov_b32 s44, 0
	s_mov_b64 s[34:35], 0
                                        ; implicit-def: $sgpr36_sgpr37
                                        ; implicit-def: $sgpr38_sgpr39
	s_branch .LBB4_329
.LBB4_328:                              ;   in Loop: Header=BB4_329 Depth=4
	s_or_b64 exec, exec, s[50:51]
	s_and_b64 vcc, exec, vcc
	s_or_b64 s[34:35], vcc, s[34:35]
	s_andn2_b64 vcc, s[36:37], exec
	s_and_b64 s[36:37], s[38:39], exec
	s_or_b64 s[36:37], vcc, s[36:37]
	s_andn2_b64 exec, exec, s[34:35]
	s_cbranch_execz .LBB4_333
.LBB4_329:                              ;   Parent Loop BB4_47 Depth=1
                                        ;     Parent Loop BB4_271 Depth=2
                                        ;       Parent Loop BB4_274 Depth=3
                                        ; =>      This Inner Loop Header: Depth=4
	s_add_i32 s44, s44, 1
	s_cmpk_lg_i32 s44, 0x2710
	s_cselect_b64 s[48:49], -1, 0
	s_and_b64 vcc, exec, s[48:49]
	s_cbranch_vccz .LBB4_331
; %bb.330:                              ;   in Loop: Header=BB4_329 Depth=4
	s_mov_b64 vcc, -1
	s_or_b64 s[38:39], s[38:39], exec
	s_and_saveexec_b64 s[50:51], s[48:49]
	s_cbranch_execz .LBB4_328
	s_branch .LBB4_332
.LBB4_331:                              ;   in Loop: Header=BB4_329 Depth=4
	s_trap 2
	ds_read_b64 v[1:2], v0
	s_andn2_b64 s[48:49], s[48:49], exec
	s_mov_b32 s44, 0
	s_waitcnt lgkmcnt(0)
	flat_load_dword v1, v[1:2] glc
	s_waitcnt vmcnt(0) lgkmcnt(0)
	buffer_wbinvl1_vol
	v_cmp_eq_u32_e32 vcc, 0, v1
	s_and_b64 vcc, vcc, exec
	s_or_b64 s[48:49], s[48:49], vcc
	s_mov_b64 vcc, -1
	s_or_b64 s[38:39], s[38:39], exec
	s_and_saveexec_b64 s[50:51], s[48:49]
	s_cbranch_execz .LBB4_328
.LBB4_332:                              ;   in Loop: Header=BB4_329 Depth=4
	s_sleep 1
	s_trap 2
	ds_read_b64 v[1:2], v0
	s_waitcnt lgkmcnt(0)
	s_andn2_b64 s[38:39], s[38:39], exec
	v_cmp_ge_u64_e32 vcc, v[1:2], v[38:39]
	s_orn2_b64 vcc, vcc, exec
	s_branch .LBB4_328
.LBB4_333:                              ;   in Loop: Header=BB4_274 Depth=3
	s_or_b64 exec, exec, s[34:35]
	s_and_saveexec_b64 s[44:45], s[36:37]
	s_xor_b64 s[44:45], exec, s[44:45]
	s_cbranch_execz .LBB4_335
; %bb.334:                              ;   in Loop: Header=BB4_274 Depth=3
	v_mov_b32_e32 v1, 1
	ds_write_b32 v0, v1
	s_trap 2
.LBB4_335:                              ;   in Loop: Header=BB4_274 Depth=3
	s_or_b64 exec, exec, s[30:31]
	;;#ASMSTART
	s_wakeup
	;;#ASMEND
.LBB4_336:                              ;   in Loop: Header=BB4_274 Depth=3
	s_or_b64 exec, exec, s[94:95]
.LBB4_337:                              ;   in Loop: Header=BB4_274 Depth=3
	s_andn2_saveexec_b64 s[40:41], s[40:41]
	s_cbranch_execz .LBB4_339
; %bb.338:                              ;   in Loop: Header=BB4_274 Depth=3
	s_waitcnt vmcnt(0) lgkmcnt(0)
	buffer_wbinvl1_vol
	s_barrier
.LBB4_339:                              ;   in Loop: Header=BB4_274 Depth=3
	s_or_b64 exec, exec, s[40:41]
.LBB4_340:                              ;   in Loop: Header=BB4_274 Depth=3
	s_or_b64 exec, exec, s[28:29]
	s_trap 2
	ds_read_b64 v[41:42], v0
	s_waitcnt lgkmcnt(0)
	v_cmp_eq_u64_e32 vcc, 0, v[41:42]
	s_cbranch_vccnz .LBB4_348
; %bb.341:                              ;   in Loop: Header=BB4_274 Depth=3
	s_trap 2
	ds_read_b64 v[14:15], v0
	s_waitcnt lgkmcnt(0)
	v_cmp_eq_u64_e32 vcc, 0, v[14:15]
	s_cbranch_vccnz .LBB4_348
; %bb.342:                              ;   in Loop: Header=BB4_274 Depth=3
	s_mov_b64 s[40:41], -1
	s_and_saveexec_b64 s[28:29], s[22:23]
	s_cbranch_execz .LBB4_344
; %bb.343:                              ;   in Loop: Header=BB4_274 Depth=3
	ds_read_b32 v1, v0 offset:720
	s_waitcnt lgkmcnt(0)
	v_and_b32_e32 v1, 15, v1
	v_cmp_eq_u32_e32 vcc, 0, v1
	s_orn2_b64 s[40:41], vcc, exec
.LBB4_344:                              ;   in Loop: Header=BB4_274 Depth=3
	s_or_b64 exec, exec, s[28:29]
	s_and_saveexec_b64 s[28:29], s[20:21]
	s_cbranch_execz .LBB4_346
; %bb.345:                              ;   in Loop: Header=BB4_274 Depth=3
	ds_read_b32 v1, v0 offset:784
	s_waitcnt lgkmcnt(0)
	v_and_b32_e32 v1, 15, v1
	v_cmp_eq_u32_e32 vcc, 0, v1
	s_and_b64 s[44:45], s[40:41], vcc
	s_andn2_b64 s[40:41], s[40:41], exec
	s_and_b64 s[44:45], s[44:45], exec
	s_or_b64 s[40:41], s[40:41], s[44:45]
.LBB4_346:                              ;   in Loop: Header=BB4_274 Depth=3
	s_or_b64 exec, exec, s[28:29]
	buffer_load_dword v17, off, s[0:3], s33 offset:172 ; 4-byte Folded Reload
	buffer_load_dword v2, off, s[0:3], s33 offset:112 ; 4-byte Folded Reload
	v_cmp_eq_u32_e32 vcc, 0, v5
	s_xor_b64 s[40:41], s[40:41], -1
	v_cndmask_b32_e32 v21, 0, v44, vcc
	v_cndmask_b32_e64 v1, 0, 1, s[40:41]
	s_mov_b64 s[28:29], -1
	v_cmp_ne_u32_e32 vcc, 0, v1
	v_mov_b32_e32 v5, 0
	v_mov_b32_e32 v7, v21
	s_cbranch_vccz .LBB4_353
; %bb.347:                              ;   in Loop: Header=BB4_274 Depth=3
	s_and_saveexec_b64 s[40:41], s[28:29]
	s_cbranch_execnz .LBB4_1710
	s_branch .LBB4_2262
.LBB4_348:                              ;   in Loop: Header=BB4_274 Depth=3
	s_mov_b64 s[28:29], 0
	s_and_saveexec_b64 s[40:41], s[10:11]
	s_cbranch_execnz .LBB4_2263
.LBB4_349:                              ;   in Loop: Header=BB4_274 Depth=3
	s_or_b64 exec, exec, s[40:41]
                                        ; implicit-def: $vgpr1
	s_and_saveexec_b64 s[40:41], s[24:25]
	s_xor_b64 s[40:41], exec, s[40:41]
	s_cbranch_execz .LBB4_2281
.LBB4_350:                              ;   in Loop: Header=BB4_274 Depth=3
	v_and_b32_e32 v2, 16, v4
	v_cmp_ne_u32_e32 vcc, 0, v2
	v_and_b32_e32 v1, 16, v4
	s_and_b64 s[44:45], vcc, s[28:29]
	s_and_saveexec_b64 s[28:29], s[44:45]
	s_cbranch_execz .LBB4_352
; %bb.351:                              ;   in Loop: Header=BB4_274 Depth=3
	v_mov_b32_e32 v1, 1
	s_waitcnt vmcnt(0) lgkmcnt(0)
	buffer_wbinvl1_vol
.LBB4_352:                              ;   in Loop: Header=BB4_274 Depth=3
	s_or_b64 exec, exec, s[28:29]
	s_andn2_saveexec_b64 s[28:29], s[40:41]
	s_cbranch_execz .LBB4_2300
	s_branch .LBB4_2282
.LBB4_353:                              ;   in Loop: Header=BB4_274 Depth=3
	v_ashrrev_i32_e32 v1, 31, v21
	v_lshrrev_b32_e32 v1, 21, v1
	buffer_store_dword v14, off, s[0:3], s33 offset:176 ; 4-byte Folded Spill
	s_nop 0
	buffer_store_dword v15, off, s[0:3], s33 offset:180 ; 4-byte Folded Spill
	v_add_u32_e32 v1, v21, v1
	s_waitcnt vmcnt(0)
	v_ashrrev_i32_e32 v2, 11, v1
	buffer_load_dword v1, off, s[0:3], s33 offset:112 ; 4-byte Folded Reload
	s_waitcnt vmcnt(0)
	v_sub_u32_e32 v6, v2, v1
	v_cmp_lt_i32_e32 vcc, 0, v6
	s_and_saveexec_b64 s[40:41], vcc
	s_cbranch_execz .LBB4_1253
; %bb.354:                              ;   in Loop: Header=BB4_274 Depth=3
	buffer_store_dword v2, off, s[0:3], s33 offset:208 ; 4-byte Folded Spill
	buffer_store_dword v21, off, s[0:3], s33 offset:184 ; 4-byte Folded Spill
	s_trap 2
	buffer_load_dword v5, off, s[0:3], s33 offset:228 ; 4-byte Folded Reload
	buffer_load_dword v7, off, s[0:3], s33 offset:232 ; 4-byte Folded Reload
	ds_read_b64 v[1:2], v0
	s_mov_b64 s[94:95], 0
	s_waitcnt vmcnt(1)
	v_add_co_u32_e32 v26, vcc, v41, v5
	buffer_store_dword v41, off, s[0:3], s33 offset:200 ; 4-byte Folded Spill
	s_nop 0
	buffer_store_dword v42, off, s[0:3], s33 offset:204 ; 4-byte Folded Spill
	s_waitcnt vmcnt(2)
	v_addc_co_u32_e32 v27, vcc, v42, v7, vcc
	s_waitcnt lgkmcnt(0)
	v_add_co_u32_e32 v28, vcc, v1, v5
	v_addc_co_u32_e32 v29, vcc, v2, v7, vcc
	buffer_load_dword v1, off, s[0:3], s33 offset:176 ; 4-byte Folded Reload
	buffer_load_dword v2, off, s[0:3], s33 offset:180 ; 4-byte Folded Reload
	s_waitcnt vmcnt(1)
	v_add_co_u32_e32 v30, vcc, v1, v5
	s_waitcnt vmcnt(0)
	v_addc_co_u32_e32 v31, vcc, v2, v7, vcc
	s_branch .LBB4_356
.LBB4_355:                              ;   in Loop: Header=BB4_356 Depth=4
	s_or_b64 exec, exec, s[28:29]
	v_lshl_or_b32 v1, v35, 8, v34
	v_lshlrev_b32_e32 v8, 16, v24
	v_lshlrev_b32_e32 v9, 24, v25
	v_or3_b32 v8, v1, v8, v9
	v_lshl_or_b32 v1, v37, 8, v5
	v_lshlrev_b32_e32 v5, 16, v55
	v_lshlrev_b32_e32 v7, 24, v7
	v_or3_b32 v7, v1, v5, v7
	;; [unrolled: 4-line block ×3, first 2 shown]
	v_lshlrev_b32_e32 v1, 24, v19
	v_lshlrev_b32_e32 v5, 16, v20
	v_lshl_or_b32 v10, v54, 8, v42
	v_or3_b32 v10, v10, v5, v1
	v_lshl_or_b32 v1, v56, 8, v45
	v_lshlrev_b32_e32 v5, 16, v16
	v_lshlrev_b32_e32 v11, 24, v17
	v_or3_b32 v14, v1, v5, v11
	v_lshl_or_b32 v1, v22, 8, v21
	v_lshlrev_b32_e32 v5, 16, v23
	v_lshlrev_b32_e32 v11, 24, v36
	;; [unrolled: 4-line block ×3, first 2 shown]
	v_or3_b32 v15, v1, v5, v11
	v_lshlrev_b32_e32 v1, 24, v2
	v_lshlrev_b32_e32 v2, 16, v12
	v_lshl_or_b32 v5, v60, 8, v43
	v_or3_b32 v16, v5, v2, v1
	global_store_dwordx4 v[30:31], v[7:10], off glc slc
	global_store_dwordx4 v[30:31], v[13:16], off offset:1024 glc slc
	buffer_load_dword v2, off, s[0:3], s33 offset:72 ; 4-byte Folded Reload
	buffer_load_dword v1, off, s[0:3], s33 offset:64 ; 4-byte Folded Reload
	s_waitcnt vmcnt(1)
	v_add_co_u32_e32 v26, vcc, v26, v2
	v_addc_co_u32_e32 v27, vcc, 0, v27, vcc
	v_add_co_u32_e32 v28, vcc, v28, v2
	v_addc_co_u32_e32 v29, vcc, 0, v29, vcc
	s_waitcnt vmcnt(0)
	v_sub_u32_e32 v6, v6, v1
	v_cmp_gt_i32_e32 vcc, 1, v6
	s_or_b64 s[94:95], vcc, s[94:95]
	v_add_co_u32_e32 v30, vcc, v30, v2
	v_addc_co_u32_e32 v31, vcc, 0, v31, vcc
	s_andn2_b64 exec, exec, s[94:95]
	s_cbranch_execz .LBB4_1252
.LBB4_356:                              ;   Parent Loop BB4_47 Depth=1
                                        ;     Parent Loop BB4_271 Depth=2
                                        ;       Parent Loop BB4_274 Depth=3
                                        ; =>      This Inner Loop Header: Depth=4
	global_load_dwordx4 v[20:23], v[26:27], off glc slc
	global_load_dwordx4 v[12:15], v[26:27], off offset:1024 glc slc
	global_load_dwordx4 v[16:19], v[28:29], off glc slc
	global_load_dwordx4 v[8:11], v[28:29], off offset:1024 glc slc
	v_mov_b32_e32 v2, 0
	v_mov_b32_e32 v5, 0
	s_waitcnt vmcnt(3)
	v_cmp_ne_u16_sdwa s[44:45], v20, v3 src0_sel:BYTE_0 src1_sel:DWORD
	s_and_saveexec_b64 s[28:29], s[44:45]
	s_cbranch_execz .LBB4_362
; %bb.357:                              ;   in Loop: Header=BB4_356 Depth=4
	v_cmp_ne_u16_sdwa s[44:45], v20, s70 src0_sel:BYTE_0 src1_sel:DWORD
	v_bfrev_b32_e32 v5, 1
	s_and_saveexec_b64 s[30:31], s[44:45]
	s_cbranch_execz .LBB4_361
; %bb.358:                              ;   in Loop: Header=BB4_356 Depth=4
	v_and_b32_e32 v1, 0x7f, v20
	v_cmp_ne_u32_e32 vcc, s71, v1
	v_mov_b32_e32 v5, 0x7f800001
	s_and_saveexec_b64 s[34:35], vcc
	s_cbranch_execz .LBB4_360
; %bb.359:                              ;   in Loop: Header=BB4_356 Depth=4
	v_and_b32_e32 v5, 7, v20
	v_lshrrev_b32_e32 v7, 3, v1
	v_cmp_gt_u32_e32 vcc, 8, v1
	v_ffbh_u32_e32 v1, v5
	v_min_u32_e32 v1, 32, v1
	v_subrev_u32_e32 v5, 28, v1
	v_cndmask_b32_e32 v5, 0, v5, vcc
	v_lshlrev_b64 v[24:25], v5, v[20:21]
	v_sub_u32_e32 v1, 29, v1
	v_cndmask_b32_e32 v1, v7, v1, vcc
	v_lshlrev_b32_e32 v5, 20, v24
	v_lshlrev_b32_e32 v7, 24, v20
	v_and_b32_e32 v5, 0x700000, v5
	v_and_b32_e32 v7, 0x80000000, v7
	v_lshl_add_u32 v1, v1, 23, v0
	v_or3_b32 v5, v7, v1, v5
.LBB4_360:                              ;   in Loop: Header=BB4_356 Depth=4
	s_or_b64 exec, exec, s[34:35]
.LBB4_361:                              ;   in Loop: Header=BB4_356 Depth=4
	s_or_b64 exec, exec, s[30:31]
.LBB4_362:                              ;   in Loop: Header=BB4_356 Depth=4
	s_or_b64 exec, exec, s[28:29]
	s_waitcnt vmcnt(1)
	v_cmp_ne_u16_sdwa s[44:45], v16, v3 src0_sel:BYTE_0 src1_sel:DWORD
	s_and_saveexec_b64 s[28:29], s[44:45]
	s_cbranch_execz .LBB4_368
; %bb.363:                              ;   in Loop: Header=BB4_356 Depth=4
	v_cmp_ne_u16_sdwa s[44:45], v16, s70 src0_sel:BYTE_0 src1_sel:DWORD
	v_bfrev_b32_e32 v2, 1
	s_and_saveexec_b64 s[30:31], s[44:45]
	s_cbranch_execz .LBB4_367
; %bb.364:                              ;   in Loop: Header=BB4_356 Depth=4
	v_and_b32_e32 v1, 0x7f, v16
	v_cmp_ne_u32_e32 vcc, s71, v1
	v_mov_b32_e32 v2, 0x7f800001
	s_and_saveexec_b64 s[34:35], vcc
	s_cbranch_execz .LBB4_366
; %bb.365:                              ;   in Loop: Header=BB4_356 Depth=4
	v_and_b32_e32 v2, 7, v16
	v_lshrrev_b32_e32 v7, 3, v1
	v_cmp_gt_u32_e32 vcc, 8, v1
	v_ffbh_u32_e32 v1, v2
	v_min_u32_e32 v1, 32, v1
	v_subrev_u32_e32 v2, 28, v1
	v_sub_u32_e32 v1, 29, v1
	v_cndmask_b32_e32 v7, v7, v1, vcc
	v_cndmask_b32_e32 v1, 0, v2, vcc
	v_lshlrev_b64 v[1:2], v1, v[16:17]
	v_lshlrev_b32_e32 v2, 24, v16
	v_lshlrev_b32_e32 v1, 20, v1
	v_and_b32_e32 v1, 0x700000, v1
	v_and_b32_e32 v2, 0x80000000, v2
	v_lshl_add_u32 v7, v7, 23, v0
	v_or3_b32 v2, v2, v7, v1
.LBB4_366:                              ;   in Loop: Header=BB4_356 Depth=4
	s_or_b64 exec, exec, s[34:35]
.LBB4_367:                              ;   in Loop: Header=BB4_356 Depth=4
	s_or_b64 exec, exec, s[30:31]
.LBB4_368:                              ;   in Loop: Header=BB4_356 Depth=4
	s_or_b64 exec, exec, s[28:29]
	v_mul_f32_e32 v24, v5, v2
	v_and_b32_e32 v2, 0x7f800000, v24
	v_cmp_ne_u64_e32 vcc, s[62:63], v[2:3]
                                        ; implicit-def: $vgpr5
	s_and_saveexec_b64 s[28:29], vcc
	s_xor_b64 s[30:31], exec, s[28:29]
	s_cbranch_execz .LBB4_382
; %bb.369:                              ;   in Loop: Header=BB4_356 Depth=4
	v_and_b32_e32 v2, 0x7fffffff, v24
	v_cmp_gt_u64_e32 vcc, s[72:73], v[2:3]
	v_and_b32_sdwa v7, v24, s70 dst_sel:DWORD dst_unused:UNUSED_PAD src0_sel:BYTE_3 src1_sel:DWORD
                                        ; implicit-def: $vgpr5
	s_and_saveexec_b64 s[28:29], vcc
	s_xor_b64 s[34:35], exec, s[28:29]
	s_cbranch_execz .LBB4_379
; %bb.370:                              ;   in Loop: Header=BB4_356 Depth=4
	v_mov_b32_e32 v5, 0
	v_cmp_ne_u32_e32 vcc, 0, v24
	s_and_saveexec_b64 s[36:37], vcc
	s_cbranch_execz .LBB4_378
; %bb.371:                              ;   in Loop: Header=BB4_356 Depth=4
	v_bfe_u32 v5, v24, 23, 8
	v_cmp_gt_u32_e64 s[28:29], s80, v5
	v_sub_u32_e32 v2, 0x79, v5
	v_and_b32_e32 v1, 0x7fffff, v24
	v_cmp_eq_u32_e32 vcc, 0, v5
	v_cndmask_b32_e64 v2, 0, v2, s[28:29]
	v_mov_b32_e32 v25, 0x78
	v_or_b32_e32 v24, 0x800000, v1
	v_cndmask_b32_e32 v34, v2, v25, vcc
	v_cndmask_b32_e32 v2, v24, v1, vcc
	v_add_u32_e32 v1, 20, v34
	v_lshlrev_b64 v[24:25], v1, -1
	v_add_u32_e32 v1, 19, v34
	v_lshlrev_b64 v[35:36], v1, 1
	v_bfi_b32 v25, v25, 0, 0
	v_bfi_b32 v24, v24, 0, v2
	v_cmp_eq_u64_e64 s[28:29], v[24:25], v[35:36]
	v_lshrrev_b64 v[24:25], v34, v[2:3]
	v_mov_b32_e32 v53, v25
	v_mov_b32_e32 v52, v24
	s_and_saveexec_b64 s[38:39], s[28:29]
; %bb.372:                              ;   in Loop: Header=BB4_356 Depth=4
	v_bfe_u32 v1, v24, 20, 1
	v_add_co_u32_e64 v1, s[28:29], v24, v1
	v_add_co_u32_e64 v52, s[28:29], -1, v1
; %bb.373:                              ;   in Loop: Header=BB4_356 Depth=4
	s_or_b64 exec, exec, s[38:39]
	v_add_u32_e32 v1, 0xffffff81, v5
	v_mov_b32_e32 v2, 0xffffff82
	v_cndmask_b32_e32 v1, v1, v2, vcc
	v_lshrrev_b32_e32 v2, 23, v24
	v_add3_u32 v34, v34, v1, v2
	v_add_u32_e32 v1, 6, v34
	v_and_b32_e32 v2, 0xfffff, v52
	v_add_u32_e32 v2, v2, v24
	v_cmp_ne_u32_e32 vcc, 0, v1
                                        ; implicit-def: $vgpr24_vgpr25
                                        ; implicit-def: $vgpr5
	s_and_saveexec_b64 s[28:29], vcc
	s_xor_b64 s[28:29], exec, s[28:29]
; %bb.374:                              ;   in Loop: Header=BB4_356 Depth=4
	v_cmp_lt_u64_e32 vcc, s[88:89], v[2:3]
	v_add_u32_e32 v5, 7, v34
	v_cndmask_b32_e32 v5, v1, v5, vcc
	v_cndmask_b32_e64 v1, 0, 1, vcc
	v_lshrrev_b64 v[24:25], v1, v[2:3]
; %bb.375:                              ;   in Loop: Header=BB4_356 Depth=4
	s_andn2_saveexec_b64 s[28:29], s[28:29]
; %bb.376:                              ;   in Loop: Header=BB4_356 Depth=4
	v_mov_b32_e32 v25, v3
	v_bfe_u32 v5, v2, 23, 1
	v_mov_b32_e32 v24, v2
; %bb.377:                              ;   in Loop: Header=BB4_356 Depth=4
	s_or_b64 exec, exec, s[28:29]
	v_lshrrev_b64 v[1:2], 20, v[24:25]
	v_cmp_gt_i32_e32 vcc, 16, v5
	v_cndmask_b32_e32 v2, 0, v2, vcc
	v_cndmask_b32_e32 v1, 7, v1, vcc
	v_cmp_eq_u64_e64 s[28:29], 0, v[1:2]
	v_min_i32_e32 v2, 15, v5
	v_lshlrev_b32_e32 v2, 3, v2
	v_cmp_eq_u32_e32 vcc, 0, v5
	v_and_b32_e32 v2, 0xf8, v2
	v_and_or_b32 v1, v1, 7, v2
	s_and_b64 s[28:29], vcc, s[28:29]
	v_cndmask_b32_e64 v1, v1, 0, s[28:29]
	v_or_b32_e32 v5, v1, v7
.LBB4_378:                              ;   in Loop: Header=BB4_356 Depth=4
	s_or_b64 exec, exec, s[36:37]
                                        ; implicit-def: $vgpr7
.LBB4_379:                              ;   in Loop: Header=BB4_356 Depth=4
	s_andn2_saveexec_b64 s[28:29], s[34:35]
; %bb.380:                              ;   in Loop: Header=BB4_356 Depth=4
	v_or_b32_e32 v5, 0x7e, v7
; %bb.381:                              ;   in Loop: Header=BB4_356 Depth=4
	s_or_b64 exec, exec, s[28:29]
                                        ; implicit-def: $vgpr24
.LBB4_382:                              ;   in Loop: Header=BB4_356 Depth=4
	s_andn2_saveexec_b64 s[28:29], s[30:31]
; %bb.383:                              ;   in Loop: Header=BB4_356 Depth=4
	v_or_b32_sdwa v5, v24, s71 dst_sel:DWORD dst_unused:UNUSED_PAD src0_sel:BYTE_3 src1_sel:DWORD
; %bb.384:                              ;   in Loop: Header=BB4_356 Depth=4
	s_or_b64 exec, exec, s[28:29]
	v_lshrrev_b16_e32 v2, 8, v20
	v_cmp_ne_u16_e32 vcc, 0, v2
	v_mov_b32_e32 v7, 0
	v_mov_b32_e32 v24, 0
	s_and_saveexec_b64 s[28:29], vcc
	s_cbranch_execz .LBB4_390
; %bb.385:                              ;   in Loop: Header=BB4_356 Depth=4
	v_cmp_ne_u16_e32 vcc, s70, v2
	v_bfrev_b32_e32 v24, 1
	s_and_saveexec_b64 s[30:31], vcc
	s_cbranch_execz .LBB4_389
; %bb.386:                              ;   in Loop: Header=BB4_356 Depth=4
	v_and_b32_e32 v1, 0x7f, v2
	v_cmp_ne_u32_e32 vcc, s71, v1
	v_mov_b32_e32 v24, 0x7f800001
	s_and_saveexec_b64 s[34:35], vcc
	s_cbranch_execz .LBB4_388
; %bb.387:                              ;   in Loop: Header=BB4_356 Depth=4
	v_and_b32_e32 v24, 7, v2
	v_lshrrev_b32_e32 v25, 3, v1
	v_cmp_gt_u32_e32 vcc, 8, v1
	v_ffbh_u32_e32 v1, v24
	v_min_u32_e32 v34, 32, v1
	v_subrev_u32_e32 v1, 28, v34
	v_lshlrev_b64 v[1:2], v1, v[2:3]
	v_sub_u32_e32 v2, 29, v34
	v_and_b32_e32 v1, 7, v1
	v_cndmask_b32_e32 v2, v25, v2, vcc
	v_cndmask_b32_e32 v1, v24, v1, vcc
	v_lshlrev_b32_e32 v24, 16, v20
	v_lshlrev_b32_e32 v1, 20, v1
	v_and_b32_e32 v24, 0x80000000, v24
	v_lshl_add_u32 v2, v2, 23, v0
	v_or3_b32 v24, v24, v2, v1
.LBB4_388:                              ;   in Loop: Header=BB4_356 Depth=4
	s_or_b64 exec, exec, s[34:35]
.LBB4_389:                              ;   in Loop: Header=BB4_356 Depth=4
	s_or_b64 exec, exec, s[30:31]
.LBB4_390:                              ;   in Loop: Header=BB4_356 Depth=4
	s_or_b64 exec, exec, s[28:29]
	v_lshrrev_b16_e32 v2, 8, v16
	v_cmp_ne_u16_e32 vcc, 0, v2
	s_and_saveexec_b64 s[28:29], vcc
	s_cbranch_execz .LBB4_396
; %bb.391:                              ;   in Loop: Header=BB4_356 Depth=4
	v_cmp_ne_u16_e32 vcc, s70, v2
	v_bfrev_b32_e32 v7, 1
	s_and_saveexec_b64 s[30:31], vcc
	s_cbranch_execz .LBB4_395
; %bb.392:                              ;   in Loop: Header=BB4_356 Depth=4
	v_and_b32_e32 v1, 0x7f, v2
	v_cmp_ne_u32_e32 vcc, s71, v1
	v_mov_b32_e32 v7, 0x7f800001
	s_and_saveexec_b64 s[34:35], vcc
	s_cbranch_execz .LBB4_394
; %bb.393:                              ;   in Loop: Header=BB4_356 Depth=4
	v_and_b32_e32 v7, 7, v2
	v_lshrrev_b32_e32 v25, 3, v1
	v_cmp_gt_u32_e32 vcc, 8, v1
	v_ffbh_u32_e32 v1, v7
	v_min_u32_e32 v34, 32, v1
	v_subrev_u32_e32 v1, 28, v34
	v_lshlrev_b64 v[1:2], v1, v[2:3]
	v_sub_u32_e32 v2, 29, v34
	v_and_b32_e32 v1, 7, v1
	v_cndmask_b32_e32 v2, v25, v2, vcc
	v_cndmask_b32_e32 v1, v7, v1, vcc
	v_lshlrev_b32_e32 v7, 16, v16
	v_lshlrev_b32_e32 v1, 20, v1
	v_and_b32_e32 v7, 0x80000000, v7
	v_lshl_add_u32 v2, v2, 23, v0
	v_or3_b32 v7, v7, v2, v1
.LBB4_394:                              ;   in Loop: Header=BB4_356 Depth=4
	s_or_b64 exec, exec, s[34:35]
.LBB4_395:                              ;   in Loop: Header=BB4_356 Depth=4
	s_or_b64 exec, exec, s[30:31]
.LBB4_396:                              ;   in Loop: Header=BB4_356 Depth=4
	s_or_b64 exec, exec, s[28:29]
	v_mul_f32_e32 v24, v24, v7
	v_and_b32_e32 v2, 0x7f800000, v24
	v_cmp_ne_u64_e32 vcc, s[62:63], v[2:3]
                                        ; implicit-def: $vgpr37
	s_and_saveexec_b64 s[28:29], vcc
	s_xor_b64 s[30:31], exec, s[28:29]
	s_cbranch_execz .LBB4_410
; %bb.397:                              ;   in Loop: Header=BB4_356 Depth=4
	v_and_b32_e32 v2, 0x7fffffff, v24
	v_cmp_gt_u64_e32 vcc, s[72:73], v[2:3]
	v_and_b32_sdwa v7, v24, s70 dst_sel:DWORD dst_unused:UNUSED_PAD src0_sel:BYTE_3 src1_sel:DWORD
                                        ; implicit-def: $vgpr37
	s_and_saveexec_b64 s[28:29], vcc
	s_xor_b64 s[34:35], exec, s[28:29]
	s_cbranch_execz .LBB4_407
; %bb.398:                              ;   in Loop: Header=BB4_356 Depth=4
	v_mov_b32_e32 v37, 0
	v_cmp_ne_u32_e32 vcc, 0, v24
	s_and_saveexec_b64 s[36:37], vcc
	s_cbranch_execz .LBB4_406
; %bb.399:                              ;   in Loop: Header=BB4_356 Depth=4
	v_bfe_u32 v34, v24, 23, 8
	v_cmp_gt_u32_e64 s[28:29], s80, v34
	v_sub_u32_e32 v2, 0x79, v34
	v_and_b32_e32 v1, 0x7fffff, v24
	v_cmp_eq_u32_e32 vcc, 0, v34
	v_cndmask_b32_e64 v2, 0, v2, s[28:29]
	v_mov_b32_e32 v25, 0x78
	v_or_b32_e32 v24, 0x800000, v1
	v_cndmask_b32_e32 v35, v2, v25, vcc
	v_cndmask_b32_e32 v2, v24, v1, vcc
	v_add_u32_e32 v1, 20, v35
	v_lshlrev_b64 v[24:25], v1, -1
	v_add_u32_e32 v1, 19, v35
	v_lshlrev_b64 v[36:37], v1, 1
	v_bfi_b32 v25, v25, 0, 0
	v_bfi_b32 v24, v24, 0, v2
	v_cmp_eq_u64_e64 s[28:29], v[24:25], v[36:37]
	v_lshrrev_b64 v[24:25], v35, v[2:3]
	v_mov_b32_e32 v53, v25
	v_mov_b32_e32 v52, v24
	s_and_saveexec_b64 s[38:39], s[28:29]
; %bb.400:                              ;   in Loop: Header=BB4_356 Depth=4
	v_bfe_u32 v1, v24, 20, 1
	v_add_co_u32_e64 v1, s[28:29], v24, v1
	v_add_co_u32_e64 v52, s[28:29], -1, v1
; %bb.401:                              ;   in Loop: Header=BB4_356 Depth=4
	s_or_b64 exec, exec, s[38:39]
	v_add_u32_e32 v1, 0xffffff81, v34
	v_mov_b32_e32 v2, 0xffffff82
	v_cndmask_b32_e32 v1, v1, v2, vcc
	v_lshrrev_b32_e32 v2, 23, v24
	v_add3_u32 v35, v35, v1, v2
	v_add_u32_e32 v1, 6, v35
	v_and_b32_e32 v2, 0xfffff, v52
	v_add_u32_e32 v2, v2, v24
	v_cmp_ne_u32_e32 vcc, 0, v1
                                        ; implicit-def: $vgpr24_vgpr25
                                        ; implicit-def: $vgpr34
	s_and_saveexec_b64 s[28:29], vcc
	s_xor_b64 s[28:29], exec, s[28:29]
; %bb.402:                              ;   in Loop: Header=BB4_356 Depth=4
	v_cmp_lt_u64_e32 vcc, s[88:89], v[2:3]
	v_add_u32_e32 v24, 7, v35
	v_cndmask_b32_e32 v34, v1, v24, vcc
	v_cndmask_b32_e64 v1, 0, 1, vcc
	v_lshrrev_b64 v[24:25], v1, v[2:3]
; %bb.403:                              ;   in Loop: Header=BB4_356 Depth=4
	s_andn2_saveexec_b64 s[28:29], s[28:29]
; %bb.404:                              ;   in Loop: Header=BB4_356 Depth=4
	v_mov_b32_e32 v25, v3
	v_bfe_u32 v34, v2, 23, 1
	v_mov_b32_e32 v24, v2
; %bb.405:                              ;   in Loop: Header=BB4_356 Depth=4
	s_or_b64 exec, exec, s[28:29]
	v_lshrrev_b64 v[1:2], 20, v[24:25]
	v_cmp_gt_i32_e32 vcc, 16, v34
	v_cndmask_b32_e32 v2, 0, v2, vcc
	v_cndmask_b32_e32 v1, 7, v1, vcc
	v_cmp_eq_u64_e64 s[28:29], 0, v[1:2]
	v_min_i32_e32 v2, 15, v34
	v_lshlrev_b32_e32 v2, 3, v2
	v_cmp_eq_u32_e32 vcc, 0, v34
	v_and_b32_e32 v2, 0xf8, v2
	v_and_or_b32 v1, v1, 7, v2
	s_and_b64 s[28:29], vcc, s[28:29]
	v_cndmask_b32_e64 v1, v1, 0, s[28:29]
	v_or_b32_e32 v37, v1, v7
.LBB4_406:                              ;   in Loop: Header=BB4_356 Depth=4
	s_or_b64 exec, exec, s[36:37]
                                        ; implicit-def: $vgpr7
.LBB4_407:                              ;   in Loop: Header=BB4_356 Depth=4
	s_andn2_saveexec_b64 s[28:29], s[34:35]
; %bb.408:                              ;   in Loop: Header=BB4_356 Depth=4
	v_or_b32_e32 v37, 0x7e, v7
; %bb.409:                              ;   in Loop: Header=BB4_356 Depth=4
	s_or_b64 exec, exec, s[28:29]
                                        ; implicit-def: $vgpr24
.LBB4_410:                              ;   in Loop: Header=BB4_356 Depth=4
	s_andn2_saveexec_b64 s[28:29], s[30:31]
; %bb.411:                              ;   in Loop: Header=BB4_356 Depth=4
	v_or_b32_sdwa v37, v24, s71 dst_sel:DWORD dst_unused:UNUSED_PAD src0_sel:BYTE_3 src1_sel:DWORD
; %bb.412:                              ;   in Loop: Header=BB4_356 Depth=4
	s_or_b64 exec, exec, s[28:29]
	v_lshrrev_b32_e32 v2, 16, v20
	v_cmp_ne_u16_sdwa s[44:45], v2, v3 src0_sel:BYTE_0 src1_sel:DWORD
	v_mov_b32_e32 v7, 0
	v_mov_b32_e32 v24, 0
	s_and_saveexec_b64 s[28:29], s[44:45]
	s_cbranch_execz .LBB4_418
; %bb.413:                              ;   in Loop: Header=BB4_356 Depth=4
	v_cmp_ne_u16_sdwa s[44:45], v2, s70 src0_sel:BYTE_0 src1_sel:DWORD
	v_bfrev_b32_e32 v24, 1
	s_and_saveexec_b64 s[30:31], s[44:45]
	s_cbranch_execz .LBB4_417
; %bb.414:                              ;   in Loop: Header=BB4_356 Depth=4
	v_bfe_u32 v1, v20, 16, 7
	v_cmp_ne_u32_e32 vcc, s71, v1
	v_mov_b32_e32 v24, 0x7f800001
	s_and_saveexec_b64 s[34:35], vcc
	s_cbranch_execz .LBB4_416
; %bb.415:                              ;   in Loop: Header=BB4_356 Depth=4
	v_and_b32_e32 v34, 7, v2
	v_lshrrev_b32_e32 v35, 3, v1
	v_cmp_gt_u32_e32 vcc, 8, v1
	v_ffbh_u32_e32 v1, v34
	v_min_u32_e32 v1, 32, v1
	v_subrev_u32_e32 v24, 28, v1
	v_lshlrev_b64 v[24:25], v24, v[2:3]
	v_sub_u32_e32 v1, 29, v1
	v_and_b32_e32 v24, 7, v24
	v_cndmask_b32_e32 v1, v35, v1, vcc
	v_cndmask_b32_e32 v24, v34, v24, vcc
	v_lshlrev_b32_e32 v2, 24, v2
	v_lshlrev_b32_e32 v24, 20, v24
	v_and_b32_e32 v2, 0x80000000, v2
	v_lshl_add_u32 v1, v1, 23, v0
	v_or3_b32 v24, v2, v1, v24
.LBB4_416:                              ;   in Loop: Header=BB4_356 Depth=4
	s_or_b64 exec, exec, s[34:35]
.LBB4_417:                              ;   in Loop: Header=BB4_356 Depth=4
	s_or_b64 exec, exec, s[30:31]
.LBB4_418:                              ;   in Loop: Header=BB4_356 Depth=4
	s_or_b64 exec, exec, s[28:29]
	v_lshrrev_b32_e32 v2, 16, v16
	v_cmp_ne_u16_sdwa s[44:45], v2, v3 src0_sel:BYTE_0 src1_sel:DWORD
	s_and_saveexec_b64 s[28:29], s[44:45]
	s_cbranch_execz .LBB4_424
; %bb.419:                              ;   in Loop: Header=BB4_356 Depth=4
	v_cmp_ne_u16_sdwa s[44:45], v2, s70 src0_sel:BYTE_0 src1_sel:DWORD
	v_bfrev_b32_e32 v7, 1
	s_and_saveexec_b64 s[30:31], s[44:45]
	s_cbranch_execz .LBB4_423
; %bb.420:                              ;   in Loop: Header=BB4_356 Depth=4
	v_bfe_u32 v1, v16, 16, 7
	v_cmp_ne_u32_e32 vcc, s71, v1
	v_mov_b32_e32 v7, 0x7f800001
	s_and_saveexec_b64 s[34:35], vcc
	s_cbranch_execz .LBB4_422
; %bb.421:                              ;   in Loop: Header=BB4_356 Depth=4
	v_and_b32_e32 v7, 7, v2
	v_lshrrev_b32_e32 v25, 3, v1
	v_cmp_gt_u32_e32 vcc, 8, v1
	v_ffbh_u32_e32 v1, v7
	v_min_u32_e32 v34, 32, v1
	v_subrev_u32_e32 v1, 28, v34
	v_lshlrev_b64 v[1:2], v1, v[2:3]
	v_sub_u32_e32 v2, 29, v34
	v_and_b32_e32 v1, 7, v1
	v_cndmask_b32_e32 v2, v25, v2, vcc
	v_cndmask_b32_e32 v1, v7, v1, vcc
	v_lshlrev_b32_e32 v7, 8, v16
	v_lshlrev_b32_e32 v1, 20, v1
	v_and_b32_e32 v7, 0x80000000, v7
	v_lshl_add_u32 v2, v2, 23, v0
	v_or3_b32 v7, v7, v2, v1
.LBB4_422:                              ;   in Loop: Header=BB4_356 Depth=4
	s_or_b64 exec, exec, s[34:35]
.LBB4_423:                              ;   in Loop: Header=BB4_356 Depth=4
	s_or_b64 exec, exec, s[30:31]
.LBB4_424:                              ;   in Loop: Header=BB4_356 Depth=4
	s_or_b64 exec, exec, s[28:29]
	v_mul_f32_e32 v24, v24, v7
	v_and_b32_e32 v2, 0x7f800000, v24
	v_cmp_ne_u64_e32 vcc, s[62:63], v[2:3]
                                        ; implicit-def: $vgpr55
	s_and_saveexec_b64 s[28:29], vcc
	s_xor_b64 s[30:31], exec, s[28:29]
	s_cbranch_execz .LBB4_438
; %bb.425:                              ;   in Loop: Header=BB4_356 Depth=4
	v_and_b32_e32 v2, 0x7fffffff, v24
	v_cmp_gt_u64_e32 vcc, s[72:73], v[2:3]
	v_and_b32_sdwa v7, v24, s70 dst_sel:DWORD dst_unused:UNUSED_PAD src0_sel:BYTE_3 src1_sel:DWORD
                                        ; implicit-def: $vgpr55
	s_and_saveexec_b64 s[28:29], vcc
	s_xor_b64 s[34:35], exec, s[28:29]
	s_cbranch_execz .LBB4_435
; %bb.426:                              ;   in Loop: Header=BB4_356 Depth=4
	v_mov_b32_e32 v55, 0
	v_cmp_ne_u32_e32 vcc, 0, v24
	s_and_saveexec_b64 s[36:37], vcc
	s_cbranch_execz .LBB4_434
; %bb.427:                              ;   in Loop: Header=BB4_356 Depth=4
	v_bfe_u32 v34, v24, 23, 8
	v_cmp_gt_u32_e64 s[28:29], s80, v34
	v_sub_u32_e32 v2, 0x79, v34
	v_and_b32_e32 v1, 0x7fffff, v24
	v_cmp_eq_u32_e32 vcc, 0, v34
	v_cndmask_b32_e64 v2, 0, v2, s[28:29]
	v_mov_b32_e32 v25, 0x78
	v_or_b32_e32 v24, 0x800000, v1
	v_cndmask_b32_e32 v35, v2, v25, vcc
	v_cndmask_b32_e32 v2, v24, v1, vcc
	v_add_u32_e32 v1, 20, v35
	v_lshlrev_b64 v[24:25], v1, -1
	v_add_u32_e32 v1, 19, v35
	v_lshlrev_b64 v[50:51], v1, 1
	v_bfi_b32 v25, v25, 0, 0
	v_bfi_b32 v24, v24, 0, v2
	v_cmp_eq_u64_e64 s[28:29], v[24:25], v[50:51]
	v_lshrrev_b64 v[24:25], v35, v[2:3]
	v_mov_b32_e32 v53, v25
	v_mov_b32_e32 v52, v24
	s_and_saveexec_b64 s[38:39], s[28:29]
; %bb.428:                              ;   in Loop: Header=BB4_356 Depth=4
	v_bfe_u32 v1, v24, 20, 1
	v_add_co_u32_e64 v1, s[28:29], v24, v1
	v_add_co_u32_e64 v52, s[28:29], -1, v1
; %bb.429:                              ;   in Loop: Header=BB4_356 Depth=4
	s_or_b64 exec, exec, s[38:39]
	v_add_u32_e32 v1, 0xffffff81, v34
	v_mov_b32_e32 v2, 0xffffff82
	v_cndmask_b32_e32 v1, v1, v2, vcc
	v_lshrrev_b32_e32 v2, 23, v24
	v_add3_u32 v35, v35, v1, v2
	v_add_u32_e32 v1, 6, v35
	v_and_b32_e32 v2, 0xfffff, v52
	v_add_u32_e32 v2, v2, v24
	v_cmp_ne_u32_e32 vcc, 0, v1
                                        ; implicit-def: $vgpr24_vgpr25
                                        ; implicit-def: $vgpr34
	s_and_saveexec_b64 s[28:29], vcc
	s_xor_b64 s[28:29], exec, s[28:29]
; %bb.430:                              ;   in Loop: Header=BB4_356 Depth=4
	v_cmp_lt_u64_e32 vcc, s[88:89], v[2:3]
	v_add_u32_e32 v24, 7, v35
	v_cndmask_b32_e32 v34, v1, v24, vcc
	v_cndmask_b32_e64 v1, 0, 1, vcc
	v_lshrrev_b64 v[24:25], v1, v[2:3]
; %bb.431:                              ;   in Loop: Header=BB4_356 Depth=4
	s_andn2_saveexec_b64 s[28:29], s[28:29]
; %bb.432:                              ;   in Loop: Header=BB4_356 Depth=4
	v_mov_b32_e32 v25, v3
	v_bfe_u32 v34, v2, 23, 1
	v_mov_b32_e32 v24, v2
; %bb.433:                              ;   in Loop: Header=BB4_356 Depth=4
	s_or_b64 exec, exec, s[28:29]
	v_lshrrev_b64 v[1:2], 20, v[24:25]
	v_cmp_gt_i32_e32 vcc, 16, v34
	v_cndmask_b32_e32 v2, 0, v2, vcc
	v_cndmask_b32_e32 v1, 7, v1, vcc
	v_cmp_eq_u64_e64 s[28:29], 0, v[1:2]
	v_min_i32_e32 v2, 15, v34
	v_lshlrev_b32_e32 v2, 3, v2
	v_cmp_eq_u32_e32 vcc, 0, v34
	v_and_b32_e32 v2, 0xf8, v2
	v_and_or_b32 v1, v1, 7, v2
	s_and_b64 s[28:29], vcc, s[28:29]
	v_cndmask_b32_e64 v1, v1, 0, s[28:29]
	v_or_b32_e32 v55, v1, v7
.LBB4_434:                              ;   in Loop: Header=BB4_356 Depth=4
	s_or_b64 exec, exec, s[36:37]
                                        ; implicit-def: $vgpr7
.LBB4_435:                              ;   in Loop: Header=BB4_356 Depth=4
	s_andn2_saveexec_b64 s[28:29], s[34:35]
; %bb.436:                              ;   in Loop: Header=BB4_356 Depth=4
	v_or_b32_e32 v55, 0x7e, v7
; %bb.437:                              ;   in Loop: Header=BB4_356 Depth=4
	s_or_b64 exec, exec, s[28:29]
                                        ; implicit-def: $vgpr24
.LBB4_438:                              ;   in Loop: Header=BB4_356 Depth=4
	s_andn2_saveexec_b64 s[28:29], s[30:31]
; %bb.439:                              ;   in Loop: Header=BB4_356 Depth=4
	v_or_b32_sdwa v55, v24, s71 dst_sel:DWORD dst_unused:UNUSED_PAD src0_sel:BYTE_3 src1_sel:DWORD
; %bb.440:                              ;   in Loop: Header=BB4_356 Depth=4
	s_or_b64 exec, exec, s[28:29]
	v_cmp_lt_u32_e32 vcc, s57, v20
	v_mov_b32_e32 v7, 0
	v_mov_b32_e32 v24, 0
	s_and_saveexec_b64 s[28:29], vcc
	s_cbranch_execz .LBB4_446
; %bb.441:                              ;   in Loop: Header=BB4_356 Depth=4
	v_lshrrev_b32_e32 v2, 24, v20
	v_cmp_ne_u32_e32 vcc, s70, v2
	v_bfrev_b32_e32 v24, 1
	s_and_saveexec_b64 s[30:31], vcc
	s_cbranch_execz .LBB4_445
; %bb.442:                              ;   in Loop: Header=BB4_356 Depth=4
	v_bfe_u32 v1, v20, 24, 7
	v_cmp_ne_u32_e32 vcc, s71, v1
	v_mov_b32_e32 v24, 0x7f800001
	s_and_saveexec_b64 s[34:35], vcc
	s_cbranch_execz .LBB4_444
; %bb.443:                              ;   in Loop: Header=BB4_356 Depth=4
	v_and_b32_e32 v34, 7, v2
	v_lshrrev_b32_e32 v35, 3, v1
	v_cmp_gt_u32_e32 vcc, 8, v1
	v_ffbh_u32_e32 v1, v34
	v_min_u32_e32 v1, 32, v1
	v_subrev_u32_e32 v24, 28, v1
	v_lshlrev_b64 v[24:25], v24, v[2:3]
	v_sub_u32_e32 v1, 29, v1
	v_and_b32_e32 v24, 7, v24
	v_cndmask_b32_e32 v1, v35, v1, vcc
	v_cndmask_b32_e32 v24, v34, v24, vcc
	v_lshlrev_b32_e32 v2, 24, v2
	v_lshlrev_b32_e32 v24, 20, v24
	v_and_b32_e32 v2, 0x80000000, v2
	v_lshl_add_u32 v1, v1, 23, v0
	v_or3_b32 v24, v2, v1, v24
.LBB4_444:                              ;   in Loop: Header=BB4_356 Depth=4
	s_or_b64 exec, exec, s[34:35]
.LBB4_445:                              ;   in Loop: Header=BB4_356 Depth=4
	s_or_b64 exec, exec, s[30:31]
.LBB4_446:                              ;   in Loop: Header=BB4_356 Depth=4
	s_or_b64 exec, exec, s[28:29]
	v_cmp_lt_u32_e32 vcc, s57, v16
	s_and_saveexec_b64 s[28:29], vcc
	s_cbranch_execz .LBB4_452
; %bb.447:                              ;   in Loop: Header=BB4_356 Depth=4
	v_lshrrev_b32_e32 v2, 24, v16
	v_cmp_ne_u32_e32 vcc, s70, v2
	v_bfrev_b32_e32 v7, 1
	s_and_saveexec_b64 s[30:31], vcc
	s_cbranch_execz .LBB4_451
; %bb.448:                              ;   in Loop: Header=BB4_356 Depth=4
	v_bfe_u32 v1, v16, 24, 7
	v_cmp_ne_u32_e32 vcc, s71, v1
	v_mov_b32_e32 v7, 0x7f800001
	s_and_saveexec_b64 s[34:35], vcc
	s_cbranch_execz .LBB4_450
; %bb.449:                              ;   in Loop: Header=BB4_356 Depth=4
	v_and_b32_e32 v7, 7, v2
	v_lshrrev_b32_e32 v25, 3, v1
	v_cmp_gt_u32_e32 vcc, 8, v1
	v_ffbh_u32_e32 v1, v7
	v_min_u32_e32 v1, 32, v1
	v_subrev_u32_e32 v34, 28, v1
	v_lshlrev_b64 v[34:35], v34, v[2:3]
	v_sub_u32_e32 v1, 29, v1
	v_and_b32_e32 v34, 7, v34
	v_cndmask_b32_e32 v1, v25, v1, vcc
	v_cndmask_b32_e32 v7, v7, v34, vcc
	v_lshlrev_b32_e32 v2, 24, v2
	v_lshlrev_b32_e32 v7, 20, v7
	v_and_b32_e32 v2, 0x80000000, v2
	v_lshl_add_u32 v1, v1, 23, v0
	v_or3_b32 v7, v2, v1, v7
.LBB4_450:                              ;   in Loop: Header=BB4_356 Depth=4
	s_or_b64 exec, exec, s[34:35]
.LBB4_451:                              ;   in Loop: Header=BB4_356 Depth=4
	s_or_b64 exec, exec, s[30:31]
.LBB4_452:                              ;   in Loop: Header=BB4_356 Depth=4
	s_or_b64 exec, exec, s[28:29]
	v_mul_f32_e32 v24, v24, v7
	v_and_b32_e32 v2, 0x7f800000, v24
	v_cmp_ne_u64_e32 vcc, s[62:63], v[2:3]
                                        ; implicit-def: $vgpr7
	s_and_saveexec_b64 s[28:29], vcc
	s_xor_b64 s[30:31], exec, s[28:29]
	s_cbranch_execz .LBB4_466
; %bb.453:                              ;   in Loop: Header=BB4_356 Depth=4
	v_and_b32_e32 v2, 0x7fffffff, v24
	v_cmp_gt_u64_e32 vcc, s[72:73], v[2:3]
	v_and_b32_sdwa v34, v24, s70 dst_sel:DWORD dst_unused:UNUSED_PAD src0_sel:BYTE_3 src1_sel:DWORD
                                        ; implicit-def: $vgpr7
	s_and_saveexec_b64 s[28:29], vcc
	s_xor_b64 s[34:35], exec, s[28:29]
	s_cbranch_execz .LBB4_463
; %bb.454:                              ;   in Loop: Header=BB4_356 Depth=4
	v_mov_b32_e32 v7, 0
	v_cmp_ne_u32_e32 vcc, 0, v24
	s_and_saveexec_b64 s[36:37], vcc
	s_cbranch_execz .LBB4_462
; %bb.455:                              ;   in Loop: Header=BB4_356 Depth=4
	v_bfe_u32 v7, v24, 23, 8
	v_cmp_gt_u32_e64 s[28:29], s80, v7
	v_sub_u32_e32 v2, 0x79, v7
	v_and_b32_e32 v1, 0x7fffff, v24
	v_cmp_eq_u32_e32 vcc, 0, v7
	v_cndmask_b32_e64 v2, 0, v2, s[28:29]
	v_mov_b32_e32 v25, 0x78
	v_or_b32_e32 v24, 0x800000, v1
	v_cndmask_b32_e32 v35, v2, v25, vcc
	v_cndmask_b32_e32 v2, v24, v1, vcc
	v_add_u32_e32 v1, 20, v35
	v_lshlrev_b64 v[24:25], v1, -1
	v_add_u32_e32 v1, 19, v35
	v_lshlrev_b64 v[50:51], v1, 1
	v_bfi_b32 v25, v25, 0, 0
	v_bfi_b32 v24, v24, 0, v2
	v_cmp_eq_u64_e64 s[28:29], v[24:25], v[50:51]
	v_lshrrev_b64 v[24:25], v35, v[2:3]
	v_mov_b32_e32 v53, v25
	v_mov_b32_e32 v52, v24
	s_and_saveexec_b64 s[38:39], s[28:29]
; %bb.456:                              ;   in Loop: Header=BB4_356 Depth=4
	v_bfe_u32 v1, v24, 20, 1
	v_add_co_u32_e64 v1, s[28:29], v24, v1
	v_add_co_u32_e64 v52, s[28:29], -1, v1
; %bb.457:                              ;   in Loop: Header=BB4_356 Depth=4
	s_or_b64 exec, exec, s[38:39]
	v_add_u32_e32 v1, 0xffffff81, v7
	v_mov_b32_e32 v2, 0xffffff82
	v_cndmask_b32_e32 v1, v1, v2, vcc
	v_lshrrev_b32_e32 v2, 23, v24
	v_add3_u32 v35, v35, v1, v2
	v_add_u32_e32 v1, 6, v35
	v_and_b32_e32 v2, 0xfffff, v52
	v_add_u32_e32 v2, v2, v24
	v_cmp_ne_u32_e32 vcc, 0, v1
                                        ; implicit-def: $vgpr24_vgpr25
                                        ; implicit-def: $vgpr7
	s_and_saveexec_b64 s[28:29], vcc
	s_xor_b64 s[28:29], exec, s[28:29]
; %bb.458:                              ;   in Loop: Header=BB4_356 Depth=4
	v_cmp_lt_u64_e32 vcc, s[88:89], v[2:3]
	v_add_u32_e32 v7, 7, v35
	v_cndmask_b32_e32 v7, v1, v7, vcc
	v_cndmask_b32_e64 v1, 0, 1, vcc
	v_lshrrev_b64 v[24:25], v1, v[2:3]
; %bb.459:                              ;   in Loop: Header=BB4_356 Depth=4
	s_andn2_saveexec_b64 s[28:29], s[28:29]
; %bb.460:                              ;   in Loop: Header=BB4_356 Depth=4
	v_mov_b32_e32 v25, v3
	v_bfe_u32 v7, v2, 23, 1
	v_mov_b32_e32 v24, v2
; %bb.461:                              ;   in Loop: Header=BB4_356 Depth=4
	s_or_b64 exec, exec, s[28:29]
	v_lshrrev_b64 v[1:2], 20, v[24:25]
	v_cmp_gt_i32_e32 vcc, 16, v7
	v_cndmask_b32_e32 v2, 0, v2, vcc
	v_cndmask_b32_e32 v1, 7, v1, vcc
	v_cmp_eq_u64_e64 s[28:29], 0, v[1:2]
	v_min_i32_e32 v2, 15, v7
	v_lshlrev_b32_e32 v2, 3, v2
	v_cmp_eq_u32_e32 vcc, 0, v7
	v_and_b32_e32 v2, 0xf8, v2
	v_and_or_b32 v1, v1, 7, v2
	s_and_b64 s[28:29], vcc, s[28:29]
	v_cndmask_b32_e64 v1, v1, 0, s[28:29]
	v_or_b32_e32 v7, v1, v34
.LBB4_462:                              ;   in Loop: Header=BB4_356 Depth=4
	s_or_b64 exec, exec, s[36:37]
                                        ; implicit-def: $vgpr34
.LBB4_463:                              ;   in Loop: Header=BB4_356 Depth=4
	s_andn2_saveexec_b64 s[28:29], s[34:35]
; %bb.464:                              ;   in Loop: Header=BB4_356 Depth=4
	v_or_b32_e32 v7, 0x7e, v34
; %bb.465:                              ;   in Loop: Header=BB4_356 Depth=4
	s_or_b64 exec, exec, s[28:29]
                                        ; implicit-def: $vgpr24
.LBB4_466:                              ;   in Loop: Header=BB4_356 Depth=4
	s_andn2_saveexec_b64 s[28:29], s[30:31]
; %bb.467:                              ;   in Loop: Header=BB4_356 Depth=4
	v_or_b32_sdwa v7, v24, s71 dst_sel:DWORD dst_unused:UNUSED_PAD src0_sel:BYTE_3 src1_sel:DWORD
; %bb.468:                              ;   in Loop: Header=BB4_356 Depth=4
	s_or_b64 exec, exec, s[28:29]
	v_mov_b32_e32 v2, v21
	v_cmp_ne_u16_sdwa s[44:45], v21, v3 src0_sel:BYTE_0 src1_sel:DWORD
	v_mov_b32_e32 v25, 0
	v_mov_b32_e32 v24, 0
	s_and_saveexec_b64 s[28:29], s[44:45]
	s_cbranch_execz .LBB4_474
; %bb.469:                              ;   in Loop: Header=BB4_356 Depth=4
	v_cmp_ne_u16_sdwa s[44:45], v21, s70 src0_sel:BYTE_0 src1_sel:DWORD
	v_bfrev_b32_e32 v24, 1
	s_and_saveexec_b64 s[30:31], s[44:45]
	s_cbranch_execz .LBB4_473
; %bb.470:                              ;   in Loop: Header=BB4_356 Depth=4
	v_and_b32_e32 v1, 0x7f, v21
	v_cmp_ne_u32_e32 vcc, s71, v1
	v_mov_b32_e32 v24, 0x7f800001
	s_and_saveexec_b64 s[34:35], vcc
	s_cbranch_execz .LBB4_472
; %bb.471:                              ;   in Loop: Header=BB4_356 Depth=4
	v_and_b32_e32 v24, 7, v21
	v_lshrrev_b32_e32 v34, 3, v1
	v_cmp_gt_u32_e32 vcc, 8, v1
	v_ffbh_u32_e32 v1, v24
	v_min_u32_e32 v1, 32, v1
	v_subrev_u32_e32 v24, 28, v1
	v_sub_u32_e32 v1, 29, v1
	v_cndmask_b32_e32 v24, 0, v24, vcc
	v_cndmask_b32_e32 v1, v34, v1, vcc
	v_lshlrev_b64 v[34:35], v24, v[2:3]
	v_lshl_add_u32 v1, v1, 23, v0
	v_lshlrev_b32_e32 v24, 20, v34
	v_lshlrev_b32_e32 v34, 24, v2
	v_and_b32_e32 v24, 0x700000, v24
	v_and_b32_e32 v34, 0x80000000, v34
	v_or3_b32 v24, v34, v1, v24
.LBB4_472:                              ;   in Loop: Header=BB4_356 Depth=4
	s_or_b64 exec, exec, s[34:35]
.LBB4_473:                              ;   in Loop: Header=BB4_356 Depth=4
	s_or_b64 exec, exec, s[30:31]
.LBB4_474:                              ;   in Loop: Header=BB4_356 Depth=4
	s_or_b64 exec, exec, s[28:29]
	v_cmp_ne_u16_sdwa s[44:45], v17, v3 src0_sel:BYTE_0 src1_sel:DWORD
	s_and_saveexec_b64 s[28:29], s[44:45]
	s_cbranch_execz .LBB4_480
; %bb.475:                              ;   in Loop: Header=BB4_356 Depth=4
	v_cmp_ne_u16_sdwa s[44:45], v17, s70 src0_sel:BYTE_0 src1_sel:DWORD
	v_bfrev_b32_e32 v25, 1
	s_and_saveexec_b64 s[30:31], s[44:45]
	s_cbranch_execz .LBB4_479
; %bb.476:                              ;   in Loop: Header=BB4_356 Depth=4
	v_and_b32_e32 v1, 0x7f, v17
	v_cmp_ne_u32_e32 vcc, s71, v1
	v_mov_b32_e32 v25, 0x7f800001
	s_and_saveexec_b64 s[34:35], vcc
	s_cbranch_execz .LBB4_478
; %bb.477:                              ;   in Loop: Header=BB4_356 Depth=4
	v_and_b32_e32 v25, 7, v17
	v_lshrrev_b32_e32 v36, 3, v1
	v_cmp_gt_u32_e32 vcc, 8, v1
	v_ffbh_u32_e32 v1, v25
	v_min_u32_e32 v1, 32, v1
	v_subrev_u32_e32 v25, 28, v1
	v_mov_b32_e32 v34, v17
	v_mov_b32_e32 v35, v3
	v_sub_u32_e32 v1, 29, v1
	v_cndmask_b32_e32 v25, 0, v25, vcc
	v_cndmask_b32_e32 v1, v36, v1, vcc
	v_lshlrev_b64 v[35:36], v25, v[34:35]
	v_lshlrev_b32_e32 v34, 24, v34
	v_lshlrev_b32_e32 v25, 20, v35
	v_and_b32_e32 v25, 0x700000, v25
	v_and_b32_e32 v34, 0x80000000, v34
	v_lshl_add_u32 v1, v1, 23, v0
	v_or3_b32 v25, v34, v1, v25
.LBB4_478:                              ;   in Loop: Header=BB4_356 Depth=4
	s_or_b64 exec, exec, s[34:35]
.LBB4_479:                              ;   in Loop: Header=BB4_356 Depth=4
	s_or_b64 exec, exec, s[30:31]
.LBB4_480:                              ;   in Loop: Header=BB4_356 Depth=4
	s_or_b64 exec, exec, s[28:29]
	v_mul_f32_e32 v24, v24, v25
	v_and_b32_e32 v34, 0x7f800000, v24
	v_mov_b32_e32 v35, v3
	v_cmp_ne_u64_e32 vcc, s[62:63], v[34:35]
                                        ; implicit-def: $vgpr34
	s_and_saveexec_b64 s[28:29], vcc
	s_xor_b64 s[30:31], exec, s[28:29]
	s_cbranch_execz .LBB4_494
; %bb.481:                              ;   in Loop: Header=BB4_356 Depth=4
	v_and_b32_e32 v34, 0x7fffffff, v24
	v_mov_b32_e32 v35, v3
	v_cmp_gt_u64_e32 vcc, s[72:73], v[34:35]
	v_and_b32_sdwa v35, v24, s70 dst_sel:DWORD dst_unused:UNUSED_PAD src0_sel:BYTE_3 src1_sel:DWORD
                                        ; implicit-def: $vgpr34
	s_and_saveexec_b64 s[28:29], vcc
	s_xor_b64 s[34:35], exec, s[28:29]
	s_cbranch_execz .LBB4_491
; %bb.482:                              ;   in Loop: Header=BB4_356 Depth=4
	v_mov_b32_e32 v34, 0
	v_cmp_ne_u32_e32 vcc, 0, v24
	s_and_saveexec_b64 s[36:37], vcc
	s_cbranch_execz .LBB4_490
; %bb.483:                              ;   in Loop: Header=BB4_356 Depth=4
	v_bfe_u32 v34, v24, 23, 8
	v_and_b32_e32 v1, 0x7fffff, v24
	v_cmp_gt_u32_e64 s[28:29], s80, v34
	v_sub_u32_e32 v24, 0x79, v34
	v_cmp_eq_u32_e32 vcc, 0, v34
	v_cndmask_b32_e64 v24, 0, v24, s[28:29]
	v_mov_b32_e32 v36, 0x78
	v_or_b32_e32 v25, 0x800000, v1
	v_cndmask_b32_e32 v36, v24, v36, vcc
	v_cndmask_b32_e32 v24, v25, v1, vcc
	v_add_u32_e32 v1, 20, v36
	v_lshlrev_b64 v[50:51], v1, -1
	v_mov_b32_e32 v25, v3
	v_add_u32_e32 v1, 19, v36
	v_bfi_b32 v50, v50, 0, v24
	v_lshlrev_b64 v[52:53], v1, 1
	v_lshrrev_b64 v[24:25], v36, v[24:25]
	v_bfi_b32 v51, v51, 0, 0
	v_cmp_eq_u64_e64 s[28:29], v[50:51], v[52:53]
	v_mov_b32_e32 v53, v25
	v_mov_b32_e32 v52, v24
	s_and_saveexec_b64 s[38:39], s[28:29]
; %bb.484:                              ;   in Loop: Header=BB4_356 Depth=4
	v_bfe_u32 v1, v24, 20, 1
	v_add_co_u32_e64 v1, s[28:29], v24, v1
	v_add_co_u32_e64 v52, s[28:29], -1, v1
; %bb.485:                              ;   in Loop: Header=BB4_356 Depth=4
	s_or_b64 exec, exec, s[38:39]
	v_add_u32_e32 v1, 0xffffff81, v34
	v_mov_b32_e32 v25, 0xffffff82
	v_cndmask_b32_e32 v1, v1, v25, vcc
	v_lshrrev_b32_e32 v25, 23, v24
	v_add3_u32 v36, v36, v1, v25
	v_add_u32_e32 v1, 6, v36
	v_and_b32_e32 v25, 0xfffff, v52
	v_add_u32_e32 v24, v25, v24
	v_mov_b32_e32 v25, v3
	v_cmp_ne_u32_e32 vcc, 0, v1
                                        ; implicit-def: $vgpr34
	s_and_saveexec_b64 s[28:29], vcc
	s_xor_b64 s[28:29], exec, s[28:29]
; %bb.486:                              ;   in Loop: Header=BB4_356 Depth=4
	v_cmp_lt_u64_e32 vcc, s[88:89], v[24:25]
	v_add_u32_e32 v34, 7, v36
	v_cndmask_b32_e32 v34, v1, v34, vcc
	v_cndmask_b32_e64 v1, 0, 1, vcc
	v_lshrrev_b64 v[24:25], v1, v[24:25]
; %bb.487:                              ;   in Loop: Header=BB4_356 Depth=4
	s_andn2_saveexec_b64 s[28:29], s[28:29]
; %bb.488:                              ;   in Loop: Header=BB4_356 Depth=4
	v_bfe_u32 v34, v24, 23, 1
; %bb.489:                              ;   in Loop: Header=BB4_356 Depth=4
	s_or_b64 exec, exec, s[28:29]
	v_lshrrev_b64 v[24:25], 20, v[24:25]
	v_cmp_gt_i32_e32 vcc, 16, v34
	v_cndmask_b32_e32 v25, 0, v25, vcc
	v_cndmask_b32_e32 v24, 7, v24, vcc
	v_min_i32_e32 v1, 15, v34
	v_cmp_eq_u64_e64 s[28:29], 0, v[24:25]
	v_lshlrev_b32_e32 v1, 3, v1
	v_cmp_eq_u32_e32 vcc, 0, v34
	v_and_b32_e32 v1, 0xf8, v1
	v_and_or_b32 v1, v24, 7, v1
	s_and_b64 s[28:29], vcc, s[28:29]
	v_cndmask_b32_e64 v1, v1, 0, s[28:29]
	v_or_b32_e32 v34, v1, v35
.LBB4_490:                              ;   in Loop: Header=BB4_356 Depth=4
	s_or_b64 exec, exec, s[36:37]
                                        ; implicit-def: $vgpr35
.LBB4_491:                              ;   in Loop: Header=BB4_356 Depth=4
	s_andn2_saveexec_b64 s[28:29], s[34:35]
; %bb.492:                              ;   in Loop: Header=BB4_356 Depth=4
	v_or_b32_e32 v34, 0x7e, v35
; %bb.493:                              ;   in Loop: Header=BB4_356 Depth=4
	s_or_b64 exec, exec, s[28:29]
                                        ; implicit-def: $vgpr24
.LBB4_494:                              ;   in Loop: Header=BB4_356 Depth=4
	s_andn2_saveexec_b64 s[28:29], s[30:31]
; %bb.495:                              ;   in Loop: Header=BB4_356 Depth=4
	v_or_b32_sdwa v34, v24, s71 dst_sel:DWORD dst_unused:UNUSED_PAD src0_sel:BYTE_3 src1_sel:DWORD
; %bb.496:                              ;   in Loop: Header=BB4_356 Depth=4
	s_or_b64 exec, exec, s[28:29]
	v_lshrrev_b16_e32 v24, 8, v2
	v_cmp_ne_u16_e32 vcc, 0, v24
	v_mov_b32_e32 v25, 0
	v_mov_b32_e32 v35, 0
	s_and_saveexec_b64 s[28:29], vcc
	s_cbranch_execz .LBB4_502
; %bb.497:                              ;   in Loop: Header=BB4_356 Depth=4
	v_cmp_ne_u16_e32 vcc, s70, v24
	v_bfrev_b32_e32 v35, 1
	s_and_saveexec_b64 s[30:31], vcc
	s_cbranch_execz .LBB4_501
; %bb.498:                              ;   in Loop: Header=BB4_356 Depth=4
	v_and_b32_e32 v1, 0x7f, v24
	v_cmp_ne_u32_e32 vcc, s71, v1
	v_mov_b32_e32 v35, 0x7f800001
	s_and_saveexec_b64 s[34:35], vcc
	s_cbranch_execz .LBB4_500
; %bb.499:                              ;   in Loop: Header=BB4_356 Depth=4
	v_and_b32_e32 v50, 7, v24
	v_lshrrev_b32_e32 v51, 3, v1
	v_cmp_gt_u32_e32 vcc, 8, v1
	v_ffbh_u32_e32 v1, v50
	v_min_u32_e32 v1, 32, v1
	v_subrev_u32_e32 v35, 28, v1
	v_lshlrev_b64 v[35:36], v35, v[24:25]
	v_sub_u32_e32 v1, 29, v1
	v_and_b32_e32 v24, 7, v35
	v_cndmask_b32_e32 v1, v51, v1, vcc
	v_cndmask_b32_e32 v24, v50, v24, vcc
	v_lshlrev_b32_e32 v2, 16, v2
	v_lshlrev_b32_e32 v24, 20, v24
	v_and_b32_e32 v2, 0x80000000, v2
	v_lshl_add_u32 v1, v1, 23, v0
	v_or3_b32 v35, v2, v1, v24
.LBB4_500:                              ;   in Loop: Header=BB4_356 Depth=4
	s_or_b64 exec, exec, s[34:35]
.LBB4_501:                              ;   in Loop: Header=BB4_356 Depth=4
	s_or_b64 exec, exec, s[30:31]
.LBB4_502:                              ;   in Loop: Header=BB4_356 Depth=4
	s_or_b64 exec, exec, s[28:29]
	v_lshrrev_b16_e32 v2, 8, v17
	v_cmp_ne_u16_e32 vcc, 0, v2
	s_and_saveexec_b64 s[28:29], vcc
	s_cbranch_execz .LBB4_508
; %bb.503:                              ;   in Loop: Header=BB4_356 Depth=4
	v_cmp_ne_u16_e32 vcc, s70, v2
	v_bfrev_b32_e32 v25, 1
	s_and_saveexec_b64 s[30:31], vcc
	s_cbranch_execz .LBB4_507
; %bb.504:                              ;   in Loop: Header=BB4_356 Depth=4
	v_and_b32_e32 v1, 0x7f, v2
	v_cmp_ne_u32_e32 vcc, s71, v1
	v_mov_b32_e32 v25, 0x7f800001
	s_and_saveexec_b64 s[34:35], vcc
	s_cbranch_execz .LBB4_506
; %bb.505:                              ;   in Loop: Header=BB4_356 Depth=4
	v_and_b32_e32 v24, 7, v2
	v_lshrrev_b32_e32 v25, 3, v1
	v_cmp_gt_u32_e32 vcc, 8, v1
	v_ffbh_u32_e32 v1, v24
	v_min_u32_e32 v36, 32, v1
	v_subrev_u32_e32 v1, 28, v36
	v_lshlrev_b64 v[1:2], v1, v[2:3]
	v_sub_u32_e32 v2, 29, v36
	v_and_b32_e32 v1, 7, v1
	v_cndmask_b32_e32 v2, v25, v2, vcc
	v_cndmask_b32_e32 v1, v24, v1, vcc
	v_lshlrev_b32_e32 v24, 16, v17
	v_lshlrev_b32_e32 v1, 20, v1
	v_and_b32_e32 v24, 0x80000000, v24
	v_lshl_add_u32 v2, v2, 23, v0
	v_or3_b32 v25, v24, v2, v1
.LBB4_506:                              ;   in Loop: Header=BB4_356 Depth=4
	s_or_b64 exec, exec, s[34:35]
.LBB4_507:                              ;   in Loop: Header=BB4_356 Depth=4
	s_or_b64 exec, exec, s[30:31]
.LBB4_508:                              ;   in Loop: Header=BB4_356 Depth=4
	s_or_b64 exec, exec, s[28:29]
	v_mul_f32_e32 v24, v35, v25
	v_and_b32_e32 v2, 0x7f800000, v24
	v_cmp_ne_u64_e32 vcc, s[62:63], v[2:3]
                                        ; implicit-def: $vgpr35
	s_and_saveexec_b64 s[28:29], vcc
	s_xor_b64 s[30:31], exec, s[28:29]
	s_cbranch_execz .LBB4_522
; %bb.509:                              ;   in Loop: Header=BB4_356 Depth=4
	v_and_b32_e32 v2, 0x7fffffff, v24
	v_cmp_gt_u64_e32 vcc, s[72:73], v[2:3]
	v_and_b32_sdwa v36, v24, s70 dst_sel:DWORD dst_unused:UNUSED_PAD src0_sel:BYTE_3 src1_sel:DWORD
                                        ; implicit-def: $vgpr35
	s_and_saveexec_b64 s[28:29], vcc
	s_xor_b64 s[34:35], exec, s[28:29]
	s_cbranch_execz .LBB4_519
; %bb.510:                              ;   in Loop: Header=BB4_356 Depth=4
	v_mov_b32_e32 v35, 0
	v_cmp_ne_u32_e32 vcc, 0, v24
	s_and_saveexec_b64 s[36:37], vcc
	s_cbranch_execz .LBB4_518
; %bb.511:                              ;   in Loop: Header=BB4_356 Depth=4
	v_bfe_u32 v35, v24, 23, 8
	v_cmp_gt_u32_e64 s[28:29], s80, v35
	v_sub_u32_e32 v2, 0x79, v35
	v_and_b32_e32 v1, 0x7fffff, v24
	v_cmp_eq_u32_e32 vcc, 0, v35
	v_cndmask_b32_e64 v2, 0, v2, s[28:29]
	v_mov_b32_e32 v25, 0x78
	v_or_b32_e32 v24, 0x800000, v1
	v_cndmask_b32_e32 v50, v2, v25, vcc
	v_cndmask_b32_e32 v2, v24, v1, vcc
	v_add_u32_e32 v1, 20, v50
	v_lshlrev_b64 v[24:25], v1, -1
	v_add_u32_e32 v1, 19, v50
	v_lshlrev_b64 v[51:52], v1, 1
	v_bfi_b32 v25, v25, 0, 0
	v_bfi_b32 v24, v24, 0, v2
	v_cmp_eq_u64_e64 s[28:29], v[24:25], v[51:52]
	v_lshrrev_b64 v[24:25], v50, v[2:3]
	v_mov_b32_e32 v53, v25
	v_mov_b32_e32 v52, v24
	s_and_saveexec_b64 s[38:39], s[28:29]
; %bb.512:                              ;   in Loop: Header=BB4_356 Depth=4
	v_bfe_u32 v1, v24, 20, 1
	v_add_co_u32_e64 v1, s[28:29], v24, v1
	v_add_co_u32_e64 v52, s[28:29], -1, v1
; %bb.513:                              ;   in Loop: Header=BB4_356 Depth=4
	s_or_b64 exec, exec, s[38:39]
	v_add_u32_e32 v1, 0xffffff81, v35
	v_mov_b32_e32 v2, 0xffffff82
	v_cndmask_b32_e32 v1, v1, v2, vcc
	v_lshrrev_b32_e32 v2, 23, v24
	v_add3_u32 v50, v50, v1, v2
	v_add_u32_e32 v1, 6, v50
	v_and_b32_e32 v2, 0xfffff, v52
	v_add_u32_e32 v2, v2, v24
	v_cmp_ne_u32_e32 vcc, 0, v1
                                        ; implicit-def: $vgpr24_vgpr25
                                        ; implicit-def: $vgpr35
	s_and_saveexec_b64 s[28:29], vcc
	s_xor_b64 s[28:29], exec, s[28:29]
; %bb.514:                              ;   in Loop: Header=BB4_356 Depth=4
	v_cmp_lt_u64_e32 vcc, s[88:89], v[2:3]
	v_add_u32_e32 v24, 7, v50
	v_cndmask_b32_e32 v35, v1, v24, vcc
	v_cndmask_b32_e64 v1, 0, 1, vcc
	v_lshrrev_b64 v[24:25], v1, v[2:3]
; %bb.515:                              ;   in Loop: Header=BB4_356 Depth=4
	s_andn2_saveexec_b64 s[28:29], s[28:29]
; %bb.516:                              ;   in Loop: Header=BB4_356 Depth=4
	v_mov_b32_e32 v25, v3
	v_bfe_u32 v35, v2, 23, 1
	v_mov_b32_e32 v24, v2
; %bb.517:                              ;   in Loop: Header=BB4_356 Depth=4
	s_or_b64 exec, exec, s[28:29]
	v_lshrrev_b64 v[1:2], 20, v[24:25]
	v_cmp_gt_i32_e32 vcc, 16, v35
	v_cndmask_b32_e32 v2, 0, v2, vcc
	v_cndmask_b32_e32 v1, 7, v1, vcc
	v_cmp_eq_u64_e64 s[28:29], 0, v[1:2]
	v_min_i32_e32 v2, 15, v35
	v_lshlrev_b32_e32 v2, 3, v2
	v_cmp_eq_u32_e32 vcc, 0, v35
	v_and_b32_e32 v2, 0xf8, v2
	v_and_or_b32 v1, v1, 7, v2
	s_and_b64 s[28:29], vcc, s[28:29]
	v_cndmask_b32_e64 v1, v1, 0, s[28:29]
	v_or_b32_e32 v35, v1, v36
.LBB4_518:                              ;   in Loop: Header=BB4_356 Depth=4
	s_or_b64 exec, exec, s[36:37]
                                        ; implicit-def: $vgpr36
.LBB4_519:                              ;   in Loop: Header=BB4_356 Depth=4
	s_andn2_saveexec_b64 s[28:29], s[34:35]
; %bb.520:                              ;   in Loop: Header=BB4_356 Depth=4
	v_or_b32_e32 v35, 0x7e, v36
; %bb.521:                              ;   in Loop: Header=BB4_356 Depth=4
	s_or_b64 exec, exec, s[28:29]
                                        ; implicit-def: $vgpr24
.LBB4_522:                              ;   in Loop: Header=BB4_356 Depth=4
	s_andn2_saveexec_b64 s[28:29], s[30:31]
; %bb.523:                              ;   in Loop: Header=BB4_356 Depth=4
	v_or_b32_sdwa v35, v24, s71 dst_sel:DWORD dst_unused:UNUSED_PAD src0_sel:BYTE_3 src1_sel:DWORD
; %bb.524:                              ;   in Loop: Header=BB4_356 Depth=4
	s_or_b64 exec, exec, s[28:29]
	v_lshrrev_b32_e32 v2, 16, v21
	v_cmp_ne_u16_sdwa s[44:45], v2, v3 src0_sel:BYTE_0 src1_sel:DWORD
	v_mov_b32_e32 v24, 0
	v_mov_b32_e32 v25, 0
	s_and_saveexec_b64 s[28:29], s[44:45]
	s_cbranch_execz .LBB4_530
; %bb.525:                              ;   in Loop: Header=BB4_356 Depth=4
	v_cmp_ne_u16_sdwa s[44:45], v2, s70 src0_sel:BYTE_0 src1_sel:DWORD
	v_bfrev_b32_e32 v25, 1
	s_and_saveexec_b64 s[30:31], s[44:45]
	s_cbranch_execz .LBB4_529
; %bb.526:                              ;   in Loop: Header=BB4_356 Depth=4
	v_bfe_u32 v1, v21, 16, 7
	v_cmp_ne_u32_e32 vcc, s71, v1
	v_mov_b32_e32 v25, 0x7f800001
	s_and_saveexec_b64 s[34:35], vcc
	s_cbranch_execz .LBB4_528
; %bb.527:                              ;   in Loop: Header=BB4_356 Depth=4
	v_and_b32_e32 v25, 7, v2
	v_lshrrev_b32_e32 v36, 3, v1
	v_cmp_gt_u32_e32 vcc, 8, v1
	v_ffbh_u32_e32 v1, v25
	v_min_u32_e32 v1, 32, v1
	v_subrev_u32_e32 v50, 28, v1
	v_lshlrev_b64 v[50:51], v50, v[2:3]
	v_sub_u32_e32 v1, 29, v1
	v_and_b32_e32 v50, 7, v50
	v_cndmask_b32_e32 v1, v36, v1, vcc
	v_cndmask_b32_e32 v25, v25, v50, vcc
	v_lshlrev_b32_e32 v2, 24, v2
	v_lshlrev_b32_e32 v25, 20, v25
	v_and_b32_e32 v2, 0x80000000, v2
	v_lshl_add_u32 v1, v1, 23, v0
	v_or3_b32 v25, v2, v1, v25
.LBB4_528:                              ;   in Loop: Header=BB4_356 Depth=4
	s_or_b64 exec, exec, s[34:35]
.LBB4_529:                              ;   in Loop: Header=BB4_356 Depth=4
	s_or_b64 exec, exec, s[30:31]
.LBB4_530:                              ;   in Loop: Header=BB4_356 Depth=4
	s_or_b64 exec, exec, s[28:29]
	v_lshrrev_b32_e32 v2, 16, v17
	v_cmp_ne_u16_sdwa s[44:45], v2, v3 src0_sel:BYTE_0 src1_sel:DWORD
	s_and_saveexec_b64 s[28:29], s[44:45]
	s_cbranch_execz .LBB4_536
; %bb.531:                              ;   in Loop: Header=BB4_356 Depth=4
	v_cmp_ne_u16_sdwa s[44:45], v2, s70 src0_sel:BYTE_0 src1_sel:DWORD
	v_bfrev_b32_e32 v24, 1
	s_and_saveexec_b64 s[30:31], s[44:45]
	s_cbranch_execz .LBB4_535
; %bb.532:                              ;   in Loop: Header=BB4_356 Depth=4
	v_bfe_u32 v1, v17, 16, 7
	v_cmp_ne_u32_e32 vcc, s71, v1
	v_mov_b32_e32 v24, 0x7f800001
	s_and_saveexec_b64 s[34:35], vcc
	s_cbranch_execz .LBB4_534
; %bb.533:                              ;   in Loop: Header=BB4_356 Depth=4
	v_and_b32_e32 v24, 7, v2
	v_lshrrev_b32_e32 v36, 3, v1
	v_cmp_gt_u32_e32 vcc, 8, v1
	v_ffbh_u32_e32 v1, v24
	v_min_u32_e32 v50, 32, v1
	v_subrev_u32_e32 v1, 28, v50
	v_lshlrev_b64 v[1:2], v1, v[2:3]
	v_sub_u32_e32 v2, 29, v50
	v_and_b32_e32 v1, 7, v1
	v_cndmask_b32_e32 v2, v36, v2, vcc
	v_cndmask_b32_e32 v1, v24, v1, vcc
	v_lshlrev_b32_e32 v24, 8, v17
	v_lshlrev_b32_e32 v1, 20, v1
	v_and_b32_e32 v24, 0x80000000, v24
	v_lshl_add_u32 v2, v2, 23, v0
	v_or3_b32 v24, v24, v2, v1
.LBB4_534:                              ;   in Loop: Header=BB4_356 Depth=4
	s_or_b64 exec, exec, s[34:35]
.LBB4_535:                              ;   in Loop: Header=BB4_356 Depth=4
	s_or_b64 exec, exec, s[30:31]
.LBB4_536:                              ;   in Loop: Header=BB4_356 Depth=4
	s_or_b64 exec, exec, s[28:29]
	v_mul_f32_e32 v25, v25, v24
	v_and_b32_e32 v2, 0x7f800000, v25
	v_cmp_ne_u64_e32 vcc, s[62:63], v[2:3]
                                        ; implicit-def: $vgpr24
	s_and_saveexec_b64 s[28:29], vcc
	s_xor_b64 s[30:31], exec, s[28:29]
	s_cbranch_execz .LBB4_550
; %bb.537:                              ;   in Loop: Header=BB4_356 Depth=4
	v_and_b32_e32 v2, 0x7fffffff, v25
	v_cmp_gt_u64_e32 vcc, s[72:73], v[2:3]
	v_and_b32_sdwa v36, v25, s70 dst_sel:DWORD dst_unused:UNUSED_PAD src0_sel:BYTE_3 src1_sel:DWORD
                                        ; implicit-def: $vgpr24
	s_and_saveexec_b64 s[28:29], vcc
	s_xor_b64 s[34:35], exec, s[28:29]
	s_cbranch_execz .LBB4_547
; %bb.538:                              ;   in Loop: Header=BB4_356 Depth=4
	v_mov_b32_e32 v24, 0
	v_cmp_ne_u32_e32 vcc, 0, v25
	s_and_saveexec_b64 s[36:37], vcc
	s_cbranch_execz .LBB4_546
; %bb.539:                              ;   in Loop: Header=BB4_356 Depth=4
	v_bfe_u32 v50, v25, 23, 8
	v_cmp_gt_u32_e64 s[28:29], s80, v50
	v_sub_u32_e32 v2, 0x79, v50
	v_and_b32_e32 v1, 0x7fffff, v25
	v_cmp_eq_u32_e32 vcc, 0, v50
	v_cndmask_b32_e64 v2, 0, v2, s[28:29]
	v_mov_b32_e32 v25, 0x78
	v_or_b32_e32 v24, 0x800000, v1
	v_cndmask_b32_e32 v51, v2, v25, vcc
	v_cndmask_b32_e32 v2, v24, v1, vcc
	v_add_u32_e32 v1, 20, v51
	v_lshlrev_b64 v[24:25], v1, -1
	v_add_u32_e32 v1, 19, v51
	v_lshlrev_b64 v[52:53], v1, 1
	v_bfi_b32 v25, v25, 0, 0
	v_bfi_b32 v24, v24, 0, v2
	v_cmp_eq_u64_e64 s[28:29], v[24:25], v[52:53]
	v_lshrrev_b64 v[24:25], v51, v[2:3]
	v_mov_b32_e32 v53, v25
	v_mov_b32_e32 v52, v24
	s_and_saveexec_b64 s[38:39], s[28:29]
; %bb.540:                              ;   in Loop: Header=BB4_356 Depth=4
	v_bfe_u32 v1, v24, 20, 1
	v_add_co_u32_e64 v1, s[28:29], v24, v1
	v_add_co_u32_e64 v52, s[28:29], -1, v1
; %bb.541:                              ;   in Loop: Header=BB4_356 Depth=4
	s_or_b64 exec, exec, s[38:39]
	v_add_u32_e32 v1, 0xffffff81, v50
	v_mov_b32_e32 v2, 0xffffff82
	v_cndmask_b32_e32 v1, v1, v2, vcc
	v_lshrrev_b32_e32 v2, 23, v24
	v_add3_u32 v51, v51, v1, v2
	v_add_u32_e32 v1, 6, v51
	v_and_b32_e32 v2, 0xfffff, v52
	v_add_u32_e32 v2, v2, v24
	v_cmp_ne_u32_e32 vcc, 0, v1
                                        ; implicit-def: $vgpr24_vgpr25
                                        ; implicit-def: $vgpr50
	s_and_saveexec_b64 s[28:29], vcc
	s_xor_b64 s[28:29], exec, s[28:29]
; %bb.542:                              ;   in Loop: Header=BB4_356 Depth=4
	v_cmp_lt_u64_e32 vcc, s[88:89], v[2:3]
	v_add_u32_e32 v24, 7, v51
	v_cndmask_b32_e32 v50, v1, v24, vcc
	v_cndmask_b32_e64 v1, 0, 1, vcc
	v_lshrrev_b64 v[24:25], v1, v[2:3]
; %bb.543:                              ;   in Loop: Header=BB4_356 Depth=4
	s_andn2_saveexec_b64 s[28:29], s[28:29]
; %bb.544:                              ;   in Loop: Header=BB4_356 Depth=4
	v_mov_b32_e32 v25, v3
	v_bfe_u32 v50, v2, 23, 1
	v_mov_b32_e32 v24, v2
; %bb.545:                              ;   in Loop: Header=BB4_356 Depth=4
	s_or_b64 exec, exec, s[28:29]
	v_lshrrev_b64 v[1:2], 20, v[24:25]
	v_cmp_gt_i32_e32 vcc, 16, v50
	v_cndmask_b32_e32 v2, 0, v2, vcc
	v_cndmask_b32_e32 v1, 7, v1, vcc
	v_cmp_eq_u64_e64 s[28:29], 0, v[1:2]
	v_min_i32_e32 v2, 15, v50
	v_lshlrev_b32_e32 v2, 3, v2
	v_cmp_eq_u32_e32 vcc, 0, v50
	v_and_b32_e32 v2, 0xf8, v2
	v_and_or_b32 v1, v1, 7, v2
	s_and_b64 s[28:29], vcc, s[28:29]
	v_cndmask_b32_e64 v1, v1, 0, s[28:29]
	v_or_b32_e32 v24, v1, v36
.LBB4_546:                              ;   in Loop: Header=BB4_356 Depth=4
	s_or_b64 exec, exec, s[36:37]
                                        ; implicit-def: $vgpr36
.LBB4_547:                              ;   in Loop: Header=BB4_356 Depth=4
	s_andn2_saveexec_b64 s[28:29], s[34:35]
; %bb.548:                              ;   in Loop: Header=BB4_356 Depth=4
	v_or_b32_e32 v24, 0x7e, v36
; %bb.549:                              ;   in Loop: Header=BB4_356 Depth=4
	s_or_b64 exec, exec, s[28:29]
                                        ; implicit-def: $vgpr25
.LBB4_550:                              ;   in Loop: Header=BB4_356 Depth=4
	s_andn2_saveexec_b64 s[28:29], s[30:31]
; %bb.551:                              ;   in Loop: Header=BB4_356 Depth=4
	v_or_b32_sdwa v24, v25, s71 dst_sel:DWORD dst_unused:UNUSED_PAD src0_sel:BYTE_3 src1_sel:DWORD
; %bb.552:                              ;   in Loop: Header=BB4_356 Depth=4
	s_or_b64 exec, exec, s[28:29]
	v_cmp_lt_u64_e32 vcc, s[56:57], v[20:21]
	v_mov_b32_e32 v20, 0
	v_mov_b32_e32 v25, 0
	s_and_saveexec_b64 s[28:29], vcc
	s_cbranch_execz .LBB4_558
; %bb.553:                              ;   in Loop: Header=BB4_356 Depth=4
	v_lshrrev_b32_e32 v2, 24, v21
	v_cmp_ne_u32_e32 vcc, s70, v2
	v_bfrev_b32_e32 v25, 1
	s_and_saveexec_b64 s[30:31], vcc
	s_cbranch_execz .LBB4_557
; %bb.554:                              ;   in Loop: Header=BB4_356 Depth=4
	v_bfe_u32 v1, v21, 24, 7
	v_cmp_ne_u32_e32 vcc, s71, v1
	v_mov_b32_e32 v25, 0x7f800001
	s_and_saveexec_b64 s[34:35], vcc
	s_cbranch_execz .LBB4_556
; %bb.555:                              ;   in Loop: Header=BB4_356 Depth=4
	v_and_b32_e32 v21, 7, v2
	v_lshrrev_b32_e32 v25, 3, v1
	v_cmp_gt_u32_e32 vcc, 8, v1
	v_ffbh_u32_e32 v1, v21
	v_min_u32_e32 v1, 32, v1
	v_subrev_u32_e32 v36, 28, v1
	v_lshlrev_b64 v[50:51], v36, v[2:3]
	v_sub_u32_e32 v1, 29, v1
	v_and_b32_e32 v36, 7, v50
	v_cndmask_b32_e32 v1, v25, v1, vcc
	v_cndmask_b32_e32 v21, v21, v36, vcc
	v_lshlrev_b32_e32 v2, 24, v2
	v_lshlrev_b32_e32 v21, 20, v21
	v_and_b32_e32 v2, 0x80000000, v2
	v_lshl_add_u32 v1, v1, 23, v0
	v_or3_b32 v25, v2, v1, v21
.LBB4_556:                              ;   in Loop: Header=BB4_356 Depth=4
	s_or_b64 exec, exec, s[34:35]
.LBB4_557:                              ;   in Loop: Header=BB4_356 Depth=4
	s_or_b64 exec, exec, s[30:31]
.LBB4_558:                              ;   in Loop: Header=BB4_356 Depth=4
	s_or_b64 exec, exec, s[28:29]
	v_cmp_lt_u64_e32 vcc, s[56:57], v[16:17]
	s_and_saveexec_b64 s[28:29], vcc
	s_cbranch_execz .LBB4_564
; %bb.559:                              ;   in Loop: Header=BB4_356 Depth=4
	v_lshrrev_b32_e32 v2, 24, v17
	v_cmp_ne_u32_e32 vcc, s70, v2
	v_bfrev_b32_e32 v20, 1
	s_and_saveexec_b64 s[30:31], vcc
	s_cbranch_execz .LBB4_563
; %bb.560:                              ;   in Loop: Header=BB4_356 Depth=4
	v_bfe_u32 v1, v17, 24, 7
	v_cmp_ne_u32_e32 vcc, s71, v1
	v_mov_b32_e32 v20, 0x7f800001
	s_and_saveexec_b64 s[34:35], vcc
	s_cbranch_execz .LBB4_562
; %bb.561:                              ;   in Loop: Header=BB4_356 Depth=4
	v_and_b32_e32 v20, 7, v2
	v_lshrrev_b32_e32 v21, 3, v1
	v_cmp_gt_u32_e32 vcc, 8, v1
	v_ffbh_u32_e32 v1, v20
	v_min_u32_e32 v1, 32, v1
	v_subrev_u32_e32 v16, 28, v1
	v_lshlrev_b64 v[16:17], v16, v[2:3]
	v_sub_u32_e32 v1, 29, v1
	v_and_b32_e32 v16, 7, v16
	v_cndmask_b32_e32 v1, v21, v1, vcc
	v_cndmask_b32_e32 v16, v20, v16, vcc
	v_lshlrev_b32_e32 v2, 24, v2
	v_lshlrev_b32_e32 v16, 20, v16
	v_and_b32_e32 v2, 0x80000000, v2
	v_lshl_add_u32 v1, v1, 23, v0
	v_or3_b32 v20, v2, v1, v16
.LBB4_562:                              ;   in Loop: Header=BB4_356 Depth=4
	s_or_b64 exec, exec, s[34:35]
.LBB4_563:                              ;   in Loop: Header=BB4_356 Depth=4
	s_or_b64 exec, exec, s[30:31]
.LBB4_564:                              ;   in Loop: Header=BB4_356 Depth=4
	s_or_b64 exec, exec, s[28:29]
	v_mul_f32_e32 v16, v25, v20
	v_and_b32_e32 v2, 0x7f800000, v16
	v_cmp_ne_u64_e32 vcc, s[62:63], v[2:3]
                                        ; implicit-def: $vgpr25
	s_and_saveexec_b64 s[28:29], vcc
	s_xor_b64 s[30:31], exec, s[28:29]
	s_cbranch_execz .LBB4_578
; %bb.565:                              ;   in Loop: Header=BB4_356 Depth=4
	v_and_b32_e32 v2, 0x7fffffff, v16
	v_cmp_gt_u64_e32 vcc, s[72:73], v[2:3]
	v_and_b32_sdwa v36, v16, s70 dst_sel:DWORD dst_unused:UNUSED_PAD src0_sel:BYTE_3 src1_sel:DWORD
                                        ; implicit-def: $vgpr25
	s_and_saveexec_b64 s[28:29], vcc
	s_xor_b64 s[34:35], exec, s[28:29]
	s_cbranch_execz .LBB4_575
; %bb.566:                              ;   in Loop: Header=BB4_356 Depth=4
	v_mov_b32_e32 v25, 0
	v_cmp_ne_u32_e32 vcc, 0, v16
	s_and_saveexec_b64 s[36:37], vcc
	s_cbranch_execz .LBB4_574
; %bb.567:                              ;   in Loop: Header=BB4_356 Depth=4
	v_bfe_u32 v25, v16, 23, 8
	v_cmp_gt_u32_e64 s[28:29], s80, v25
	v_sub_u32_e32 v2, 0x79, v25
	v_and_b32_e32 v1, 0x7fffff, v16
	v_cmp_eq_u32_e32 vcc, 0, v25
	v_cndmask_b32_e64 v2, 0, v2, s[28:29]
	v_mov_b32_e32 v17, 0x78
	v_or_b32_e32 v16, 0x800000, v1
	v_cndmask_b32_e32 v50, v2, v17, vcc
	v_cndmask_b32_e32 v2, v16, v1, vcc
	v_add_u32_e32 v1, 20, v50
	v_lshlrev_b64 v[16:17], v1, -1
	v_add_u32_e32 v1, 19, v50
	v_lshlrev_b64 v[20:21], v1, 1
	v_bfi_b32 v17, v17, 0, 0
	v_bfi_b32 v16, v16, 0, v2
	v_cmp_eq_u64_e64 s[28:29], v[16:17], v[20:21]
	v_lshrrev_b64 v[16:17], v50, v[2:3]
	v_mov_b32_e32 v21, v17
	v_mov_b32_e32 v20, v16
	s_and_saveexec_b64 s[38:39], s[28:29]
; %bb.568:                              ;   in Loop: Header=BB4_356 Depth=4
	v_bfe_u32 v1, v16, 20, 1
	v_add_co_u32_e64 v1, s[28:29], v16, v1
	v_add_co_u32_e64 v20, s[28:29], -1, v1
; %bb.569:                              ;   in Loop: Header=BB4_356 Depth=4
	s_or_b64 exec, exec, s[38:39]
	v_add_u32_e32 v1, 0xffffff81, v25
	v_mov_b32_e32 v2, 0xffffff82
	v_cndmask_b32_e32 v1, v1, v2, vcc
	v_lshrrev_b32_e32 v2, 23, v16
	v_add3_u32 v21, v50, v1, v2
	v_add_u32_e32 v1, 6, v21
	v_and_b32_e32 v2, 0xfffff, v20
	v_add_u32_e32 v2, v2, v16
	v_cmp_ne_u32_e32 vcc, 0, v1
                                        ; implicit-def: $vgpr16_vgpr17
                                        ; implicit-def: $vgpr20
	s_and_saveexec_b64 s[28:29], vcc
	s_xor_b64 s[28:29], exec, s[28:29]
; %bb.570:                              ;   in Loop: Header=BB4_356 Depth=4
	v_cmp_lt_u64_e32 vcc, s[88:89], v[2:3]
	v_add_u32_e32 v16, 7, v21
	v_cndmask_b32_e32 v20, v1, v16, vcc
	v_cndmask_b32_e64 v1, 0, 1, vcc
	v_lshrrev_b64 v[16:17], v1, v[2:3]
; %bb.571:                              ;   in Loop: Header=BB4_356 Depth=4
	s_andn2_saveexec_b64 s[28:29], s[28:29]
; %bb.572:                              ;   in Loop: Header=BB4_356 Depth=4
	v_mov_b32_e32 v17, v3
	v_bfe_u32 v20, v2, 23, 1
	v_mov_b32_e32 v16, v2
; %bb.573:                              ;   in Loop: Header=BB4_356 Depth=4
	s_or_b64 exec, exec, s[28:29]
	v_lshrrev_b64 v[1:2], 20, v[16:17]
	v_cmp_gt_i32_e32 vcc, 16, v20
	v_cndmask_b32_e32 v2, 0, v2, vcc
	v_cndmask_b32_e32 v1, 7, v1, vcc
	v_cmp_eq_u64_e64 s[28:29], 0, v[1:2]
	v_min_i32_e32 v2, 15, v20
	v_lshlrev_b32_e32 v2, 3, v2
	v_cmp_eq_u32_e32 vcc, 0, v20
	v_and_b32_e32 v2, 0xf8, v2
	v_and_or_b32 v1, v1, 7, v2
	s_and_b64 s[28:29], vcc, s[28:29]
	v_cndmask_b32_e64 v1, v1, 0, s[28:29]
	v_or_b32_e32 v25, v1, v36
.LBB4_574:                              ;   in Loop: Header=BB4_356 Depth=4
	s_or_b64 exec, exec, s[36:37]
                                        ; implicit-def: $vgpr36
.LBB4_575:                              ;   in Loop: Header=BB4_356 Depth=4
	s_andn2_saveexec_b64 s[28:29], s[34:35]
; %bb.576:                              ;   in Loop: Header=BB4_356 Depth=4
	v_or_b32_e32 v25, 0x7e, v36
; %bb.577:                              ;   in Loop: Header=BB4_356 Depth=4
	s_or_b64 exec, exec, s[28:29]
                                        ; implicit-def: $vgpr16
.LBB4_578:                              ;   in Loop: Header=BB4_356 Depth=4
	s_andn2_saveexec_b64 s[28:29], s[30:31]
; %bb.579:                              ;   in Loop: Header=BB4_356 Depth=4
	v_or_b32_sdwa v25, v16, s71 dst_sel:DWORD dst_unused:UNUSED_PAD src0_sel:BYTE_3 src1_sel:DWORD
; %bb.580:                              ;   in Loop: Header=BB4_356 Depth=4
	s_or_b64 exec, exec, s[28:29]
	v_cmp_ne_u16_sdwa s[44:45], v22, v3 src0_sel:BYTE_0 src1_sel:DWORD
	v_mov_b32_e32 v2, 0
	v_mov_b32_e32 v16, 0
	s_and_saveexec_b64 s[28:29], s[44:45]
	s_cbranch_execz .LBB4_586
; %bb.581:                              ;   in Loop: Header=BB4_356 Depth=4
	v_cmp_ne_u16_sdwa s[44:45], v22, s70 src0_sel:BYTE_0 src1_sel:DWORD
	v_bfrev_b32_e32 v16, 1
	s_and_saveexec_b64 s[30:31], s[44:45]
	s_cbranch_execz .LBB4_585
; %bb.582:                              ;   in Loop: Header=BB4_356 Depth=4
	v_and_b32_e32 v1, 0x7f, v22
	v_cmp_ne_u32_e32 vcc, s71, v1
	v_mov_b32_e32 v16, 0x7f800001
	s_and_saveexec_b64 s[34:35], vcc
	s_cbranch_execz .LBB4_584
; %bb.583:                              ;   in Loop: Header=BB4_356 Depth=4
	v_and_b32_e32 v16, 7, v22
	v_lshrrev_b32_e32 v17, 3, v1
	v_cmp_gt_u32_e32 vcc, 8, v1
	v_ffbh_u32_e32 v1, v16
	v_min_u32_e32 v1, 32, v1
	v_subrev_u32_e32 v16, 28, v1
	v_sub_u32_e32 v1, 29, v1
	v_cndmask_b32_e32 v16, 0, v16, vcc
	v_cndmask_b32_e32 v1, v17, v1, vcc
	v_lshlrev_b64 v[16:17], v16, v[22:23]
	v_lshlrev_b32_e32 v17, 24, v22
	v_lshlrev_b32_e32 v16, 20, v16
	v_and_b32_e32 v16, 0x700000, v16
	v_and_b32_e32 v17, 0x80000000, v17
	v_lshl_add_u32 v1, v1, 23, v0
	v_or3_b32 v16, v17, v1, v16
.LBB4_584:                              ;   in Loop: Header=BB4_356 Depth=4
	s_or_b64 exec, exec, s[34:35]
.LBB4_585:                              ;   in Loop: Header=BB4_356 Depth=4
	s_or_b64 exec, exec, s[30:31]
.LBB4_586:                              ;   in Loop: Header=BB4_356 Depth=4
	s_or_b64 exec, exec, s[28:29]
	v_cmp_ne_u16_sdwa s[44:45], v18, v3 src0_sel:BYTE_0 src1_sel:DWORD
	s_and_saveexec_b64 s[28:29], s[44:45]
	s_cbranch_execz .LBB4_592
; %bb.587:                              ;   in Loop: Header=BB4_356 Depth=4
	v_cmp_ne_u16_sdwa s[44:45], v18, s70 src0_sel:BYTE_0 src1_sel:DWORD
	v_bfrev_b32_e32 v2, 1
	s_and_saveexec_b64 s[30:31], s[44:45]
	s_cbranch_execz .LBB4_591
; %bb.588:                              ;   in Loop: Header=BB4_356 Depth=4
	v_and_b32_e32 v1, 0x7f, v18
	v_cmp_ne_u32_e32 vcc, s71, v1
	v_mov_b32_e32 v2, 0x7f800001
	s_and_saveexec_b64 s[34:35], vcc
	s_cbranch_execz .LBB4_590
; %bb.589:                              ;   in Loop: Header=BB4_356 Depth=4
	v_and_b32_e32 v2, 7, v18
	v_lshrrev_b32_e32 v17, 3, v1
	v_cmp_gt_u32_e32 vcc, 8, v1
	v_ffbh_u32_e32 v1, v2
	v_min_u32_e32 v1, 32, v1
	v_subrev_u32_e32 v2, 28, v1
	v_sub_u32_e32 v1, 29, v1
	v_cndmask_b32_e32 v17, v17, v1, vcc
	v_cndmask_b32_e32 v1, 0, v2, vcc
	v_lshlrev_b64 v[1:2], v1, v[18:19]
	v_lshlrev_b32_e32 v2, 24, v18
	v_lshlrev_b32_e32 v1, 20, v1
	v_and_b32_e32 v1, 0x700000, v1
	v_and_b32_e32 v2, 0x80000000, v2
	v_lshl_add_u32 v17, v17, 23, v0
	v_or3_b32 v2, v2, v17, v1
.LBB4_590:                              ;   in Loop: Header=BB4_356 Depth=4
	s_or_b64 exec, exec, s[34:35]
.LBB4_591:                              ;   in Loop: Header=BB4_356 Depth=4
	s_or_b64 exec, exec, s[30:31]
.LBB4_592:                              ;   in Loop: Header=BB4_356 Depth=4
	s_or_b64 exec, exec, s[28:29]
	v_mul_f32_e32 v16, v16, v2
	v_and_b32_e32 v2, 0x7f800000, v16
	v_cmp_ne_u64_e32 vcc, s[62:63], v[2:3]
                                        ; implicit-def: $vgpr52
	s_and_saveexec_b64 s[28:29], vcc
	s_xor_b64 s[30:31], exec, s[28:29]
	s_cbranch_execz .LBB4_606
; %bb.593:                              ;   in Loop: Header=BB4_356 Depth=4
	v_and_b32_e32 v2, 0x7fffffff, v16
	v_cmp_gt_u64_e32 vcc, s[72:73], v[2:3]
	v_and_b32_sdwa v36, v16, s70 dst_sel:DWORD dst_unused:UNUSED_PAD src0_sel:BYTE_3 src1_sel:DWORD
                                        ; implicit-def: $vgpr52
	s_and_saveexec_b64 s[28:29], vcc
	s_xor_b64 s[34:35], exec, s[28:29]
	s_cbranch_execz .LBB4_603
; %bb.594:                              ;   in Loop: Header=BB4_356 Depth=4
	v_mov_b32_e32 v52, 0
	v_cmp_ne_u32_e32 vcc, 0, v16
	s_and_saveexec_b64 s[36:37], vcc
	s_cbranch_execz .LBB4_602
; %bb.595:                              ;   in Loop: Header=BB4_356 Depth=4
	v_bfe_u32 v50, v16, 23, 8
	v_cmp_gt_u32_e64 s[28:29], s80, v50
	v_sub_u32_e32 v2, 0x79, v50
	v_and_b32_e32 v1, 0x7fffff, v16
	v_cmp_eq_u32_e32 vcc, 0, v50
	v_cndmask_b32_e64 v2, 0, v2, s[28:29]
	v_mov_b32_e32 v17, 0x78
	v_or_b32_e32 v16, 0x800000, v1
	v_cndmask_b32_e32 v51, v2, v17, vcc
	v_cndmask_b32_e32 v2, v16, v1, vcc
	v_add_u32_e32 v1, 20, v51
	v_lshlrev_b64 v[16:17], v1, -1
	v_add_u32_e32 v1, 19, v51
	v_lshlrev_b64 v[20:21], v1, 1
	v_bfi_b32 v17, v17, 0, 0
	v_bfi_b32 v16, v16, 0, v2
	v_cmp_eq_u64_e64 s[28:29], v[16:17], v[20:21]
	v_lshrrev_b64 v[16:17], v51, v[2:3]
	v_mov_b32_e32 v21, v17
	v_mov_b32_e32 v20, v16
	s_and_saveexec_b64 s[38:39], s[28:29]
; %bb.596:                              ;   in Loop: Header=BB4_356 Depth=4
	v_bfe_u32 v1, v16, 20, 1
	v_add_co_u32_e64 v1, s[28:29], v16, v1
	v_add_co_u32_e64 v20, s[28:29], -1, v1
; %bb.597:                              ;   in Loop: Header=BB4_356 Depth=4
	s_or_b64 exec, exec, s[38:39]
	v_add_u32_e32 v1, 0xffffff81, v50
	v_mov_b32_e32 v2, 0xffffff82
	v_cndmask_b32_e32 v1, v1, v2, vcc
	v_lshrrev_b32_e32 v2, 23, v16
	v_add3_u32 v21, v51, v1, v2
	v_add_u32_e32 v1, 6, v21
	v_and_b32_e32 v2, 0xfffff, v20
	v_add_u32_e32 v2, v2, v16
	v_cmp_ne_u32_e32 vcc, 0, v1
                                        ; implicit-def: $vgpr16_vgpr17
                                        ; implicit-def: $vgpr20
	s_and_saveexec_b64 s[28:29], vcc
	s_xor_b64 s[28:29], exec, s[28:29]
; %bb.598:                              ;   in Loop: Header=BB4_356 Depth=4
	v_cmp_lt_u64_e32 vcc, s[88:89], v[2:3]
	v_add_u32_e32 v16, 7, v21
	v_cndmask_b32_e32 v20, v1, v16, vcc
	v_cndmask_b32_e64 v1, 0, 1, vcc
	v_lshrrev_b64 v[16:17], v1, v[2:3]
; %bb.599:                              ;   in Loop: Header=BB4_356 Depth=4
	s_andn2_saveexec_b64 s[28:29], s[28:29]
; %bb.600:                              ;   in Loop: Header=BB4_356 Depth=4
	v_mov_b32_e32 v17, v3
	v_bfe_u32 v20, v2, 23, 1
	v_mov_b32_e32 v16, v2
; %bb.601:                              ;   in Loop: Header=BB4_356 Depth=4
	s_or_b64 exec, exec, s[28:29]
	v_lshrrev_b64 v[1:2], 20, v[16:17]
	v_cmp_gt_i32_e32 vcc, 16, v20
	v_cndmask_b32_e32 v2, 0, v2, vcc
	v_cndmask_b32_e32 v1, 7, v1, vcc
	v_cmp_eq_u64_e64 s[28:29], 0, v[1:2]
	v_min_i32_e32 v2, 15, v20
	v_lshlrev_b32_e32 v2, 3, v2
	v_cmp_eq_u32_e32 vcc, 0, v20
	v_and_b32_e32 v2, 0xf8, v2
	v_and_or_b32 v1, v1, 7, v2
	s_and_b64 s[28:29], vcc, s[28:29]
	v_cndmask_b32_e64 v1, v1, 0, s[28:29]
	v_or_b32_e32 v52, v1, v36
.LBB4_602:                              ;   in Loop: Header=BB4_356 Depth=4
	s_or_b64 exec, exec, s[36:37]
                                        ; implicit-def: $vgpr36
.LBB4_603:                              ;   in Loop: Header=BB4_356 Depth=4
	s_andn2_saveexec_b64 s[28:29], s[34:35]
; %bb.604:                              ;   in Loop: Header=BB4_356 Depth=4
	v_or_b32_e32 v52, 0x7e, v36
; %bb.605:                              ;   in Loop: Header=BB4_356 Depth=4
	s_or_b64 exec, exec, s[28:29]
                                        ; implicit-def: $vgpr16
.LBB4_606:                              ;   in Loop: Header=BB4_356 Depth=4
	s_andn2_saveexec_b64 s[28:29], s[30:31]
; %bb.607:                              ;   in Loop: Header=BB4_356 Depth=4
	v_or_b32_sdwa v52, v16, s71 dst_sel:DWORD dst_unused:UNUSED_PAD src0_sel:BYTE_3 src1_sel:DWORD
; %bb.608:                              ;   in Loop: Header=BB4_356 Depth=4
	s_or_b64 exec, exec, s[28:29]
	v_lshrrev_b16_e32 v2, 8, v22
	v_cmp_ne_u16_e32 vcc, 0, v2
	v_mov_b32_e32 v16, 0
	v_mov_b32_e32 v17, 0
	s_and_saveexec_b64 s[28:29], vcc
	s_cbranch_execz .LBB4_614
; %bb.609:                              ;   in Loop: Header=BB4_356 Depth=4
	v_cmp_ne_u16_e32 vcc, s70, v2
	v_bfrev_b32_e32 v17, 1
	s_and_saveexec_b64 s[30:31], vcc
	s_cbranch_execz .LBB4_613
; %bb.610:                              ;   in Loop: Header=BB4_356 Depth=4
	v_and_b32_e32 v1, 0x7f, v2
	v_cmp_ne_u32_e32 vcc, s71, v1
	v_mov_b32_e32 v17, 0x7f800001
	s_and_saveexec_b64 s[34:35], vcc
	s_cbranch_execz .LBB4_612
; %bb.611:                              ;   in Loop: Header=BB4_356 Depth=4
	v_and_b32_e32 v17, 7, v2
	v_lshrrev_b32_e32 v20, 3, v1
	v_cmp_gt_u32_e32 vcc, 8, v1
	v_ffbh_u32_e32 v1, v17
	v_min_u32_e32 v21, 32, v1
	v_subrev_u32_e32 v1, 28, v21
	v_lshlrev_b64 v[1:2], v1, v[2:3]
	v_sub_u32_e32 v2, 29, v21
	v_and_b32_e32 v1, 7, v1
	v_cndmask_b32_e32 v2, v20, v2, vcc
	v_cndmask_b32_e32 v1, v17, v1, vcc
	v_lshlrev_b32_e32 v17, 16, v22
	v_lshlrev_b32_e32 v1, 20, v1
	v_and_b32_e32 v17, 0x80000000, v17
	v_lshl_add_u32 v2, v2, 23, v0
	v_or3_b32 v17, v17, v2, v1
.LBB4_612:                              ;   in Loop: Header=BB4_356 Depth=4
	s_or_b64 exec, exec, s[34:35]
.LBB4_613:                              ;   in Loop: Header=BB4_356 Depth=4
	s_or_b64 exec, exec, s[30:31]
.LBB4_614:                              ;   in Loop: Header=BB4_356 Depth=4
	s_or_b64 exec, exec, s[28:29]
	v_lshrrev_b16_e32 v2, 8, v18
	v_cmp_ne_u16_e32 vcc, 0, v2
	s_and_saveexec_b64 s[28:29], vcc
	s_cbranch_execz .LBB4_620
; %bb.615:                              ;   in Loop: Header=BB4_356 Depth=4
	v_cmp_ne_u16_e32 vcc, s70, v2
	v_bfrev_b32_e32 v16, 1
	s_and_saveexec_b64 s[30:31], vcc
	s_cbranch_execz .LBB4_619
; %bb.616:                              ;   in Loop: Header=BB4_356 Depth=4
	v_and_b32_e32 v1, 0x7f, v2
	v_cmp_ne_u32_e32 vcc, s71, v1
	v_mov_b32_e32 v16, 0x7f800001
	s_and_saveexec_b64 s[34:35], vcc
	s_cbranch_execz .LBB4_618
; %bb.617:                              ;   in Loop: Header=BB4_356 Depth=4
	v_and_b32_e32 v16, 7, v2
	v_lshrrev_b32_e32 v20, 3, v1
	v_cmp_gt_u32_e32 vcc, 8, v1
	v_ffbh_u32_e32 v1, v16
	v_min_u32_e32 v21, 32, v1
	v_subrev_u32_e32 v1, 28, v21
	v_lshlrev_b64 v[1:2], v1, v[2:3]
	v_sub_u32_e32 v2, 29, v21
	v_and_b32_e32 v1, 7, v1
	v_cndmask_b32_e32 v2, v20, v2, vcc
	v_cndmask_b32_e32 v1, v16, v1, vcc
	v_lshlrev_b32_e32 v16, 16, v18
	v_lshlrev_b32_e32 v1, 20, v1
	v_and_b32_e32 v16, 0x80000000, v16
	v_lshl_add_u32 v2, v2, 23, v0
	v_or3_b32 v16, v16, v2, v1
.LBB4_618:                              ;   in Loop: Header=BB4_356 Depth=4
	s_or_b64 exec, exec, s[34:35]
.LBB4_619:                              ;   in Loop: Header=BB4_356 Depth=4
	s_or_b64 exec, exec, s[30:31]
.LBB4_620:                              ;   in Loop: Header=BB4_356 Depth=4
	s_or_b64 exec, exec, s[28:29]
	v_mul_f32_e32 v16, v17, v16
	v_and_b32_e32 v2, 0x7f800000, v16
	v_cmp_ne_u64_e32 vcc, s[62:63], v[2:3]
                                        ; implicit-def: $vgpr53
	s_and_saveexec_b64 s[28:29], vcc
	s_xor_b64 s[30:31], exec, s[28:29]
	s_cbranch_execz .LBB4_634
; %bb.621:                              ;   in Loop: Header=BB4_356 Depth=4
	v_and_b32_e32 v2, 0x7fffffff, v16
	v_cmp_gt_u64_e32 vcc, s[72:73], v[2:3]
	v_and_b32_sdwa v36, v16, s70 dst_sel:DWORD dst_unused:UNUSED_PAD src0_sel:BYTE_3 src1_sel:DWORD
                                        ; implicit-def: $vgpr53
	s_and_saveexec_b64 s[28:29], vcc
	s_xor_b64 s[34:35], exec, s[28:29]
	s_cbranch_execz .LBB4_631
; %bb.622:                              ;   in Loop: Header=BB4_356 Depth=4
	v_mov_b32_e32 v53, 0
	v_cmp_ne_u32_e32 vcc, 0, v16
	s_and_saveexec_b64 s[36:37], vcc
	s_cbranch_execz .LBB4_630
; %bb.623:                              ;   in Loop: Header=BB4_356 Depth=4
	v_bfe_u32 v50, v16, 23, 8
	v_cmp_gt_u32_e64 s[28:29], s80, v50
	v_sub_u32_e32 v2, 0x79, v50
	v_and_b32_e32 v1, 0x7fffff, v16
	v_cmp_eq_u32_e32 vcc, 0, v50
	v_cndmask_b32_e64 v2, 0, v2, s[28:29]
	v_mov_b32_e32 v17, 0x78
	v_or_b32_e32 v16, 0x800000, v1
	v_cndmask_b32_e32 v51, v2, v17, vcc
	v_cndmask_b32_e32 v2, v16, v1, vcc
	v_add_u32_e32 v1, 20, v51
	v_lshlrev_b64 v[16:17], v1, -1
	v_add_u32_e32 v1, 19, v51
	v_lshlrev_b64 v[20:21], v1, 1
	v_bfi_b32 v17, v17, 0, 0
	v_bfi_b32 v16, v16, 0, v2
	v_cmp_eq_u64_e64 s[28:29], v[16:17], v[20:21]
	v_lshrrev_b64 v[16:17], v51, v[2:3]
	v_mov_b32_e32 v21, v17
	v_mov_b32_e32 v20, v16
	s_and_saveexec_b64 s[38:39], s[28:29]
; %bb.624:                              ;   in Loop: Header=BB4_356 Depth=4
	v_bfe_u32 v1, v16, 20, 1
	v_add_co_u32_e64 v1, s[28:29], v16, v1
	v_add_co_u32_e64 v20, s[28:29], -1, v1
; %bb.625:                              ;   in Loop: Header=BB4_356 Depth=4
	s_or_b64 exec, exec, s[38:39]
	v_add_u32_e32 v1, 0xffffff81, v50
	v_mov_b32_e32 v2, 0xffffff82
	v_cndmask_b32_e32 v1, v1, v2, vcc
	v_lshrrev_b32_e32 v2, 23, v16
	v_add3_u32 v21, v51, v1, v2
	v_add_u32_e32 v1, 6, v21
	v_and_b32_e32 v2, 0xfffff, v20
	v_add_u32_e32 v2, v2, v16
	v_cmp_ne_u32_e32 vcc, 0, v1
                                        ; implicit-def: $vgpr16_vgpr17
                                        ; implicit-def: $vgpr20
	s_and_saveexec_b64 s[28:29], vcc
	s_xor_b64 s[28:29], exec, s[28:29]
; %bb.626:                              ;   in Loop: Header=BB4_356 Depth=4
	v_cmp_lt_u64_e32 vcc, s[88:89], v[2:3]
	v_add_u32_e32 v16, 7, v21
	v_cndmask_b32_e32 v20, v1, v16, vcc
	v_cndmask_b32_e64 v1, 0, 1, vcc
	v_lshrrev_b64 v[16:17], v1, v[2:3]
; %bb.627:                              ;   in Loop: Header=BB4_356 Depth=4
	s_andn2_saveexec_b64 s[28:29], s[28:29]
; %bb.628:                              ;   in Loop: Header=BB4_356 Depth=4
	v_mov_b32_e32 v17, v3
	v_bfe_u32 v20, v2, 23, 1
	v_mov_b32_e32 v16, v2
; %bb.629:                              ;   in Loop: Header=BB4_356 Depth=4
	s_or_b64 exec, exec, s[28:29]
	v_lshrrev_b64 v[1:2], 20, v[16:17]
	v_cmp_gt_i32_e32 vcc, 16, v20
	v_cndmask_b32_e32 v2, 0, v2, vcc
	v_cndmask_b32_e32 v1, 7, v1, vcc
	v_cmp_eq_u64_e64 s[28:29], 0, v[1:2]
	v_min_i32_e32 v2, 15, v20
	v_lshlrev_b32_e32 v2, 3, v2
	v_cmp_eq_u32_e32 vcc, 0, v20
	v_and_b32_e32 v2, 0xf8, v2
	v_and_or_b32 v1, v1, 7, v2
	s_and_b64 s[28:29], vcc, s[28:29]
	v_cndmask_b32_e64 v1, v1, 0, s[28:29]
	v_or_b32_e32 v53, v1, v36
.LBB4_630:                              ;   in Loop: Header=BB4_356 Depth=4
	s_or_b64 exec, exec, s[36:37]
                                        ; implicit-def: $vgpr36
.LBB4_631:                              ;   in Loop: Header=BB4_356 Depth=4
	s_andn2_saveexec_b64 s[28:29], s[34:35]
; %bb.632:                              ;   in Loop: Header=BB4_356 Depth=4
	v_or_b32_e32 v53, 0x7e, v36
; %bb.633:                              ;   in Loop: Header=BB4_356 Depth=4
	s_or_b64 exec, exec, s[28:29]
                                        ; implicit-def: $vgpr16
.LBB4_634:                              ;   in Loop: Header=BB4_356 Depth=4
	s_andn2_saveexec_b64 s[28:29], s[30:31]
; %bb.635:                              ;   in Loop: Header=BB4_356 Depth=4
	v_or_b32_sdwa v53, v16, s71 dst_sel:DWORD dst_unused:UNUSED_PAD src0_sel:BYTE_3 src1_sel:DWORD
; %bb.636:                              ;   in Loop: Header=BB4_356 Depth=4
	s_or_b64 exec, exec, s[28:29]
	v_lshrrev_b32_e32 v2, 16, v22
	v_cmp_ne_u16_sdwa s[44:45], v2, v3 src0_sel:BYTE_0 src1_sel:DWORD
	v_mov_b32_e32 v16, 0
	v_mov_b32_e32 v17, 0
	s_and_saveexec_b64 s[28:29], s[44:45]
	s_cbranch_execz .LBB4_642
; %bb.637:                              ;   in Loop: Header=BB4_356 Depth=4
	v_cmp_ne_u16_sdwa s[44:45], v2, s70 src0_sel:BYTE_0 src1_sel:DWORD
	v_bfrev_b32_e32 v17, 1
	s_and_saveexec_b64 s[30:31], s[44:45]
	s_cbranch_execz .LBB4_641
; %bb.638:                              ;   in Loop: Header=BB4_356 Depth=4
	v_bfe_u32 v1, v22, 16, 7
	v_cmp_ne_u32_e32 vcc, s71, v1
	v_mov_b32_e32 v17, 0x7f800001
	s_and_saveexec_b64 s[34:35], vcc
	s_cbranch_execz .LBB4_640
; %bb.639:                              ;   in Loop: Header=BB4_356 Depth=4
	v_and_b32_e32 v17, 7, v2
	v_lshrrev_b32_e32 v36, 3, v1
	v_cmp_gt_u32_e32 vcc, 8, v1
	v_ffbh_u32_e32 v1, v17
	v_min_u32_e32 v1, 32, v1
	v_subrev_u32_e32 v20, 28, v1
	v_lshlrev_b64 v[20:21], v20, v[2:3]
	v_sub_u32_e32 v1, 29, v1
	v_and_b32_e32 v20, 7, v20
	v_cndmask_b32_e32 v1, v36, v1, vcc
	v_cndmask_b32_e32 v17, v17, v20, vcc
	v_lshlrev_b32_e32 v2, 24, v2
	v_lshlrev_b32_e32 v17, 20, v17
	v_and_b32_e32 v2, 0x80000000, v2
	v_lshl_add_u32 v1, v1, 23, v0
	v_or3_b32 v17, v2, v1, v17
.LBB4_640:                              ;   in Loop: Header=BB4_356 Depth=4
	s_or_b64 exec, exec, s[34:35]
.LBB4_641:                              ;   in Loop: Header=BB4_356 Depth=4
	s_or_b64 exec, exec, s[30:31]
.LBB4_642:                              ;   in Loop: Header=BB4_356 Depth=4
	s_or_b64 exec, exec, s[28:29]
	v_lshrrev_b32_e32 v2, 16, v18
	v_cmp_ne_u16_sdwa s[44:45], v2, v3 src0_sel:BYTE_0 src1_sel:DWORD
	s_and_saveexec_b64 s[28:29], s[44:45]
	s_cbranch_execz .LBB4_648
; %bb.643:                              ;   in Loop: Header=BB4_356 Depth=4
	v_cmp_ne_u16_sdwa s[44:45], v2, s70 src0_sel:BYTE_0 src1_sel:DWORD
	v_bfrev_b32_e32 v16, 1
	s_and_saveexec_b64 s[30:31], s[44:45]
	s_cbranch_execz .LBB4_647
; %bb.644:                              ;   in Loop: Header=BB4_356 Depth=4
	v_bfe_u32 v1, v18, 16, 7
	v_cmp_ne_u32_e32 vcc, s71, v1
	v_mov_b32_e32 v16, 0x7f800001
	s_and_saveexec_b64 s[34:35], vcc
	s_cbranch_execz .LBB4_646
; %bb.645:                              ;   in Loop: Header=BB4_356 Depth=4
	v_and_b32_e32 v16, 7, v2
	v_lshrrev_b32_e32 v20, 3, v1
	v_cmp_gt_u32_e32 vcc, 8, v1
	v_ffbh_u32_e32 v1, v16
	v_min_u32_e32 v21, 32, v1
	v_subrev_u32_e32 v1, 28, v21
	v_lshlrev_b64 v[1:2], v1, v[2:3]
	v_sub_u32_e32 v2, 29, v21
	v_and_b32_e32 v1, 7, v1
	v_cndmask_b32_e32 v2, v20, v2, vcc
	v_cndmask_b32_e32 v1, v16, v1, vcc
	v_lshlrev_b32_e32 v16, 8, v18
	v_lshlrev_b32_e32 v1, 20, v1
	v_and_b32_e32 v16, 0x80000000, v16
	v_lshl_add_u32 v2, v2, 23, v0
	v_or3_b32 v16, v16, v2, v1
.LBB4_646:                              ;   in Loop: Header=BB4_356 Depth=4
	s_or_b64 exec, exec, s[34:35]
.LBB4_647:                              ;   in Loop: Header=BB4_356 Depth=4
	s_or_b64 exec, exec, s[30:31]
.LBB4_648:                              ;   in Loop: Header=BB4_356 Depth=4
	s_or_b64 exec, exec, s[28:29]
	v_mul_f32_e32 v16, v17, v16
	v_and_b32_e32 v2, 0x7f800000, v16
	v_cmp_ne_u64_e32 vcc, s[62:63], v[2:3]
                                        ; implicit-def: $vgpr46
	s_and_saveexec_b64 s[28:29], vcc
	s_xor_b64 s[30:31], exec, s[28:29]
	s_cbranch_execz .LBB4_662
; %bb.649:                              ;   in Loop: Header=BB4_356 Depth=4
	v_and_b32_e32 v2, 0x7fffffff, v16
	v_cmp_gt_u64_e32 vcc, s[72:73], v[2:3]
	v_and_b32_sdwa v36, v16, s70 dst_sel:DWORD dst_unused:UNUSED_PAD src0_sel:BYTE_3 src1_sel:DWORD
                                        ; implicit-def: $vgpr46
	s_and_saveexec_b64 s[28:29], vcc
	s_xor_b64 s[34:35], exec, s[28:29]
	s_cbranch_execz .LBB4_659
; %bb.650:                              ;   in Loop: Header=BB4_356 Depth=4
	v_mov_b32_e32 v46, 0
	v_cmp_ne_u32_e32 vcc, 0, v16
	s_and_saveexec_b64 s[36:37], vcc
	s_cbranch_execz .LBB4_658
; %bb.651:                              ;   in Loop: Header=BB4_356 Depth=4
	v_bfe_u32 v50, v16, 23, 8
	v_cmp_gt_u32_e64 s[28:29], s80, v50
	v_sub_u32_e32 v2, 0x79, v50
	v_and_b32_e32 v1, 0x7fffff, v16
	v_cmp_eq_u32_e32 vcc, 0, v50
	v_cndmask_b32_e64 v2, 0, v2, s[28:29]
	v_mov_b32_e32 v17, 0x78
	v_or_b32_e32 v16, 0x800000, v1
	v_cndmask_b32_e32 v51, v2, v17, vcc
	v_cndmask_b32_e32 v2, v16, v1, vcc
	v_add_u32_e32 v1, 20, v51
	v_lshlrev_b64 v[16:17], v1, -1
	v_add_u32_e32 v1, 19, v51
	v_lshlrev_b64 v[20:21], v1, 1
	v_bfi_b32 v17, v17, 0, 0
	v_bfi_b32 v16, v16, 0, v2
	v_cmp_eq_u64_e64 s[28:29], v[16:17], v[20:21]
	v_lshrrev_b64 v[16:17], v51, v[2:3]
	v_mov_b32_e32 v21, v17
	v_mov_b32_e32 v20, v16
	s_and_saveexec_b64 s[38:39], s[28:29]
; %bb.652:                              ;   in Loop: Header=BB4_356 Depth=4
	v_bfe_u32 v1, v16, 20, 1
	v_add_co_u32_e64 v1, s[28:29], v16, v1
	v_add_co_u32_e64 v20, s[28:29], -1, v1
; %bb.653:                              ;   in Loop: Header=BB4_356 Depth=4
	s_or_b64 exec, exec, s[38:39]
	v_add_u32_e32 v1, 0xffffff81, v50
	v_mov_b32_e32 v2, 0xffffff82
	v_cndmask_b32_e32 v1, v1, v2, vcc
	v_lshrrev_b32_e32 v2, 23, v16
	v_add3_u32 v21, v51, v1, v2
	v_add_u32_e32 v1, 6, v21
	v_and_b32_e32 v2, 0xfffff, v20
	v_add_u32_e32 v2, v2, v16
	v_cmp_ne_u32_e32 vcc, 0, v1
                                        ; implicit-def: $vgpr16_vgpr17
                                        ; implicit-def: $vgpr20
	s_and_saveexec_b64 s[28:29], vcc
	s_xor_b64 s[28:29], exec, s[28:29]
; %bb.654:                              ;   in Loop: Header=BB4_356 Depth=4
	v_cmp_lt_u64_e32 vcc, s[88:89], v[2:3]
	v_add_u32_e32 v16, 7, v21
	v_cndmask_b32_e32 v20, v1, v16, vcc
	v_cndmask_b32_e64 v1, 0, 1, vcc
	v_lshrrev_b64 v[16:17], v1, v[2:3]
; %bb.655:                              ;   in Loop: Header=BB4_356 Depth=4
	s_andn2_saveexec_b64 s[28:29], s[28:29]
; %bb.656:                              ;   in Loop: Header=BB4_356 Depth=4
	v_mov_b32_e32 v17, v3
	v_bfe_u32 v20, v2, 23, 1
	v_mov_b32_e32 v16, v2
; %bb.657:                              ;   in Loop: Header=BB4_356 Depth=4
	s_or_b64 exec, exec, s[28:29]
	v_lshrrev_b64 v[1:2], 20, v[16:17]
	v_cmp_gt_i32_e32 vcc, 16, v20
	v_cndmask_b32_e32 v2, 0, v2, vcc
	v_cndmask_b32_e32 v1, 7, v1, vcc
	v_cmp_eq_u64_e64 s[28:29], 0, v[1:2]
	v_min_i32_e32 v2, 15, v20
	v_lshlrev_b32_e32 v2, 3, v2
	v_cmp_eq_u32_e32 vcc, 0, v20
	v_and_b32_e32 v2, 0xf8, v2
	v_and_or_b32 v1, v1, 7, v2
	s_and_b64 s[28:29], vcc, s[28:29]
	v_cndmask_b32_e64 v1, v1, 0, s[28:29]
	v_or_b32_e32 v46, v1, v36
.LBB4_658:                              ;   in Loop: Header=BB4_356 Depth=4
	s_or_b64 exec, exec, s[36:37]
                                        ; implicit-def: $vgpr36
.LBB4_659:                              ;   in Loop: Header=BB4_356 Depth=4
	s_andn2_saveexec_b64 s[28:29], s[34:35]
; %bb.660:                              ;   in Loop: Header=BB4_356 Depth=4
	v_or_b32_e32 v46, 0x7e, v36
; %bb.661:                              ;   in Loop: Header=BB4_356 Depth=4
	s_or_b64 exec, exec, s[28:29]
                                        ; implicit-def: $vgpr16
.LBB4_662:                              ;   in Loop: Header=BB4_356 Depth=4
	s_andn2_saveexec_b64 s[28:29], s[30:31]
; %bb.663:                              ;   in Loop: Header=BB4_356 Depth=4
	v_or_b32_sdwa v46, v16, s71 dst_sel:DWORD dst_unused:UNUSED_PAD src0_sel:BYTE_3 src1_sel:DWORD
; %bb.664:                              ;   in Loop: Header=BB4_356 Depth=4
	s_or_b64 exec, exec, s[28:29]
	v_cmp_lt_u32_e32 vcc, s57, v22
	v_mov_b32_e32 v16, 0
	v_mov_b32_e32 v17, 0
	s_and_saveexec_b64 s[28:29], vcc
	s_cbranch_execz .LBB4_670
; %bb.665:                              ;   in Loop: Header=BB4_356 Depth=4
	v_lshrrev_b32_e32 v2, 24, v22
	v_cmp_ne_u32_e32 vcc, s70, v2
	v_bfrev_b32_e32 v17, 1
	s_and_saveexec_b64 s[30:31], vcc
	s_cbranch_execz .LBB4_669
; %bb.666:                              ;   in Loop: Header=BB4_356 Depth=4
	v_bfe_u32 v1, v22, 24, 7
	v_cmp_ne_u32_e32 vcc, s71, v1
	v_mov_b32_e32 v17, 0x7f800001
	s_and_saveexec_b64 s[34:35], vcc
	s_cbranch_execz .LBB4_668
; %bb.667:                              ;   in Loop: Header=BB4_356 Depth=4
	v_and_b32_e32 v17, 7, v2
	v_lshrrev_b32_e32 v36, 3, v1
	v_cmp_gt_u32_e32 vcc, 8, v1
	v_ffbh_u32_e32 v1, v17
	v_min_u32_e32 v1, 32, v1
	v_subrev_u32_e32 v20, 28, v1
	v_lshlrev_b64 v[20:21], v20, v[2:3]
	v_sub_u32_e32 v1, 29, v1
	v_and_b32_e32 v20, 7, v20
	v_cndmask_b32_e32 v1, v36, v1, vcc
	v_cndmask_b32_e32 v17, v17, v20, vcc
	v_lshlrev_b32_e32 v2, 24, v2
	v_lshlrev_b32_e32 v17, 20, v17
	v_and_b32_e32 v2, 0x80000000, v2
	v_lshl_add_u32 v1, v1, 23, v0
	v_or3_b32 v17, v2, v1, v17
.LBB4_668:                              ;   in Loop: Header=BB4_356 Depth=4
	s_or_b64 exec, exec, s[34:35]
.LBB4_669:                              ;   in Loop: Header=BB4_356 Depth=4
	s_or_b64 exec, exec, s[30:31]
.LBB4_670:                              ;   in Loop: Header=BB4_356 Depth=4
	s_or_b64 exec, exec, s[28:29]
	v_cmp_lt_u32_e32 vcc, s57, v18
	s_and_saveexec_b64 s[28:29], vcc
	s_cbranch_execz .LBB4_676
; %bb.671:                              ;   in Loop: Header=BB4_356 Depth=4
	v_lshrrev_b32_e32 v2, 24, v18
	v_cmp_ne_u32_e32 vcc, s70, v2
	v_bfrev_b32_e32 v16, 1
	s_and_saveexec_b64 s[30:31], vcc
	s_cbranch_execz .LBB4_675
; %bb.672:                              ;   in Loop: Header=BB4_356 Depth=4
	v_bfe_u32 v1, v18, 24, 7
	v_cmp_ne_u32_e32 vcc, s71, v1
	v_mov_b32_e32 v16, 0x7f800001
	s_and_saveexec_b64 s[34:35], vcc
	s_cbranch_execz .LBB4_674
; %bb.673:                              ;   in Loop: Header=BB4_356 Depth=4
	v_and_b32_e32 v16, 7, v2
	v_lshrrev_b32_e32 v36, 3, v1
	v_cmp_gt_u32_e32 vcc, 8, v1
	v_ffbh_u32_e32 v1, v16
	v_min_u32_e32 v1, 32, v1
	v_subrev_u32_e32 v20, 28, v1
	v_lshlrev_b64 v[20:21], v20, v[2:3]
	v_sub_u32_e32 v1, 29, v1
	v_and_b32_e32 v20, 7, v20
	v_cndmask_b32_e32 v1, v36, v1, vcc
	v_cndmask_b32_e32 v16, v16, v20, vcc
	v_lshlrev_b32_e32 v2, 24, v2
	v_lshlrev_b32_e32 v16, 20, v16
	v_and_b32_e32 v2, 0x80000000, v2
	v_lshl_add_u32 v1, v1, 23, v0
	v_or3_b32 v16, v2, v1, v16
.LBB4_674:                              ;   in Loop: Header=BB4_356 Depth=4
	s_or_b64 exec, exec, s[34:35]
.LBB4_675:                              ;   in Loop: Header=BB4_356 Depth=4
	s_or_b64 exec, exec, s[30:31]
.LBB4_676:                              ;   in Loop: Header=BB4_356 Depth=4
	s_or_b64 exec, exec, s[28:29]
	v_mul_f32_e32 v16, v17, v16
	v_and_b32_e32 v2, 0x7f800000, v16
	v_cmp_ne_u64_e32 vcc, s[62:63], v[2:3]
                                        ; implicit-def: $vgpr47
	s_and_saveexec_b64 s[28:29], vcc
	s_xor_b64 s[30:31], exec, s[28:29]
	s_cbranch_execz .LBB4_690
; %bb.677:                              ;   in Loop: Header=BB4_356 Depth=4
	v_and_b32_e32 v2, 0x7fffffff, v16
	v_cmp_gt_u64_e32 vcc, s[72:73], v[2:3]
	v_and_b32_sdwa v36, v16, s70 dst_sel:DWORD dst_unused:UNUSED_PAD src0_sel:BYTE_3 src1_sel:DWORD
                                        ; implicit-def: $vgpr47
	s_and_saveexec_b64 s[28:29], vcc
	s_xor_b64 s[34:35], exec, s[28:29]
	s_cbranch_execz .LBB4_687
; %bb.678:                              ;   in Loop: Header=BB4_356 Depth=4
	v_mov_b32_e32 v47, 0
	v_cmp_ne_u32_e32 vcc, 0, v16
	s_and_saveexec_b64 s[36:37], vcc
	s_cbranch_execz .LBB4_686
; %bb.679:                              ;   in Loop: Header=BB4_356 Depth=4
	v_bfe_u32 v50, v16, 23, 8
	v_cmp_gt_u32_e64 s[28:29], s80, v50
	v_sub_u32_e32 v2, 0x79, v50
	v_and_b32_e32 v1, 0x7fffff, v16
	v_cmp_eq_u32_e32 vcc, 0, v50
	v_cndmask_b32_e64 v2, 0, v2, s[28:29]
	v_mov_b32_e32 v17, 0x78
	v_or_b32_e32 v16, 0x800000, v1
	v_cndmask_b32_e32 v51, v2, v17, vcc
	v_cndmask_b32_e32 v2, v16, v1, vcc
	v_add_u32_e32 v1, 20, v51
	v_lshlrev_b64 v[16:17], v1, -1
	v_add_u32_e32 v1, 19, v51
	v_lshlrev_b64 v[20:21], v1, 1
	v_bfi_b32 v17, v17, 0, 0
	v_bfi_b32 v16, v16, 0, v2
	v_cmp_eq_u64_e64 s[28:29], v[16:17], v[20:21]
	v_lshrrev_b64 v[16:17], v51, v[2:3]
	v_mov_b32_e32 v21, v17
	v_mov_b32_e32 v20, v16
	s_and_saveexec_b64 s[38:39], s[28:29]
; %bb.680:                              ;   in Loop: Header=BB4_356 Depth=4
	v_bfe_u32 v1, v16, 20, 1
	v_add_co_u32_e64 v1, s[28:29], v16, v1
	v_add_co_u32_e64 v20, s[28:29], -1, v1
; %bb.681:                              ;   in Loop: Header=BB4_356 Depth=4
	s_or_b64 exec, exec, s[38:39]
	v_add_u32_e32 v1, 0xffffff81, v50
	v_mov_b32_e32 v2, 0xffffff82
	v_cndmask_b32_e32 v1, v1, v2, vcc
	v_lshrrev_b32_e32 v2, 23, v16
	v_add3_u32 v21, v51, v1, v2
	v_add_u32_e32 v1, 6, v21
	v_and_b32_e32 v2, 0xfffff, v20
	v_add_u32_e32 v2, v2, v16
	v_cmp_ne_u32_e32 vcc, 0, v1
                                        ; implicit-def: $vgpr16_vgpr17
                                        ; implicit-def: $vgpr20
	s_and_saveexec_b64 s[28:29], vcc
	s_xor_b64 s[28:29], exec, s[28:29]
; %bb.682:                              ;   in Loop: Header=BB4_356 Depth=4
	v_cmp_lt_u64_e32 vcc, s[88:89], v[2:3]
	v_add_u32_e32 v16, 7, v21
	v_cndmask_b32_e32 v20, v1, v16, vcc
	v_cndmask_b32_e64 v1, 0, 1, vcc
	v_lshrrev_b64 v[16:17], v1, v[2:3]
; %bb.683:                              ;   in Loop: Header=BB4_356 Depth=4
	s_andn2_saveexec_b64 s[28:29], s[28:29]
; %bb.684:                              ;   in Loop: Header=BB4_356 Depth=4
	v_mov_b32_e32 v17, v3
	v_bfe_u32 v20, v2, 23, 1
	v_mov_b32_e32 v16, v2
; %bb.685:                              ;   in Loop: Header=BB4_356 Depth=4
	s_or_b64 exec, exec, s[28:29]
	v_lshrrev_b64 v[1:2], 20, v[16:17]
	v_cmp_gt_i32_e32 vcc, 16, v20
	v_cndmask_b32_e32 v2, 0, v2, vcc
	v_cndmask_b32_e32 v1, 7, v1, vcc
	v_cmp_eq_u64_e64 s[28:29], 0, v[1:2]
	v_min_i32_e32 v2, 15, v20
	v_lshlrev_b32_e32 v2, 3, v2
	v_cmp_eq_u32_e32 vcc, 0, v20
	v_and_b32_e32 v2, 0xf8, v2
	v_and_or_b32 v1, v1, 7, v2
	s_and_b64 s[28:29], vcc, s[28:29]
	v_cndmask_b32_e64 v1, v1, 0, s[28:29]
	v_or_b32_e32 v47, v1, v36
.LBB4_686:                              ;   in Loop: Header=BB4_356 Depth=4
	s_or_b64 exec, exec, s[36:37]
                                        ; implicit-def: $vgpr36
.LBB4_687:                              ;   in Loop: Header=BB4_356 Depth=4
	s_andn2_saveexec_b64 s[28:29], s[34:35]
; %bb.688:                              ;   in Loop: Header=BB4_356 Depth=4
	v_or_b32_e32 v47, 0x7e, v36
; %bb.689:                              ;   in Loop: Header=BB4_356 Depth=4
	s_or_b64 exec, exec, s[28:29]
                                        ; implicit-def: $vgpr16
.LBB4_690:                              ;   in Loop: Header=BB4_356 Depth=4
	s_andn2_saveexec_b64 s[28:29], s[30:31]
; %bb.691:                              ;   in Loop: Header=BB4_356 Depth=4
	v_or_b32_sdwa v47, v16, s71 dst_sel:DWORD dst_unused:UNUSED_PAD src0_sel:BYTE_3 src1_sel:DWORD
; %bb.692:                              ;   in Loop: Header=BB4_356 Depth=4
	s_or_b64 exec, exec, s[28:29]
	v_mov_b32_e32 v2, v23
	v_cmp_ne_u16_sdwa s[44:45], v23, v3 src0_sel:BYTE_0 src1_sel:DWORD
	v_mov_b32_e32 v17, 0
	v_mov_b32_e32 v16, 0
	s_and_saveexec_b64 s[28:29], s[44:45]
	s_cbranch_execz .LBB4_698
; %bb.693:                              ;   in Loop: Header=BB4_356 Depth=4
	v_cmp_ne_u16_sdwa s[44:45], v23, s70 src0_sel:BYTE_0 src1_sel:DWORD
	v_bfrev_b32_e32 v16, 1
	s_and_saveexec_b64 s[30:31], s[44:45]
	s_cbranch_execz .LBB4_697
; %bb.694:                              ;   in Loop: Header=BB4_356 Depth=4
	v_and_b32_e32 v1, 0x7f, v23
	v_cmp_ne_u32_e32 vcc, s71, v1
	v_mov_b32_e32 v16, 0x7f800001
	s_and_saveexec_b64 s[34:35], vcc
	s_cbranch_execz .LBB4_696
; %bb.695:                              ;   in Loop: Header=BB4_356 Depth=4
	v_and_b32_e32 v16, 7, v23
	v_lshrrev_b32_e32 v20, 3, v1
	v_cmp_gt_u32_e32 vcc, 8, v1
	v_ffbh_u32_e32 v1, v16
	v_min_u32_e32 v1, 32, v1
	v_subrev_u32_e32 v16, 28, v1
	v_sub_u32_e32 v1, 29, v1
	v_cndmask_b32_e32 v16, 0, v16, vcc
	v_cndmask_b32_e32 v1, v20, v1, vcc
	v_lshlrev_b64 v[20:21], v16, v[2:3]
	v_lshl_add_u32 v1, v1, 23, v0
	v_lshlrev_b32_e32 v16, 20, v20
	v_lshlrev_b32_e32 v20, 24, v2
	v_and_b32_e32 v16, 0x700000, v16
	v_and_b32_e32 v20, 0x80000000, v20
	v_or3_b32 v16, v20, v1, v16
.LBB4_696:                              ;   in Loop: Header=BB4_356 Depth=4
	s_or_b64 exec, exec, s[34:35]
.LBB4_697:                              ;   in Loop: Header=BB4_356 Depth=4
	s_or_b64 exec, exec, s[30:31]
.LBB4_698:                              ;   in Loop: Header=BB4_356 Depth=4
	s_or_b64 exec, exec, s[28:29]
	v_cmp_ne_u16_sdwa s[44:45], v19, v3 src0_sel:BYTE_0 src1_sel:DWORD
	s_and_saveexec_b64 s[28:29], s[44:45]
	s_cbranch_execz .LBB4_704
; %bb.699:                              ;   in Loop: Header=BB4_356 Depth=4
	v_cmp_ne_u16_sdwa s[44:45], v19, s70 src0_sel:BYTE_0 src1_sel:DWORD
	v_bfrev_b32_e32 v17, 1
	s_and_saveexec_b64 s[30:31], s[44:45]
	s_cbranch_execz .LBB4_703
; %bb.700:                              ;   in Loop: Header=BB4_356 Depth=4
	v_and_b32_e32 v1, 0x7f, v19
	v_cmp_ne_u32_e32 vcc, s71, v1
	v_mov_b32_e32 v17, 0x7f800001
	s_and_saveexec_b64 s[34:35], vcc
	s_cbranch_execz .LBB4_702
; %bb.701:                              ;   in Loop: Header=BB4_356 Depth=4
	v_and_b32_e32 v17, 7, v19
	v_lshrrev_b32_e32 v36, 3, v1
	v_cmp_gt_u32_e32 vcc, 8, v1
	v_ffbh_u32_e32 v1, v17
	v_min_u32_e32 v1, 32, v1
	v_subrev_u32_e32 v17, 28, v1
	v_mov_b32_e32 v20, v19
	v_mov_b32_e32 v21, v3
	v_cndmask_b32_e32 v17, 0, v17, vcc
	v_lshlrev_b64 v[50:51], v17, v[20:21]
	v_sub_u32_e32 v1, 29, v1
	v_cndmask_b32_e32 v1, v36, v1, vcc
	v_lshlrev_b32_e32 v17, 20, v50
	v_lshlrev_b32_e32 v20, 24, v20
	v_and_b32_e32 v17, 0x700000, v17
	v_and_b32_e32 v20, 0x80000000, v20
	v_lshl_add_u32 v1, v1, 23, v0
	v_or3_b32 v17, v20, v1, v17
.LBB4_702:                              ;   in Loop: Header=BB4_356 Depth=4
	s_or_b64 exec, exec, s[34:35]
.LBB4_703:                              ;   in Loop: Header=BB4_356 Depth=4
	s_or_b64 exec, exec, s[30:31]
.LBB4_704:                              ;   in Loop: Header=BB4_356 Depth=4
	s_or_b64 exec, exec, s[28:29]
	v_mul_f32_e32 v16, v16, v17
	v_and_b32_e32 v20, 0x7f800000, v16
	v_mov_b32_e32 v21, v3
	v_cmp_ne_u64_e32 vcc, s[62:63], v[20:21]
                                        ; implicit-def: $vgpr42
	s_and_saveexec_b64 s[28:29], vcc
	s_xor_b64 s[30:31], exec, s[28:29]
	s_cbranch_execz .LBB4_718
; %bb.705:                              ;   in Loop: Header=BB4_356 Depth=4
	v_and_b32_e32 v20, 0x7fffffff, v16
	v_mov_b32_e32 v21, v3
	v_cmp_gt_u64_e32 vcc, s[72:73], v[20:21]
	v_and_b32_sdwa v36, v16, s70 dst_sel:DWORD dst_unused:UNUSED_PAD src0_sel:BYTE_3 src1_sel:DWORD
                                        ; implicit-def: $vgpr42
	s_and_saveexec_b64 s[28:29], vcc
	s_xor_b64 s[34:35], exec, s[28:29]
	s_cbranch_execz .LBB4_715
; %bb.706:                              ;   in Loop: Header=BB4_356 Depth=4
	v_mov_b32_e32 v42, 0
	v_cmp_ne_u32_e32 vcc, 0, v16
	s_and_saveexec_b64 s[36:37], vcc
	s_cbranch_execz .LBB4_714
; %bb.707:                              ;   in Loop: Header=BB4_356 Depth=4
	v_bfe_u32 v50, v16, 23, 8
	v_and_b32_e32 v1, 0x7fffff, v16
	v_cmp_gt_u32_e64 s[28:29], s80, v50
	v_sub_u32_e32 v16, 0x79, v50
	v_cmp_eq_u32_e32 vcc, 0, v50
	v_cndmask_b32_e64 v16, 0, v16, s[28:29]
	v_mov_b32_e32 v20, 0x78
	v_or_b32_e32 v17, 0x800000, v1
	v_cndmask_b32_e32 v51, v16, v20, vcc
	v_cndmask_b32_e32 v16, v17, v1, vcc
	v_add_u32_e32 v1, 20, v51
	v_lshlrev_b64 v[20:21], v1, -1
	v_mov_b32_e32 v17, v3
	v_add_u32_e32 v1, 19, v51
	v_bfi_b32 v20, v20, 0, v16
	v_lshlrev_b64 v[42:43], v1, 1
	v_lshrrev_b64 v[16:17], v51, v[16:17]
	v_bfi_b32 v21, v21, 0, 0
	v_cmp_eq_u64_e64 s[28:29], v[20:21], v[42:43]
	v_mov_b32_e32 v21, v17
	v_mov_b32_e32 v20, v16
	s_and_saveexec_b64 s[38:39], s[28:29]
; %bb.708:                              ;   in Loop: Header=BB4_356 Depth=4
	v_bfe_u32 v1, v16, 20, 1
	v_add_co_u32_e64 v1, s[28:29], v16, v1
	v_add_co_u32_e64 v20, s[28:29], -1, v1
; %bb.709:                              ;   in Loop: Header=BB4_356 Depth=4
	s_or_b64 exec, exec, s[38:39]
	v_add_u32_e32 v1, 0xffffff81, v50
	v_mov_b32_e32 v17, 0xffffff82
	v_cndmask_b32_e32 v1, v1, v17, vcc
	v_lshrrev_b32_e32 v17, 23, v16
	v_add3_u32 v21, v51, v1, v17
	v_add_u32_e32 v1, 6, v21
	v_and_b32_e32 v17, 0xfffff, v20
	v_add_u32_e32 v16, v17, v16
	v_mov_b32_e32 v17, v3
	v_cmp_ne_u32_e32 vcc, 0, v1
                                        ; implicit-def: $vgpr20
	s_and_saveexec_b64 s[28:29], vcc
	s_xor_b64 s[28:29], exec, s[28:29]
; %bb.710:                              ;   in Loop: Header=BB4_356 Depth=4
	v_cmp_lt_u64_e32 vcc, s[88:89], v[16:17]
	v_add_u32_e32 v20, 7, v21
	v_cndmask_b32_e32 v20, v1, v20, vcc
	v_cndmask_b32_e64 v1, 0, 1, vcc
	v_lshrrev_b64 v[16:17], v1, v[16:17]
; %bb.711:                              ;   in Loop: Header=BB4_356 Depth=4
	s_andn2_saveexec_b64 s[28:29], s[28:29]
; %bb.712:                              ;   in Loop: Header=BB4_356 Depth=4
	v_bfe_u32 v20, v16, 23, 1
; %bb.713:                              ;   in Loop: Header=BB4_356 Depth=4
	s_or_b64 exec, exec, s[28:29]
	v_lshrrev_b64 v[16:17], 20, v[16:17]
	v_cmp_gt_i32_e32 vcc, 16, v20
	v_cndmask_b32_e32 v17, 0, v17, vcc
	v_cndmask_b32_e32 v16, 7, v16, vcc
	v_min_i32_e32 v1, 15, v20
	v_cmp_eq_u64_e64 s[28:29], 0, v[16:17]
	v_lshlrev_b32_e32 v1, 3, v1
	v_cmp_eq_u32_e32 vcc, 0, v20
	v_and_b32_e32 v1, 0xf8, v1
	v_and_or_b32 v1, v16, 7, v1
	s_and_b64 s[28:29], vcc, s[28:29]
	v_cndmask_b32_e64 v1, v1, 0, s[28:29]
	v_or_b32_e32 v42, v1, v36
.LBB4_714:                              ;   in Loop: Header=BB4_356 Depth=4
	s_or_b64 exec, exec, s[36:37]
                                        ; implicit-def: $vgpr36
.LBB4_715:                              ;   in Loop: Header=BB4_356 Depth=4
	s_andn2_saveexec_b64 s[28:29], s[34:35]
; %bb.716:                              ;   in Loop: Header=BB4_356 Depth=4
	v_or_b32_e32 v42, 0x7e, v36
; %bb.717:                              ;   in Loop: Header=BB4_356 Depth=4
	s_or_b64 exec, exec, s[28:29]
                                        ; implicit-def: $vgpr16
.LBB4_718:                              ;   in Loop: Header=BB4_356 Depth=4
	s_andn2_saveexec_b64 s[28:29], s[30:31]
; %bb.719:                              ;   in Loop: Header=BB4_356 Depth=4
	v_or_b32_sdwa v42, v16, s71 dst_sel:DWORD dst_unused:UNUSED_PAD src0_sel:BYTE_3 src1_sel:DWORD
; %bb.720:                              ;   in Loop: Header=BB4_356 Depth=4
	s_or_b64 exec, exec, s[28:29]
	v_lshrrev_b16_e32 v16, 8, v2
	v_cmp_ne_u16_e32 vcc, 0, v16
	v_mov_b32_e32 v17, 0
	v_mov_b32_e32 v20, 0
	s_and_saveexec_b64 s[28:29], vcc
	s_cbranch_execz .LBB4_726
; %bb.721:                              ;   in Loop: Header=BB4_356 Depth=4
	v_cmp_ne_u16_e32 vcc, s70, v16
	v_bfrev_b32_e32 v20, 1
	s_and_saveexec_b64 s[30:31], vcc
	s_cbranch_execz .LBB4_725
; %bb.722:                              ;   in Loop: Header=BB4_356 Depth=4
	v_and_b32_e32 v1, 0x7f, v16
	v_cmp_ne_u32_e32 vcc, s71, v1
	v_mov_b32_e32 v20, 0x7f800001
	s_and_saveexec_b64 s[34:35], vcc
	s_cbranch_execz .LBB4_724
; %bb.723:                              ;   in Loop: Header=BB4_356 Depth=4
	v_and_b32_e32 v36, 7, v16
	v_lshrrev_b32_e32 v50, 3, v1
	v_cmp_gt_u32_e32 vcc, 8, v1
	v_ffbh_u32_e32 v1, v36
	v_min_u32_e32 v1, 32, v1
	v_subrev_u32_e32 v20, 28, v1
	v_lshlrev_b64 v[20:21], v20, v[16:17]
	v_sub_u32_e32 v1, 29, v1
	v_and_b32_e32 v16, 7, v20
	v_cndmask_b32_e32 v1, v50, v1, vcc
	v_cndmask_b32_e32 v16, v36, v16, vcc
	v_lshlrev_b32_e32 v2, 16, v2
	v_lshlrev_b32_e32 v16, 20, v16
	v_and_b32_e32 v2, 0x80000000, v2
	v_lshl_add_u32 v1, v1, 23, v0
	v_or3_b32 v20, v2, v1, v16
.LBB4_724:                              ;   in Loop: Header=BB4_356 Depth=4
	s_or_b64 exec, exec, s[34:35]
.LBB4_725:                              ;   in Loop: Header=BB4_356 Depth=4
	s_or_b64 exec, exec, s[30:31]
.LBB4_726:                              ;   in Loop: Header=BB4_356 Depth=4
	s_or_b64 exec, exec, s[28:29]
	v_lshrrev_b16_e32 v2, 8, v19
	v_cmp_ne_u16_e32 vcc, 0, v2
	s_and_saveexec_b64 s[28:29], vcc
	s_cbranch_execz .LBB4_732
; %bb.727:                              ;   in Loop: Header=BB4_356 Depth=4
	v_cmp_ne_u16_e32 vcc, s70, v2
	v_bfrev_b32_e32 v17, 1
	s_and_saveexec_b64 s[30:31], vcc
	s_cbranch_execz .LBB4_731
; %bb.728:                              ;   in Loop: Header=BB4_356 Depth=4
	v_and_b32_e32 v1, 0x7f, v2
	v_cmp_ne_u32_e32 vcc, s71, v1
	v_mov_b32_e32 v17, 0x7f800001
	s_and_saveexec_b64 s[34:35], vcc
	s_cbranch_execz .LBB4_730
; %bb.729:                              ;   in Loop: Header=BB4_356 Depth=4
	v_and_b32_e32 v16, 7, v2
	v_lshrrev_b32_e32 v17, 3, v1
	v_cmp_gt_u32_e32 vcc, 8, v1
	v_ffbh_u32_e32 v1, v16
	v_min_u32_e32 v21, 32, v1
	v_subrev_u32_e32 v1, 28, v21
	v_lshlrev_b64 v[1:2], v1, v[2:3]
	v_sub_u32_e32 v2, 29, v21
	v_and_b32_e32 v1, 7, v1
	v_cndmask_b32_e32 v2, v17, v2, vcc
	v_cndmask_b32_e32 v1, v16, v1, vcc
	v_lshlrev_b32_e32 v16, 16, v19
	v_lshlrev_b32_e32 v1, 20, v1
	v_and_b32_e32 v16, 0x80000000, v16
	v_lshl_add_u32 v2, v2, 23, v0
	v_or3_b32 v17, v16, v2, v1
.LBB4_730:                              ;   in Loop: Header=BB4_356 Depth=4
	s_or_b64 exec, exec, s[34:35]
.LBB4_731:                              ;   in Loop: Header=BB4_356 Depth=4
	s_or_b64 exec, exec, s[30:31]
.LBB4_732:                              ;   in Loop: Header=BB4_356 Depth=4
	s_or_b64 exec, exec, s[28:29]
	v_mul_f32_e32 v16, v20, v17
	v_and_b32_e32 v2, 0x7f800000, v16
	v_cmp_ne_u64_e32 vcc, s[62:63], v[2:3]
                                        ; implicit-def: $vgpr54
	s_and_saveexec_b64 s[28:29], vcc
	s_xor_b64 s[30:31], exec, s[28:29]
	s_cbranch_execz .LBB4_746
; %bb.733:                              ;   in Loop: Header=BB4_356 Depth=4
	v_and_b32_e32 v2, 0x7fffffff, v16
	v_cmp_gt_u64_e32 vcc, s[72:73], v[2:3]
	v_and_b32_sdwa v36, v16, s70 dst_sel:DWORD dst_unused:UNUSED_PAD src0_sel:BYTE_3 src1_sel:DWORD
                                        ; implicit-def: $vgpr54
	s_and_saveexec_b64 s[28:29], vcc
	s_xor_b64 s[34:35], exec, s[28:29]
	s_cbranch_execz .LBB4_743
; %bb.734:                              ;   in Loop: Header=BB4_356 Depth=4
	v_mov_b32_e32 v54, 0
	v_cmp_ne_u32_e32 vcc, 0, v16
	s_and_saveexec_b64 s[36:37], vcc
	s_cbranch_execz .LBB4_742
; %bb.735:                              ;   in Loop: Header=BB4_356 Depth=4
	v_bfe_u32 v50, v16, 23, 8
	v_cmp_gt_u32_e64 s[28:29], s80, v50
	v_sub_u32_e32 v2, 0x79, v50
	v_and_b32_e32 v1, 0x7fffff, v16
	v_cmp_eq_u32_e32 vcc, 0, v50
	v_cndmask_b32_e64 v2, 0, v2, s[28:29]
	v_mov_b32_e32 v17, 0x78
	v_or_b32_e32 v16, 0x800000, v1
	v_cndmask_b32_e32 v51, v2, v17, vcc
	v_cndmask_b32_e32 v2, v16, v1, vcc
	v_add_u32_e32 v1, 20, v51
	v_lshlrev_b64 v[16:17], v1, -1
	v_add_u32_e32 v1, 19, v51
	v_lshlrev_b64 v[20:21], v1, 1
	v_bfi_b32 v17, v17, 0, 0
	v_bfi_b32 v16, v16, 0, v2
	v_cmp_eq_u64_e64 s[28:29], v[16:17], v[20:21]
	v_lshrrev_b64 v[16:17], v51, v[2:3]
	v_mov_b32_e32 v21, v17
	v_mov_b32_e32 v20, v16
	s_and_saveexec_b64 s[38:39], s[28:29]
; %bb.736:                              ;   in Loop: Header=BB4_356 Depth=4
	v_bfe_u32 v1, v16, 20, 1
	v_add_co_u32_e64 v1, s[28:29], v16, v1
	v_add_co_u32_e64 v20, s[28:29], -1, v1
; %bb.737:                              ;   in Loop: Header=BB4_356 Depth=4
	s_or_b64 exec, exec, s[38:39]
	v_add_u32_e32 v1, 0xffffff81, v50
	v_mov_b32_e32 v2, 0xffffff82
	v_cndmask_b32_e32 v1, v1, v2, vcc
	v_lshrrev_b32_e32 v2, 23, v16
	v_add3_u32 v21, v51, v1, v2
	v_add_u32_e32 v1, 6, v21
	v_and_b32_e32 v2, 0xfffff, v20
	v_add_u32_e32 v2, v2, v16
	v_cmp_ne_u32_e32 vcc, 0, v1
                                        ; implicit-def: $vgpr16_vgpr17
                                        ; implicit-def: $vgpr20
	s_and_saveexec_b64 s[28:29], vcc
	s_xor_b64 s[28:29], exec, s[28:29]
; %bb.738:                              ;   in Loop: Header=BB4_356 Depth=4
	v_cmp_lt_u64_e32 vcc, s[88:89], v[2:3]
	v_add_u32_e32 v16, 7, v21
	v_cndmask_b32_e32 v20, v1, v16, vcc
	v_cndmask_b32_e64 v1, 0, 1, vcc
	v_lshrrev_b64 v[16:17], v1, v[2:3]
; %bb.739:                              ;   in Loop: Header=BB4_356 Depth=4
	s_andn2_saveexec_b64 s[28:29], s[28:29]
; %bb.740:                              ;   in Loop: Header=BB4_356 Depth=4
	v_mov_b32_e32 v17, v3
	v_bfe_u32 v20, v2, 23, 1
	v_mov_b32_e32 v16, v2
; %bb.741:                              ;   in Loop: Header=BB4_356 Depth=4
	s_or_b64 exec, exec, s[28:29]
	v_lshrrev_b64 v[1:2], 20, v[16:17]
	v_cmp_gt_i32_e32 vcc, 16, v20
	v_cndmask_b32_e32 v2, 0, v2, vcc
	v_cndmask_b32_e32 v1, 7, v1, vcc
	v_cmp_eq_u64_e64 s[28:29], 0, v[1:2]
	v_min_i32_e32 v2, 15, v20
	v_lshlrev_b32_e32 v2, 3, v2
	v_cmp_eq_u32_e32 vcc, 0, v20
	v_and_b32_e32 v2, 0xf8, v2
	v_and_or_b32 v1, v1, 7, v2
	s_and_b64 s[28:29], vcc, s[28:29]
	v_cndmask_b32_e64 v1, v1, 0, s[28:29]
	v_or_b32_e32 v54, v1, v36
.LBB4_742:                              ;   in Loop: Header=BB4_356 Depth=4
	s_or_b64 exec, exec, s[36:37]
                                        ; implicit-def: $vgpr36
.LBB4_743:                              ;   in Loop: Header=BB4_356 Depth=4
	s_andn2_saveexec_b64 s[28:29], s[34:35]
; %bb.744:                              ;   in Loop: Header=BB4_356 Depth=4
	v_or_b32_e32 v54, 0x7e, v36
; %bb.745:                              ;   in Loop: Header=BB4_356 Depth=4
	s_or_b64 exec, exec, s[28:29]
                                        ; implicit-def: $vgpr16
.LBB4_746:                              ;   in Loop: Header=BB4_356 Depth=4
	s_andn2_saveexec_b64 s[28:29], s[30:31]
; %bb.747:                              ;   in Loop: Header=BB4_356 Depth=4
	v_or_b32_sdwa v54, v16, s71 dst_sel:DWORD dst_unused:UNUSED_PAD src0_sel:BYTE_3 src1_sel:DWORD
; %bb.748:                              ;   in Loop: Header=BB4_356 Depth=4
	s_or_b64 exec, exec, s[28:29]
	v_lshrrev_b32_e32 v2, 16, v23
	v_cmp_ne_u16_sdwa s[44:45], v2, v3 src0_sel:BYTE_0 src1_sel:DWORD
	v_mov_b32_e32 v16, 0
	v_mov_b32_e32 v17, 0
	s_and_saveexec_b64 s[28:29], s[44:45]
	s_cbranch_execz .LBB4_754
; %bb.749:                              ;   in Loop: Header=BB4_356 Depth=4
	v_cmp_ne_u16_sdwa s[44:45], v2, s70 src0_sel:BYTE_0 src1_sel:DWORD
	v_bfrev_b32_e32 v17, 1
	s_and_saveexec_b64 s[30:31], s[44:45]
	s_cbranch_execz .LBB4_753
; %bb.750:                              ;   in Loop: Header=BB4_356 Depth=4
	v_bfe_u32 v1, v23, 16, 7
	v_cmp_ne_u32_e32 vcc, s71, v1
	v_mov_b32_e32 v17, 0x7f800001
	s_and_saveexec_b64 s[34:35], vcc
	s_cbranch_execz .LBB4_752
; %bb.751:                              ;   in Loop: Header=BB4_356 Depth=4
	v_and_b32_e32 v17, 7, v2
	v_lshrrev_b32_e32 v36, 3, v1
	v_cmp_gt_u32_e32 vcc, 8, v1
	v_ffbh_u32_e32 v1, v17
	v_min_u32_e32 v1, 32, v1
	v_subrev_u32_e32 v20, 28, v1
	v_lshlrev_b64 v[20:21], v20, v[2:3]
	v_sub_u32_e32 v1, 29, v1
	v_and_b32_e32 v20, 7, v20
	v_cndmask_b32_e32 v1, v36, v1, vcc
	v_cndmask_b32_e32 v17, v17, v20, vcc
	v_lshlrev_b32_e32 v2, 24, v2
	v_lshlrev_b32_e32 v17, 20, v17
	v_and_b32_e32 v2, 0x80000000, v2
	v_lshl_add_u32 v1, v1, 23, v0
	v_or3_b32 v17, v2, v1, v17
.LBB4_752:                              ;   in Loop: Header=BB4_356 Depth=4
	s_or_b64 exec, exec, s[34:35]
.LBB4_753:                              ;   in Loop: Header=BB4_356 Depth=4
	s_or_b64 exec, exec, s[30:31]
.LBB4_754:                              ;   in Loop: Header=BB4_356 Depth=4
	s_or_b64 exec, exec, s[28:29]
	v_lshrrev_b32_e32 v2, 16, v19
	v_cmp_ne_u16_sdwa s[44:45], v2, v3 src0_sel:BYTE_0 src1_sel:DWORD
	s_and_saveexec_b64 s[28:29], s[44:45]
	s_cbranch_execz .LBB4_760
; %bb.755:                              ;   in Loop: Header=BB4_356 Depth=4
	v_cmp_ne_u16_sdwa s[44:45], v2, s70 src0_sel:BYTE_0 src1_sel:DWORD
	v_bfrev_b32_e32 v16, 1
	s_and_saveexec_b64 s[30:31], s[44:45]
	s_cbranch_execz .LBB4_759
; %bb.756:                              ;   in Loop: Header=BB4_356 Depth=4
	v_bfe_u32 v1, v19, 16, 7
	v_cmp_ne_u32_e32 vcc, s71, v1
	v_mov_b32_e32 v16, 0x7f800001
	s_and_saveexec_b64 s[34:35], vcc
	s_cbranch_execz .LBB4_758
; %bb.757:                              ;   in Loop: Header=BB4_356 Depth=4
	v_and_b32_e32 v16, 7, v2
	v_lshrrev_b32_e32 v20, 3, v1
	v_cmp_gt_u32_e32 vcc, 8, v1
	v_ffbh_u32_e32 v1, v16
	v_min_u32_e32 v21, 32, v1
	v_subrev_u32_e32 v1, 28, v21
	v_lshlrev_b64 v[1:2], v1, v[2:3]
	v_sub_u32_e32 v2, 29, v21
	v_and_b32_e32 v1, 7, v1
	v_cndmask_b32_e32 v2, v20, v2, vcc
	v_cndmask_b32_e32 v1, v16, v1, vcc
	v_lshlrev_b32_e32 v16, 8, v19
	v_lshlrev_b32_e32 v1, 20, v1
	v_and_b32_e32 v16, 0x80000000, v16
	v_lshl_add_u32 v2, v2, 23, v0
	v_or3_b32 v16, v16, v2, v1
.LBB4_758:                              ;   in Loop: Header=BB4_356 Depth=4
	s_or_b64 exec, exec, s[34:35]
.LBB4_759:                              ;   in Loop: Header=BB4_356 Depth=4
	s_or_b64 exec, exec, s[30:31]
.LBB4_760:                              ;   in Loop: Header=BB4_356 Depth=4
	s_or_b64 exec, exec, s[28:29]
	v_mul_f32_e32 v16, v17, v16
	v_and_b32_e32 v2, 0x7f800000, v16
	v_cmp_ne_u64_e32 vcc, s[62:63], v[2:3]
                                        ; implicit-def: $vgpr20
	s_and_saveexec_b64 s[28:29], vcc
	s_xor_b64 s[30:31], exec, s[28:29]
	s_cbranch_execz .LBB4_774
; %bb.761:                              ;   in Loop: Header=BB4_356 Depth=4
	v_and_b32_e32 v2, 0x7fffffff, v16
	v_cmp_gt_u64_e32 vcc, s[72:73], v[2:3]
	v_and_b32_sdwa v36, v16, s70 dst_sel:DWORD dst_unused:UNUSED_PAD src0_sel:BYTE_3 src1_sel:DWORD
                                        ; implicit-def: $vgpr20
	s_and_saveexec_b64 s[28:29], vcc
	s_xor_b64 s[34:35], exec, s[28:29]
	s_cbranch_execz .LBB4_771
; %bb.762:                              ;   in Loop: Header=BB4_356 Depth=4
	v_mov_b32_e32 v20, 0
	v_cmp_ne_u32_e32 vcc, 0, v16
	s_and_saveexec_b64 s[36:37], vcc
	s_cbranch_execz .LBB4_770
; %bb.763:                              ;   in Loop: Header=BB4_356 Depth=4
	v_bfe_u32 v50, v16, 23, 8
	v_cmp_gt_u32_e64 s[28:29], s80, v50
	v_sub_u32_e32 v2, 0x79, v50
	v_and_b32_e32 v1, 0x7fffff, v16
	v_cmp_eq_u32_e32 vcc, 0, v50
	v_cndmask_b32_e64 v2, 0, v2, s[28:29]
	v_mov_b32_e32 v17, 0x78
	v_or_b32_e32 v16, 0x800000, v1
	v_cndmask_b32_e32 v51, v2, v17, vcc
	v_cndmask_b32_e32 v2, v16, v1, vcc
	v_add_u32_e32 v1, 20, v51
	v_lshlrev_b64 v[16:17], v1, -1
	v_add_u32_e32 v1, 19, v51
	v_lshlrev_b64 v[20:21], v1, 1
	v_bfi_b32 v17, v17, 0, 0
	v_bfi_b32 v16, v16, 0, v2
	v_cmp_eq_u64_e64 s[28:29], v[16:17], v[20:21]
	v_lshrrev_b64 v[16:17], v51, v[2:3]
	v_mov_b32_e32 v21, v17
	v_mov_b32_e32 v20, v16
	s_and_saveexec_b64 s[38:39], s[28:29]
; %bb.764:                              ;   in Loop: Header=BB4_356 Depth=4
	v_bfe_u32 v1, v16, 20, 1
	v_add_co_u32_e64 v1, s[28:29], v16, v1
	v_add_co_u32_e64 v20, s[28:29], -1, v1
; %bb.765:                              ;   in Loop: Header=BB4_356 Depth=4
	s_or_b64 exec, exec, s[38:39]
	v_add_u32_e32 v1, 0xffffff81, v50
	v_mov_b32_e32 v2, 0xffffff82
	v_cndmask_b32_e32 v1, v1, v2, vcc
	v_lshrrev_b32_e32 v2, 23, v16
	v_add3_u32 v21, v51, v1, v2
	v_add_u32_e32 v1, 6, v21
	v_and_b32_e32 v2, 0xfffff, v20
	v_add_u32_e32 v2, v2, v16
	v_cmp_ne_u32_e32 vcc, 0, v1
                                        ; implicit-def: $vgpr16_vgpr17
                                        ; implicit-def: $vgpr20
	s_and_saveexec_b64 s[28:29], vcc
	s_xor_b64 s[28:29], exec, s[28:29]
; %bb.766:                              ;   in Loop: Header=BB4_356 Depth=4
	v_cmp_lt_u64_e32 vcc, s[88:89], v[2:3]
	v_add_u32_e32 v16, 7, v21
	v_cndmask_b32_e32 v20, v1, v16, vcc
	v_cndmask_b32_e64 v1, 0, 1, vcc
	v_lshrrev_b64 v[16:17], v1, v[2:3]
; %bb.767:                              ;   in Loop: Header=BB4_356 Depth=4
	s_andn2_saveexec_b64 s[28:29], s[28:29]
; %bb.768:                              ;   in Loop: Header=BB4_356 Depth=4
	v_mov_b32_e32 v17, v3
	v_bfe_u32 v20, v2, 23, 1
	v_mov_b32_e32 v16, v2
; %bb.769:                              ;   in Loop: Header=BB4_356 Depth=4
	s_or_b64 exec, exec, s[28:29]
	v_lshrrev_b64 v[1:2], 20, v[16:17]
	v_cmp_gt_i32_e32 vcc, 16, v20
	v_cndmask_b32_e32 v2, 0, v2, vcc
	v_cndmask_b32_e32 v1, 7, v1, vcc
	v_cmp_eq_u64_e64 s[28:29], 0, v[1:2]
	v_min_i32_e32 v2, 15, v20
	v_lshlrev_b32_e32 v2, 3, v2
	v_cmp_eq_u32_e32 vcc, 0, v20
	v_and_b32_e32 v2, 0xf8, v2
	v_and_or_b32 v1, v1, 7, v2
	s_and_b64 s[28:29], vcc, s[28:29]
	v_cndmask_b32_e64 v1, v1, 0, s[28:29]
	v_or_b32_e32 v20, v1, v36
.LBB4_770:                              ;   in Loop: Header=BB4_356 Depth=4
	s_or_b64 exec, exec, s[36:37]
                                        ; implicit-def: $vgpr36
.LBB4_771:                              ;   in Loop: Header=BB4_356 Depth=4
	s_andn2_saveexec_b64 s[28:29], s[34:35]
; %bb.772:                              ;   in Loop: Header=BB4_356 Depth=4
	v_or_b32_e32 v20, 0x7e, v36
; %bb.773:                              ;   in Loop: Header=BB4_356 Depth=4
	s_or_b64 exec, exec, s[28:29]
                                        ; implicit-def: $vgpr16
.LBB4_774:                              ;   in Loop: Header=BB4_356 Depth=4
	s_andn2_saveexec_b64 s[28:29], s[30:31]
; %bb.775:                              ;   in Loop: Header=BB4_356 Depth=4
	v_or_b32_sdwa v20, v16, s71 dst_sel:DWORD dst_unused:UNUSED_PAD src0_sel:BYTE_3 src1_sel:DWORD
; %bb.776:                              ;   in Loop: Header=BB4_356 Depth=4
	s_or_b64 exec, exec, s[28:29]
	v_cmp_lt_u64_e32 vcc, s[56:57], v[22:23]
	v_mov_b32_e32 v16, 0
	v_mov_b32_e32 v17, 0
	s_and_saveexec_b64 s[28:29], vcc
	s_cbranch_execz .LBB4_782
; %bb.777:                              ;   in Loop: Header=BB4_356 Depth=4
	v_lshrrev_b32_e32 v2, 24, v23
	v_cmp_ne_u32_e32 vcc, s70, v2
	v_bfrev_b32_e32 v17, 1
	s_and_saveexec_b64 s[30:31], vcc
	s_cbranch_execz .LBB4_781
; %bb.778:                              ;   in Loop: Header=BB4_356 Depth=4
	v_bfe_u32 v1, v23, 24, 7
	v_cmp_ne_u32_e32 vcc, s71, v1
	v_mov_b32_e32 v17, 0x7f800001
	s_and_saveexec_b64 s[34:35], vcc
	s_cbranch_execz .LBB4_780
; %bb.779:                              ;   in Loop: Header=BB4_356 Depth=4
	v_and_b32_e32 v17, 7, v2
	v_lshrrev_b32_e32 v23, 3, v1
	v_cmp_gt_u32_e32 vcc, 8, v1
	v_ffbh_u32_e32 v1, v17
	v_min_u32_e32 v1, 32, v1
	v_subrev_u32_e32 v21, 28, v1
	v_lshlrev_b64 v[21:22], v21, v[2:3]
	v_sub_u32_e32 v1, 29, v1
	v_and_b32_e32 v21, 7, v21
	v_cndmask_b32_e32 v1, v23, v1, vcc
	v_cndmask_b32_e32 v17, v17, v21, vcc
	v_lshlrev_b32_e32 v2, 24, v2
	v_lshlrev_b32_e32 v17, 20, v17
	v_and_b32_e32 v2, 0x80000000, v2
	v_lshl_add_u32 v1, v1, 23, v0
	v_or3_b32 v17, v2, v1, v17
.LBB4_780:                              ;   in Loop: Header=BB4_356 Depth=4
	s_or_b64 exec, exec, s[34:35]
.LBB4_781:                              ;   in Loop: Header=BB4_356 Depth=4
	s_or_b64 exec, exec, s[30:31]
.LBB4_782:                              ;   in Loop: Header=BB4_356 Depth=4
	s_or_b64 exec, exec, s[28:29]
	v_cmp_lt_u64_e32 vcc, s[56:57], v[18:19]
	s_and_saveexec_b64 s[28:29], vcc
	s_cbranch_execz .LBB4_788
; %bb.783:                              ;   in Loop: Header=BB4_356 Depth=4
	v_lshrrev_b32_e32 v2, 24, v19
	v_cmp_ne_u32_e32 vcc, s70, v2
	v_bfrev_b32_e32 v16, 1
	s_and_saveexec_b64 s[30:31], vcc
	s_cbranch_execz .LBB4_787
; %bb.784:                              ;   in Loop: Header=BB4_356 Depth=4
	v_bfe_u32 v1, v19, 24, 7
	v_cmp_ne_u32_e32 vcc, s71, v1
	v_mov_b32_e32 v16, 0x7f800001
	s_and_saveexec_b64 s[34:35], vcc
	s_cbranch_execz .LBB4_786
; %bb.785:                              ;   in Loop: Header=BB4_356 Depth=4
	v_and_b32_e32 v16, 7, v2
	v_lshrrev_b32_e32 v21, 3, v1
	v_cmp_gt_u32_e32 vcc, 8, v1
	v_ffbh_u32_e32 v1, v16
	v_min_u32_e32 v1, 32, v1
	v_subrev_u32_e32 v18, 28, v1
	v_lshlrev_b64 v[18:19], v18, v[2:3]
	v_sub_u32_e32 v1, 29, v1
	v_and_b32_e32 v18, 7, v18
	v_cndmask_b32_e32 v1, v21, v1, vcc
	v_cndmask_b32_e32 v16, v16, v18, vcc
	v_lshlrev_b32_e32 v2, 24, v2
	v_lshlrev_b32_e32 v16, 20, v16
	v_and_b32_e32 v2, 0x80000000, v2
	v_lshl_add_u32 v1, v1, 23, v0
	v_or3_b32 v16, v2, v1, v16
.LBB4_786:                              ;   in Loop: Header=BB4_356 Depth=4
	s_or_b64 exec, exec, s[34:35]
.LBB4_787:                              ;   in Loop: Header=BB4_356 Depth=4
	s_or_b64 exec, exec, s[30:31]
.LBB4_788:                              ;   in Loop: Header=BB4_356 Depth=4
	s_or_b64 exec, exec, s[28:29]
	v_mul_f32_e32 v16, v17, v16
	v_and_b32_e32 v2, 0x7f800000, v16
	v_cmp_ne_u64_e32 vcc, s[62:63], v[2:3]
                                        ; implicit-def: $vgpr19
	s_and_saveexec_b64 s[28:29], vcc
	s_xor_b64 s[30:31], exec, s[28:29]
	s_cbranch_execz .LBB4_802
; %bb.789:                              ;   in Loop: Header=BB4_356 Depth=4
	v_and_b32_e32 v2, 0x7fffffff, v16
	v_cmp_gt_u64_e32 vcc, s[72:73], v[2:3]
	v_and_b32_sdwa v21, v16, s70 dst_sel:DWORD dst_unused:UNUSED_PAD src0_sel:BYTE_3 src1_sel:DWORD
                                        ; implicit-def: $vgpr19
	s_and_saveexec_b64 s[28:29], vcc
	s_xor_b64 s[34:35], exec, s[28:29]
	s_cbranch_execz .LBB4_799
; %bb.790:                              ;   in Loop: Header=BB4_356 Depth=4
	v_mov_b32_e32 v19, 0
	v_cmp_ne_u32_e32 vcc, 0, v16
	s_and_saveexec_b64 s[36:37], vcc
	s_cbranch_execz .LBB4_798
; %bb.791:                              ;   in Loop: Header=BB4_356 Depth=4
	v_bfe_u32 v19, v16, 23, 8
	v_cmp_gt_u32_e64 s[28:29], s80, v19
	v_sub_u32_e32 v2, 0x79, v19
	v_and_b32_e32 v1, 0x7fffff, v16
	v_cmp_eq_u32_e32 vcc, 0, v19
	v_cndmask_b32_e64 v2, 0, v2, s[28:29]
	v_mov_b32_e32 v17, 0x78
	v_or_b32_e32 v16, 0x800000, v1
	v_cndmask_b32_e32 v22, v2, v17, vcc
	v_cndmask_b32_e32 v2, v16, v1, vcc
	v_add_u32_e32 v1, 20, v22
	v_lshlrev_b64 v[16:17], v1, -1
	v_add_u32_e32 v1, 19, v22
	v_lshlrev_b64 v[50:51], v1, 1
	v_bfi_b32 v17, v17, 0, 0
	v_bfi_b32 v16, v16, 0, v2
	v_cmp_eq_u64_e64 s[28:29], v[16:17], v[50:51]
	v_lshrrev_b64 v[16:17], v22, v[2:3]
	v_mov_b32_e32 v18, v17
	v_mov_b32_e32 v17, v16
	s_and_saveexec_b64 s[38:39], s[28:29]
; %bb.792:                              ;   in Loop: Header=BB4_356 Depth=4
	v_bfe_u32 v1, v16, 20, 1
	v_add_co_u32_e64 v1, s[28:29], v16, v1
	v_add_co_u32_e64 v17, s[28:29], -1, v1
; %bb.793:                              ;   in Loop: Header=BB4_356 Depth=4
	s_or_b64 exec, exec, s[38:39]
	v_add_u32_e32 v1, 0xffffff81, v19
	v_mov_b32_e32 v2, 0xffffff82
	v_cndmask_b32_e32 v1, v1, v2, vcc
	v_lshrrev_b32_e32 v2, 23, v16
	v_add3_u32 v19, v22, v1, v2
	v_add_u32_e32 v1, 6, v19
	v_and_b32_e32 v2, 0xfffff, v17
	v_add_u32_e32 v2, v2, v16
	v_cmp_ne_u32_e32 vcc, 0, v1
                                        ; implicit-def: $vgpr16_vgpr17
                                        ; implicit-def: $vgpr18
	s_and_saveexec_b64 s[28:29], vcc
	s_xor_b64 s[28:29], exec, s[28:29]
; %bb.794:                              ;   in Loop: Header=BB4_356 Depth=4
	v_cmp_lt_u64_e32 vcc, s[88:89], v[2:3]
	v_add_u32_e32 v16, 7, v19
	v_cndmask_b32_e32 v18, v1, v16, vcc
	v_cndmask_b32_e64 v1, 0, 1, vcc
	v_lshrrev_b64 v[16:17], v1, v[2:3]
; %bb.795:                              ;   in Loop: Header=BB4_356 Depth=4
	s_andn2_saveexec_b64 s[28:29], s[28:29]
; %bb.796:                              ;   in Loop: Header=BB4_356 Depth=4
	v_mov_b32_e32 v17, v3
	v_bfe_u32 v18, v2, 23, 1
	v_mov_b32_e32 v16, v2
; %bb.797:                              ;   in Loop: Header=BB4_356 Depth=4
	s_or_b64 exec, exec, s[28:29]
	v_lshrrev_b64 v[1:2], 20, v[16:17]
	v_cmp_gt_i32_e32 vcc, 16, v18
	v_cndmask_b32_e32 v2, 0, v2, vcc
	v_cndmask_b32_e32 v1, 7, v1, vcc
	v_cmp_eq_u64_e64 s[28:29], 0, v[1:2]
	v_min_i32_e32 v2, 15, v18
	v_lshlrev_b32_e32 v2, 3, v2
	v_cmp_eq_u32_e32 vcc, 0, v18
	v_and_b32_e32 v2, 0xf8, v2
	v_and_or_b32 v1, v1, 7, v2
	s_and_b64 s[28:29], vcc, s[28:29]
	v_cndmask_b32_e64 v1, v1, 0, s[28:29]
	v_or_b32_e32 v19, v1, v21
.LBB4_798:                              ;   in Loop: Header=BB4_356 Depth=4
	s_or_b64 exec, exec, s[36:37]
                                        ; implicit-def: $vgpr21
.LBB4_799:                              ;   in Loop: Header=BB4_356 Depth=4
	s_andn2_saveexec_b64 s[28:29], s[34:35]
; %bb.800:                              ;   in Loop: Header=BB4_356 Depth=4
	v_or_b32_e32 v19, 0x7e, v21
; %bb.801:                              ;   in Loop: Header=BB4_356 Depth=4
	s_or_b64 exec, exec, s[28:29]
                                        ; implicit-def: $vgpr16
.LBB4_802:                              ;   in Loop: Header=BB4_356 Depth=4
	s_andn2_saveexec_b64 s[28:29], s[30:31]
; %bb.803:                              ;   in Loop: Header=BB4_356 Depth=4
	v_or_b32_sdwa v19, v16, s71 dst_sel:DWORD dst_unused:UNUSED_PAD src0_sel:BYTE_3 src1_sel:DWORD
; %bb.804:                              ;   in Loop: Header=BB4_356 Depth=4
	s_or_b64 exec, exec, s[28:29]
	v_cmp_ne_u16_sdwa s[44:45], v12, v3 src0_sel:BYTE_0 src1_sel:DWORD
	v_mov_b32_e32 v2, 0
	v_mov_b32_e32 v16, 0
	s_and_saveexec_b64 s[28:29], s[44:45]
	s_cbranch_execz .LBB4_810
; %bb.805:                              ;   in Loop: Header=BB4_356 Depth=4
	v_cmp_ne_u16_sdwa s[44:45], v12, s70 src0_sel:BYTE_0 src1_sel:DWORD
	v_bfrev_b32_e32 v16, 1
	s_and_saveexec_b64 s[30:31], s[44:45]
	s_cbranch_execz .LBB4_809
; %bb.806:                              ;   in Loop: Header=BB4_356 Depth=4
	v_and_b32_e32 v1, 0x7f, v12
	v_cmp_ne_u32_e32 vcc, s71, v1
	v_mov_b32_e32 v16, 0x7f800001
	s_and_saveexec_b64 s[34:35], vcc
	s_cbranch_execz .LBB4_808
; %bb.807:                              ;   in Loop: Header=BB4_356 Depth=4
	v_and_b32_e32 v16, 7, v12
	v_lshrrev_b32_e32 v17, 3, v1
	v_cmp_gt_u32_e32 vcc, 8, v1
	v_ffbh_u32_e32 v1, v16
	v_min_u32_e32 v1, 32, v1
	v_subrev_u32_e32 v16, 28, v1
	v_sub_u32_e32 v1, 29, v1
	v_cndmask_b32_e32 v16, 0, v16, vcc
	v_cndmask_b32_e32 v1, v17, v1, vcc
	v_lshlrev_b64 v[16:17], v16, v[12:13]
	v_lshlrev_b32_e32 v17, 24, v12
	v_lshlrev_b32_e32 v16, 20, v16
	v_and_b32_e32 v16, 0x700000, v16
	v_and_b32_e32 v17, 0x80000000, v17
	v_lshl_add_u32 v1, v1, 23, v0
	v_or3_b32 v16, v17, v1, v16
.LBB4_808:                              ;   in Loop: Header=BB4_356 Depth=4
	s_or_b64 exec, exec, s[34:35]
.LBB4_809:                              ;   in Loop: Header=BB4_356 Depth=4
	s_or_b64 exec, exec, s[30:31]
.LBB4_810:                              ;   in Loop: Header=BB4_356 Depth=4
	s_or_b64 exec, exec, s[28:29]
	s_waitcnt vmcnt(0)
	v_cmp_ne_u16_sdwa s[44:45], v8, v3 src0_sel:BYTE_0 src1_sel:DWORD
	s_and_saveexec_b64 s[28:29], s[44:45]
	s_cbranch_execz .LBB4_816
; %bb.811:                              ;   in Loop: Header=BB4_356 Depth=4
	v_cmp_ne_u16_sdwa s[44:45], v8, s70 src0_sel:BYTE_0 src1_sel:DWORD
	v_bfrev_b32_e32 v2, 1
	s_and_saveexec_b64 s[30:31], s[44:45]
	s_cbranch_execz .LBB4_815
; %bb.812:                              ;   in Loop: Header=BB4_356 Depth=4
	v_and_b32_e32 v1, 0x7f, v8
	v_cmp_ne_u32_e32 vcc, s71, v1
	v_mov_b32_e32 v2, 0x7f800001
	s_and_saveexec_b64 s[34:35], vcc
	s_cbranch_execz .LBB4_814
; %bb.813:                              ;   in Loop: Header=BB4_356 Depth=4
	v_and_b32_e32 v2, 7, v8
	v_lshrrev_b32_e32 v17, 3, v1
	v_cmp_gt_u32_e32 vcc, 8, v1
	v_ffbh_u32_e32 v1, v2
	v_min_u32_e32 v1, 32, v1
	v_subrev_u32_e32 v2, 28, v1
	v_sub_u32_e32 v1, 29, v1
	v_cndmask_b32_e32 v17, v17, v1, vcc
	v_cndmask_b32_e32 v1, 0, v2, vcc
	v_lshlrev_b64 v[1:2], v1, v[8:9]
	v_lshlrev_b32_e32 v2, 24, v8
	v_lshlrev_b32_e32 v1, 20, v1
	v_and_b32_e32 v1, 0x700000, v1
	v_and_b32_e32 v2, 0x80000000, v2
	v_lshl_add_u32 v17, v17, 23, v0
	v_or3_b32 v2, v2, v17, v1
.LBB4_814:                              ;   in Loop: Header=BB4_356 Depth=4
	s_or_b64 exec, exec, s[34:35]
.LBB4_815:                              ;   in Loop: Header=BB4_356 Depth=4
	s_or_b64 exec, exec, s[30:31]
.LBB4_816:                              ;   in Loop: Header=BB4_356 Depth=4
	s_or_b64 exec, exec, s[28:29]
	v_mul_f32_e32 v16, v16, v2
	v_and_b32_e32 v2, 0x7f800000, v16
	v_cmp_ne_u64_e32 vcc, s[62:63], v[2:3]
                                        ; implicit-def: $vgpr21
	s_and_saveexec_b64 s[28:29], vcc
	s_xor_b64 s[30:31], exec, s[28:29]
	s_cbranch_execz .LBB4_830
; %bb.817:                              ;   in Loop: Header=BB4_356 Depth=4
	v_and_b32_e32 v2, 0x7fffffff, v16
	v_cmp_gt_u64_e32 vcc, s[72:73], v[2:3]
	v_and_b32_sdwa v22, v16, s70 dst_sel:DWORD dst_unused:UNUSED_PAD src0_sel:BYTE_3 src1_sel:DWORD
                                        ; implicit-def: $vgpr21
	s_and_saveexec_b64 s[28:29], vcc
	s_xor_b64 s[34:35], exec, s[28:29]
	s_cbranch_execz .LBB4_827
; %bb.818:                              ;   in Loop: Header=BB4_356 Depth=4
	v_mov_b32_e32 v21, 0
	v_cmp_ne_u32_e32 vcc, 0, v16
	s_and_saveexec_b64 s[36:37], vcc
	s_cbranch_execz .LBB4_826
; %bb.819:                              ;   in Loop: Header=BB4_356 Depth=4
	v_bfe_u32 v21, v16, 23, 8
	v_cmp_gt_u32_e64 s[28:29], s80, v21
	v_sub_u32_e32 v2, 0x79, v21
	v_and_b32_e32 v1, 0x7fffff, v16
	v_cmp_eq_u32_e32 vcc, 0, v21
	v_cndmask_b32_e64 v2, 0, v2, s[28:29]
	v_mov_b32_e32 v17, 0x78
	v_or_b32_e32 v16, 0x800000, v1
	v_cndmask_b32_e32 v23, v2, v17, vcc
	v_cndmask_b32_e32 v2, v16, v1, vcc
	v_add_u32_e32 v1, 20, v23
	v_lshlrev_b64 v[16:17], v1, -1
	v_add_u32_e32 v1, 19, v23
	v_lshlrev_b64 v[50:51], v1, 1
	v_bfi_b32 v17, v17, 0, 0
	v_bfi_b32 v16, v16, 0, v2
	v_cmp_eq_u64_e64 s[28:29], v[16:17], v[50:51]
	v_lshrrev_b64 v[16:17], v23, v[2:3]
	v_mov_b32_e32 v18, v17
	v_mov_b32_e32 v17, v16
	s_and_saveexec_b64 s[38:39], s[28:29]
; %bb.820:                              ;   in Loop: Header=BB4_356 Depth=4
	v_bfe_u32 v1, v16, 20, 1
	v_add_co_u32_e64 v1, s[28:29], v16, v1
	v_add_co_u32_e64 v17, s[28:29], -1, v1
; %bb.821:                              ;   in Loop: Header=BB4_356 Depth=4
	s_or_b64 exec, exec, s[38:39]
	v_add_u32_e32 v1, 0xffffff81, v21
	v_mov_b32_e32 v2, 0xffffff82
	v_cndmask_b32_e32 v1, v1, v2, vcc
	v_lshrrev_b32_e32 v2, 23, v16
	v_add3_u32 v21, v23, v1, v2
	v_add_u32_e32 v18, 6, v21
	v_and_b32_e32 v1, 0xfffff, v17
	v_add_u32_e32 v2, v1, v16
	v_cmp_ne_u32_e32 vcc, 0, v18
                                        ; implicit-def: $vgpr16_vgpr17
                                        ; implicit-def: $vgpr1
	s_and_saveexec_b64 s[28:29], vcc
	s_xor_b64 s[28:29], exec, s[28:29]
; %bb.822:                              ;   in Loop: Header=BB4_356 Depth=4
	v_cmp_lt_u64_e32 vcc, s[88:89], v[2:3]
	v_add_u32_e32 v1, 7, v21
	v_cndmask_b32_e64 v16, 0, 1, vcc
	v_lshrrev_b64 v[16:17], v16, v[2:3]
	v_cndmask_b32_e32 v1, v18, v1, vcc
; %bb.823:                              ;   in Loop: Header=BB4_356 Depth=4
	s_andn2_saveexec_b64 s[28:29], s[28:29]
; %bb.824:                              ;   in Loop: Header=BB4_356 Depth=4
	v_mov_b32_e32 v17, v3
	v_bfe_u32 v1, v2, 23, 1
	v_mov_b32_e32 v16, v2
; %bb.825:                              ;   in Loop: Header=BB4_356 Depth=4
	s_or_b64 exec, exec, s[28:29]
	v_lshrrev_b64 v[16:17], 20, v[16:17]
	v_cmp_gt_i32_e32 vcc, 16, v1
	v_cndmask_b32_e32 v17, 0, v17, vcc
	v_cndmask_b32_e32 v16, 7, v16, vcc
	v_cmp_eq_u32_e32 vcc, 0, v1
	v_min_i32_e32 v1, 15, v1
	v_cmp_eq_u64_e64 s[28:29], 0, v[16:17]
	v_lshlrev_b32_e32 v1, 3, v1
	v_and_b32_e32 v1, 0xf8, v1
	v_and_or_b32 v1, v16, 7, v1
	s_and_b64 s[28:29], vcc, s[28:29]
	v_cndmask_b32_e64 v1, v1, 0, s[28:29]
	v_or_b32_e32 v21, v1, v22
.LBB4_826:                              ;   in Loop: Header=BB4_356 Depth=4
	s_or_b64 exec, exec, s[36:37]
                                        ; implicit-def: $vgpr22
.LBB4_827:                              ;   in Loop: Header=BB4_356 Depth=4
	s_andn2_saveexec_b64 s[28:29], s[34:35]
; %bb.828:                              ;   in Loop: Header=BB4_356 Depth=4
	v_or_b32_e32 v21, 0x7e, v22
; %bb.829:                              ;   in Loop: Header=BB4_356 Depth=4
	s_or_b64 exec, exec, s[28:29]
                                        ; implicit-def: $vgpr16
.LBB4_830:                              ;   in Loop: Header=BB4_356 Depth=4
	s_andn2_saveexec_b64 s[28:29], s[30:31]
; %bb.831:                              ;   in Loop: Header=BB4_356 Depth=4
	v_or_b32_sdwa v21, v16, s71 dst_sel:DWORD dst_unused:UNUSED_PAD src0_sel:BYTE_3 src1_sel:DWORD
; %bb.832:                              ;   in Loop: Header=BB4_356 Depth=4
	s_or_b64 exec, exec, s[28:29]
	v_lshrrev_b16_e32 v2, 8, v12
	v_cmp_ne_u16_e32 vcc, 0, v2
	v_mov_b32_e32 v16, 0
	v_mov_b32_e32 v17, 0
	s_and_saveexec_b64 s[28:29], vcc
	s_cbranch_execz .LBB4_838
; %bb.833:                              ;   in Loop: Header=BB4_356 Depth=4
	v_cmp_ne_u16_e32 vcc, s70, v2
	v_bfrev_b32_e32 v17, 1
	s_and_saveexec_b64 s[30:31], vcc
	s_cbranch_execz .LBB4_837
; %bb.834:                              ;   in Loop: Header=BB4_356 Depth=4
	v_and_b32_e32 v1, 0x7f, v2
	v_cmp_ne_u32_e32 vcc, s71, v1
	v_mov_b32_e32 v17, 0x7f800001
	s_and_saveexec_b64 s[34:35], vcc
	s_cbranch_execz .LBB4_836
; %bb.835:                              ;   in Loop: Header=BB4_356 Depth=4
	v_and_b32_e32 v17, 7, v2
	v_lshrrev_b32_e32 v18, 3, v1
	v_cmp_gt_u32_e32 vcc, 8, v1
	v_ffbh_u32_e32 v1, v17
	v_min_u32_e32 v22, 32, v1
	v_subrev_u32_e32 v1, 28, v22
	v_lshlrev_b64 v[1:2], v1, v[2:3]
	v_sub_u32_e32 v2, 29, v22
	v_and_b32_e32 v1, 7, v1
	v_cndmask_b32_e32 v2, v18, v2, vcc
	v_cndmask_b32_e32 v1, v17, v1, vcc
	v_lshlrev_b32_e32 v17, 16, v12
	v_lshlrev_b32_e32 v1, 20, v1
	v_and_b32_e32 v17, 0x80000000, v17
	v_lshl_add_u32 v2, v2, 23, v0
	v_or3_b32 v17, v17, v2, v1
.LBB4_836:                              ;   in Loop: Header=BB4_356 Depth=4
	s_or_b64 exec, exec, s[34:35]
.LBB4_837:                              ;   in Loop: Header=BB4_356 Depth=4
	s_or_b64 exec, exec, s[30:31]
.LBB4_838:                              ;   in Loop: Header=BB4_356 Depth=4
	s_or_b64 exec, exec, s[28:29]
	v_lshrrev_b16_e32 v2, 8, v8
	v_cmp_ne_u16_e32 vcc, 0, v2
	s_and_saveexec_b64 s[28:29], vcc
	s_cbranch_execz .LBB4_844
; %bb.839:                              ;   in Loop: Header=BB4_356 Depth=4
	v_cmp_ne_u16_e32 vcc, s70, v2
	v_bfrev_b32_e32 v16, 1
	s_and_saveexec_b64 s[30:31], vcc
	s_cbranch_execz .LBB4_843
; %bb.840:                              ;   in Loop: Header=BB4_356 Depth=4
	v_and_b32_e32 v1, 0x7f, v2
	v_cmp_ne_u32_e32 vcc, s71, v1
	v_mov_b32_e32 v16, 0x7f800001
	s_and_saveexec_b64 s[34:35], vcc
	s_cbranch_execz .LBB4_842
; %bb.841:                              ;   in Loop: Header=BB4_356 Depth=4
	v_and_b32_e32 v16, 7, v2
	v_lshrrev_b32_e32 v18, 3, v1
	v_cmp_gt_u32_e32 vcc, 8, v1
	v_ffbh_u32_e32 v1, v16
	v_min_u32_e32 v22, 32, v1
	v_subrev_u32_e32 v1, 28, v22
	v_lshlrev_b64 v[1:2], v1, v[2:3]
	v_sub_u32_e32 v2, 29, v22
	v_and_b32_e32 v1, 7, v1
	v_cndmask_b32_e32 v2, v18, v2, vcc
	v_cndmask_b32_e32 v1, v16, v1, vcc
	v_lshlrev_b32_e32 v16, 16, v8
	v_lshlrev_b32_e32 v1, 20, v1
	v_and_b32_e32 v16, 0x80000000, v16
	v_lshl_add_u32 v2, v2, 23, v0
	v_or3_b32 v16, v16, v2, v1
.LBB4_842:                              ;   in Loop: Header=BB4_356 Depth=4
	s_or_b64 exec, exec, s[34:35]
.LBB4_843:                              ;   in Loop: Header=BB4_356 Depth=4
	s_or_b64 exec, exec, s[30:31]
.LBB4_844:                              ;   in Loop: Header=BB4_356 Depth=4
	s_or_b64 exec, exec, s[28:29]
	v_mul_f32_e32 v16, v17, v16
	v_and_b32_e32 v2, 0x7f800000, v16
	v_cmp_ne_u64_e32 vcc, s[62:63], v[2:3]
                                        ; implicit-def: $vgpr22
	s_and_saveexec_b64 s[28:29], vcc
	s_xor_b64 s[30:31], exec, s[28:29]
	s_cbranch_execz .LBB4_858
; %bb.845:                              ;   in Loop: Header=BB4_356 Depth=4
	v_and_b32_e32 v2, 0x7fffffff, v16
	v_cmp_gt_u64_e32 vcc, s[72:73], v[2:3]
	v_and_b32_sdwa v23, v16, s70 dst_sel:DWORD dst_unused:UNUSED_PAD src0_sel:BYTE_3 src1_sel:DWORD
                                        ; implicit-def: $vgpr22
	s_and_saveexec_b64 s[28:29], vcc
	s_xor_b64 s[34:35], exec, s[28:29]
	s_cbranch_execz .LBB4_855
; %bb.846:                              ;   in Loop: Header=BB4_356 Depth=4
	v_mov_b32_e32 v22, 0
	v_cmp_ne_u32_e32 vcc, 0, v16
	s_and_saveexec_b64 s[36:37], vcc
	s_cbranch_execz .LBB4_854
; %bb.847:                              ;   in Loop: Header=BB4_356 Depth=4
	v_bfe_u32 v22, v16, 23, 8
	v_cmp_gt_u32_e64 s[28:29], s80, v22
	v_sub_u32_e32 v2, 0x79, v22
	v_and_b32_e32 v1, 0x7fffff, v16
	v_cmp_eq_u32_e32 vcc, 0, v22
	v_cndmask_b32_e64 v2, 0, v2, s[28:29]
	v_mov_b32_e32 v17, 0x78
	v_or_b32_e32 v16, 0x800000, v1
	v_cndmask_b32_e32 v36, v2, v17, vcc
	v_cndmask_b32_e32 v2, v16, v1, vcc
	v_add_u32_e32 v1, 20, v36
	v_lshlrev_b64 v[16:17], v1, -1
	v_add_u32_e32 v1, 19, v36
	v_lshlrev_b64 v[50:51], v1, 1
	v_bfi_b32 v17, v17, 0, 0
	v_bfi_b32 v16, v16, 0, v2
	v_cmp_eq_u64_e64 s[28:29], v[16:17], v[50:51]
	v_lshrrev_b64 v[16:17], v36, v[2:3]
	v_mov_b32_e32 v18, v17
	v_mov_b32_e32 v17, v16
	s_and_saveexec_b64 s[38:39], s[28:29]
; %bb.848:                              ;   in Loop: Header=BB4_356 Depth=4
	v_bfe_u32 v1, v16, 20, 1
	v_add_co_u32_e64 v1, s[28:29], v16, v1
	v_add_co_u32_e64 v17, s[28:29], -1, v1
; %bb.849:                              ;   in Loop: Header=BB4_356 Depth=4
	s_or_b64 exec, exec, s[38:39]
	v_add_u32_e32 v1, 0xffffff81, v22
	v_mov_b32_e32 v2, 0xffffff82
	v_cndmask_b32_e32 v1, v1, v2, vcc
	v_lshrrev_b32_e32 v2, 23, v16
	v_add3_u32 v22, v36, v1, v2
	v_add_u32_e32 v18, 6, v22
	v_and_b32_e32 v1, 0xfffff, v17
	v_add_u32_e32 v2, v1, v16
	v_cmp_ne_u32_e32 vcc, 0, v18
                                        ; implicit-def: $vgpr16_vgpr17
                                        ; implicit-def: $vgpr1
	s_and_saveexec_b64 s[28:29], vcc
	s_xor_b64 s[28:29], exec, s[28:29]
; %bb.850:                              ;   in Loop: Header=BB4_356 Depth=4
	v_cmp_lt_u64_e32 vcc, s[88:89], v[2:3]
	v_add_u32_e32 v1, 7, v22
	v_cndmask_b32_e64 v16, 0, 1, vcc
	v_lshrrev_b64 v[16:17], v16, v[2:3]
	v_cndmask_b32_e32 v1, v18, v1, vcc
; %bb.851:                              ;   in Loop: Header=BB4_356 Depth=4
	s_andn2_saveexec_b64 s[28:29], s[28:29]
; %bb.852:                              ;   in Loop: Header=BB4_356 Depth=4
	v_mov_b32_e32 v17, v3
	v_bfe_u32 v1, v2, 23, 1
	v_mov_b32_e32 v16, v2
; %bb.853:                              ;   in Loop: Header=BB4_356 Depth=4
	s_or_b64 exec, exec, s[28:29]
	v_lshrrev_b64 v[16:17], 20, v[16:17]
	v_cmp_gt_i32_e32 vcc, 16, v1
	v_cndmask_b32_e32 v17, 0, v17, vcc
	v_cndmask_b32_e32 v16, 7, v16, vcc
	v_cmp_eq_u32_e32 vcc, 0, v1
	v_min_i32_e32 v1, 15, v1
	v_cmp_eq_u64_e64 s[28:29], 0, v[16:17]
	v_lshlrev_b32_e32 v1, 3, v1
	v_and_b32_e32 v1, 0xf8, v1
	v_and_or_b32 v1, v16, 7, v1
	s_and_b64 s[28:29], vcc, s[28:29]
	v_cndmask_b32_e64 v1, v1, 0, s[28:29]
	v_or_b32_e32 v22, v1, v23
.LBB4_854:                              ;   in Loop: Header=BB4_356 Depth=4
	s_or_b64 exec, exec, s[36:37]
                                        ; implicit-def: $vgpr23
.LBB4_855:                              ;   in Loop: Header=BB4_356 Depth=4
	s_andn2_saveexec_b64 s[28:29], s[34:35]
; %bb.856:                              ;   in Loop: Header=BB4_356 Depth=4
	v_or_b32_e32 v22, 0x7e, v23
; %bb.857:                              ;   in Loop: Header=BB4_356 Depth=4
	s_or_b64 exec, exec, s[28:29]
                                        ; implicit-def: $vgpr16
.LBB4_858:                              ;   in Loop: Header=BB4_356 Depth=4
	s_andn2_saveexec_b64 s[28:29], s[30:31]
; %bb.859:                              ;   in Loop: Header=BB4_356 Depth=4
	v_or_b32_sdwa v22, v16, s71 dst_sel:DWORD dst_unused:UNUSED_PAD src0_sel:BYTE_3 src1_sel:DWORD
; %bb.860:                              ;   in Loop: Header=BB4_356 Depth=4
	s_or_b64 exec, exec, s[28:29]
	v_lshrrev_b32_e32 v2, 16, v12
	v_cmp_ne_u16_sdwa s[44:45], v2, v3 src0_sel:BYTE_0 src1_sel:DWORD
	v_mov_b32_e32 v16, 0
	v_mov_b32_e32 v17, 0
	s_and_saveexec_b64 s[28:29], s[44:45]
	s_cbranch_execz .LBB4_866
; %bb.861:                              ;   in Loop: Header=BB4_356 Depth=4
	v_cmp_ne_u16_sdwa s[44:45], v2, s70 src0_sel:BYTE_0 src1_sel:DWORD
	v_bfrev_b32_e32 v17, 1
	s_and_saveexec_b64 s[30:31], s[44:45]
	s_cbranch_execz .LBB4_865
; %bb.862:                              ;   in Loop: Header=BB4_356 Depth=4
	v_bfe_u32 v1, v12, 16, 7
	v_cmp_ne_u32_e32 vcc, s71, v1
	v_mov_b32_e32 v17, 0x7f800001
	s_and_saveexec_b64 s[34:35], vcc
	s_cbranch_execz .LBB4_864
; %bb.863:                              ;   in Loop: Header=BB4_356 Depth=4
	v_and_b32_e32 v23, 7, v2
	v_lshrrev_b32_e32 v36, 3, v1
	v_cmp_gt_u32_e32 vcc, 8, v1
	v_ffbh_u32_e32 v1, v23
	v_min_u32_e32 v1, 32, v1
	v_subrev_u32_e32 v17, 28, v1
	v_lshlrev_b64 v[17:18], v17, v[2:3]
	v_sub_u32_e32 v1, 29, v1
	v_and_b32_e32 v17, 7, v17
	v_cndmask_b32_e32 v1, v36, v1, vcc
	v_cndmask_b32_e32 v17, v23, v17, vcc
	v_lshlrev_b32_e32 v2, 24, v2
	v_lshlrev_b32_e32 v17, 20, v17
	v_and_b32_e32 v2, 0x80000000, v2
	v_lshl_add_u32 v1, v1, 23, v0
	v_or3_b32 v17, v2, v1, v17
.LBB4_864:                              ;   in Loop: Header=BB4_356 Depth=4
	s_or_b64 exec, exec, s[34:35]
.LBB4_865:                              ;   in Loop: Header=BB4_356 Depth=4
	s_or_b64 exec, exec, s[30:31]
.LBB4_866:                              ;   in Loop: Header=BB4_356 Depth=4
	s_or_b64 exec, exec, s[28:29]
	v_lshrrev_b32_e32 v2, 16, v8
	v_cmp_ne_u16_sdwa s[44:45], v2, v3 src0_sel:BYTE_0 src1_sel:DWORD
	s_and_saveexec_b64 s[28:29], s[44:45]
	s_cbranch_execz .LBB4_872
; %bb.867:                              ;   in Loop: Header=BB4_356 Depth=4
	v_cmp_ne_u16_sdwa s[44:45], v2, s70 src0_sel:BYTE_0 src1_sel:DWORD
	v_bfrev_b32_e32 v16, 1
	s_and_saveexec_b64 s[30:31], s[44:45]
	s_cbranch_execz .LBB4_871
; %bb.868:                              ;   in Loop: Header=BB4_356 Depth=4
	v_bfe_u32 v1, v8, 16, 7
	v_cmp_ne_u32_e32 vcc, s71, v1
	v_mov_b32_e32 v16, 0x7f800001
	s_and_saveexec_b64 s[34:35], vcc
	s_cbranch_execz .LBB4_870
; %bb.869:                              ;   in Loop: Header=BB4_356 Depth=4
	v_and_b32_e32 v16, 7, v2
	v_lshrrev_b32_e32 v18, 3, v1
	v_cmp_gt_u32_e32 vcc, 8, v1
	v_ffbh_u32_e32 v1, v16
	v_min_u32_e32 v23, 32, v1
	v_subrev_u32_e32 v1, 28, v23
	v_lshlrev_b64 v[1:2], v1, v[2:3]
	v_sub_u32_e32 v2, 29, v23
	v_and_b32_e32 v1, 7, v1
	v_cndmask_b32_e32 v2, v18, v2, vcc
	v_cndmask_b32_e32 v1, v16, v1, vcc
	v_lshlrev_b32_e32 v16, 8, v8
	v_lshlrev_b32_e32 v1, 20, v1
	v_and_b32_e32 v16, 0x80000000, v16
	v_lshl_add_u32 v2, v2, 23, v0
	v_or3_b32 v16, v16, v2, v1
.LBB4_870:                              ;   in Loop: Header=BB4_356 Depth=4
	s_or_b64 exec, exec, s[34:35]
.LBB4_871:                              ;   in Loop: Header=BB4_356 Depth=4
	s_or_b64 exec, exec, s[30:31]
.LBB4_872:                              ;   in Loop: Header=BB4_356 Depth=4
	s_or_b64 exec, exec, s[28:29]
	v_mul_f32_e32 v16, v17, v16
	v_and_b32_e32 v2, 0x7f800000, v16
	v_cmp_ne_u64_e32 vcc, s[62:63], v[2:3]
                                        ; implicit-def: $vgpr23
	s_and_saveexec_b64 s[28:29], vcc
	s_xor_b64 s[30:31], exec, s[28:29]
	s_cbranch_execz .LBB4_886
; %bb.873:                              ;   in Loop: Header=BB4_356 Depth=4
	v_and_b32_e32 v2, 0x7fffffff, v16
	v_cmp_gt_u64_e32 vcc, s[72:73], v[2:3]
	v_and_b32_sdwa v36, v16, s70 dst_sel:DWORD dst_unused:UNUSED_PAD src0_sel:BYTE_3 src1_sel:DWORD
                                        ; implicit-def: $vgpr23
	s_and_saveexec_b64 s[28:29], vcc
	s_xor_b64 s[34:35], exec, s[28:29]
	s_cbranch_execz .LBB4_883
; %bb.874:                              ;   in Loop: Header=BB4_356 Depth=4
	v_mov_b32_e32 v23, 0
	v_cmp_ne_u32_e32 vcc, 0, v16
	s_and_saveexec_b64 s[36:37], vcc
	s_cbranch_execz .LBB4_882
; %bb.875:                              ;   in Loop: Header=BB4_356 Depth=4
	v_bfe_u32 v23, v16, 23, 8
	v_cmp_gt_u32_e64 s[28:29], s80, v23
	v_sub_u32_e32 v2, 0x79, v23
	v_and_b32_e32 v1, 0x7fffff, v16
	v_cmp_eq_u32_e32 vcc, 0, v23
	v_cndmask_b32_e64 v2, 0, v2, s[28:29]
	v_mov_b32_e32 v17, 0x78
	v_or_b32_e32 v16, 0x800000, v1
	v_cndmask_b32_e32 v50, v2, v17, vcc
	v_cndmask_b32_e32 v2, v16, v1, vcc
	v_add_u32_e32 v1, 20, v50
	v_lshlrev_b64 v[16:17], v1, -1
	v_add_u32_e32 v1, 19, v50
	v_lshlrev_b64 v[56:57], v1, 1
	v_bfi_b32 v17, v17, 0, 0
	v_bfi_b32 v16, v16, 0, v2
	v_cmp_eq_u64_e64 s[28:29], v[16:17], v[56:57]
	v_lshrrev_b64 v[16:17], v50, v[2:3]
	v_mov_b32_e32 v18, v17
	v_mov_b32_e32 v17, v16
	s_and_saveexec_b64 s[38:39], s[28:29]
; %bb.876:                              ;   in Loop: Header=BB4_356 Depth=4
	v_bfe_u32 v1, v16, 20, 1
	v_add_co_u32_e64 v1, s[28:29], v16, v1
	v_add_co_u32_e64 v17, s[28:29], -1, v1
; %bb.877:                              ;   in Loop: Header=BB4_356 Depth=4
	s_or_b64 exec, exec, s[38:39]
	v_add_u32_e32 v1, 0xffffff81, v23
	v_mov_b32_e32 v2, 0xffffff82
	v_cndmask_b32_e32 v1, v1, v2, vcc
	v_lshrrev_b32_e32 v2, 23, v16
	v_add3_u32 v23, v50, v1, v2
	v_add_u32_e32 v18, 6, v23
	v_and_b32_e32 v1, 0xfffff, v17
	v_add_u32_e32 v2, v1, v16
	v_cmp_ne_u32_e32 vcc, 0, v18
                                        ; implicit-def: $vgpr16_vgpr17
                                        ; implicit-def: $vgpr1
	s_and_saveexec_b64 s[28:29], vcc
	s_xor_b64 s[28:29], exec, s[28:29]
; %bb.878:                              ;   in Loop: Header=BB4_356 Depth=4
	v_cmp_lt_u64_e32 vcc, s[88:89], v[2:3]
	v_add_u32_e32 v1, 7, v23
	v_cndmask_b32_e64 v16, 0, 1, vcc
	v_lshrrev_b64 v[16:17], v16, v[2:3]
	v_cndmask_b32_e32 v1, v18, v1, vcc
; %bb.879:                              ;   in Loop: Header=BB4_356 Depth=4
	s_andn2_saveexec_b64 s[28:29], s[28:29]
; %bb.880:                              ;   in Loop: Header=BB4_356 Depth=4
	v_mov_b32_e32 v17, v3
	v_bfe_u32 v1, v2, 23, 1
	v_mov_b32_e32 v16, v2
; %bb.881:                              ;   in Loop: Header=BB4_356 Depth=4
	s_or_b64 exec, exec, s[28:29]
	v_lshrrev_b64 v[16:17], 20, v[16:17]
	v_cmp_gt_i32_e32 vcc, 16, v1
	v_cndmask_b32_e32 v17, 0, v17, vcc
	v_cndmask_b32_e32 v16, 7, v16, vcc
	v_cmp_eq_u32_e32 vcc, 0, v1
	v_min_i32_e32 v1, 15, v1
	v_cmp_eq_u64_e64 s[28:29], 0, v[16:17]
	v_lshlrev_b32_e32 v1, 3, v1
	v_and_b32_e32 v1, 0xf8, v1
	v_and_or_b32 v1, v16, 7, v1
	s_and_b64 s[28:29], vcc, s[28:29]
	v_cndmask_b32_e64 v1, v1, 0, s[28:29]
	v_or_b32_e32 v23, v1, v36
.LBB4_882:                              ;   in Loop: Header=BB4_356 Depth=4
	s_or_b64 exec, exec, s[36:37]
                                        ; implicit-def: $vgpr36
.LBB4_883:                              ;   in Loop: Header=BB4_356 Depth=4
	s_andn2_saveexec_b64 s[28:29], s[34:35]
; %bb.884:                              ;   in Loop: Header=BB4_356 Depth=4
	v_or_b32_e32 v23, 0x7e, v36
; %bb.885:                              ;   in Loop: Header=BB4_356 Depth=4
	s_or_b64 exec, exec, s[28:29]
                                        ; implicit-def: $vgpr16
.LBB4_886:                              ;   in Loop: Header=BB4_356 Depth=4
	s_andn2_saveexec_b64 s[28:29], s[30:31]
; %bb.887:                              ;   in Loop: Header=BB4_356 Depth=4
	v_or_b32_sdwa v23, v16, s71 dst_sel:DWORD dst_unused:UNUSED_PAD src0_sel:BYTE_3 src1_sel:DWORD
; %bb.888:                              ;   in Loop: Header=BB4_356 Depth=4
	s_or_b64 exec, exec, s[28:29]
	v_cmp_lt_u32_e32 vcc, s57, v12
	v_mov_b32_e32 v16, 0
	v_mov_b32_e32 v17, 0
	s_and_saveexec_b64 s[28:29], vcc
	s_cbranch_execz .LBB4_894
; %bb.889:                              ;   in Loop: Header=BB4_356 Depth=4
	v_lshrrev_b32_e32 v2, 24, v12
	v_cmp_ne_u32_e32 vcc, s70, v2
	v_bfrev_b32_e32 v17, 1
	s_and_saveexec_b64 s[30:31], vcc
	s_cbranch_execz .LBB4_893
; %bb.890:                              ;   in Loop: Header=BB4_356 Depth=4
	v_bfe_u32 v1, v12, 24, 7
	v_cmp_ne_u32_e32 vcc, s71, v1
	v_mov_b32_e32 v17, 0x7f800001
	s_and_saveexec_b64 s[34:35], vcc
	s_cbranch_execz .LBB4_892
; %bb.891:                              ;   in Loop: Header=BB4_356 Depth=4
	v_and_b32_e32 v36, 7, v2
	v_lshrrev_b32_e32 v50, 3, v1
	v_cmp_gt_u32_e32 vcc, 8, v1
	v_ffbh_u32_e32 v1, v36
	v_min_u32_e32 v1, 32, v1
	v_subrev_u32_e32 v17, 28, v1
	v_lshlrev_b64 v[17:18], v17, v[2:3]
	v_sub_u32_e32 v1, 29, v1
	v_and_b32_e32 v17, 7, v17
	v_cndmask_b32_e32 v1, v50, v1, vcc
	v_cndmask_b32_e32 v17, v36, v17, vcc
	v_lshlrev_b32_e32 v2, 24, v2
	v_lshlrev_b32_e32 v17, 20, v17
	v_and_b32_e32 v2, 0x80000000, v2
	v_lshl_add_u32 v1, v1, 23, v0
	v_or3_b32 v17, v2, v1, v17
.LBB4_892:                              ;   in Loop: Header=BB4_356 Depth=4
	s_or_b64 exec, exec, s[34:35]
.LBB4_893:                              ;   in Loop: Header=BB4_356 Depth=4
	s_or_b64 exec, exec, s[30:31]
.LBB4_894:                              ;   in Loop: Header=BB4_356 Depth=4
	s_or_b64 exec, exec, s[28:29]
	v_cmp_lt_u32_e32 vcc, s57, v8
	s_and_saveexec_b64 s[28:29], vcc
	s_cbranch_execz .LBB4_900
; %bb.895:                              ;   in Loop: Header=BB4_356 Depth=4
	v_lshrrev_b32_e32 v2, 24, v8
	v_cmp_ne_u32_e32 vcc, s70, v2
	v_bfrev_b32_e32 v16, 1
	s_and_saveexec_b64 s[30:31], vcc
	s_cbranch_execz .LBB4_899
; %bb.896:                              ;   in Loop: Header=BB4_356 Depth=4
	v_bfe_u32 v1, v8, 24, 7
	v_cmp_ne_u32_e32 vcc, s71, v1
	v_mov_b32_e32 v16, 0x7f800001
	s_and_saveexec_b64 s[34:35], vcc
	s_cbranch_execz .LBB4_898
; %bb.897:                              ;   in Loop: Header=BB4_356 Depth=4
	v_and_b32_e32 v16, 7, v2
	v_lshrrev_b32_e32 v18, 3, v1
	v_cmp_gt_u32_e32 vcc, 8, v1
	v_ffbh_u32_e32 v1, v16
	v_min_u32_e32 v1, 32, v1
	v_subrev_u32_e32 v36, 28, v1
	v_lshlrev_b64 v[50:51], v36, v[2:3]
	v_sub_u32_e32 v1, 29, v1
	v_and_b32_e32 v36, 7, v50
	v_cndmask_b32_e32 v1, v18, v1, vcc
	v_cndmask_b32_e32 v16, v16, v36, vcc
	v_lshlrev_b32_e32 v2, 24, v2
	v_lshlrev_b32_e32 v16, 20, v16
	v_and_b32_e32 v2, 0x80000000, v2
	v_lshl_add_u32 v1, v1, 23, v0
	v_or3_b32 v16, v2, v1, v16
.LBB4_898:                              ;   in Loop: Header=BB4_356 Depth=4
	s_or_b64 exec, exec, s[34:35]
.LBB4_899:                              ;   in Loop: Header=BB4_356 Depth=4
	s_or_b64 exec, exec, s[30:31]
.LBB4_900:                              ;   in Loop: Header=BB4_356 Depth=4
	s_or_b64 exec, exec, s[28:29]
	v_mul_f32_e32 v16, v17, v16
	v_and_b32_e32 v2, 0x7f800000, v16
	v_cmp_ne_u64_e32 vcc, s[62:63], v[2:3]
                                        ; implicit-def: $vgpr36
	s_and_saveexec_b64 s[28:29], vcc
	s_xor_b64 s[30:31], exec, s[28:29]
	s_cbranch_execz .LBB4_914
; %bb.901:                              ;   in Loop: Header=BB4_356 Depth=4
	v_and_b32_e32 v2, 0x7fffffff, v16
	v_cmp_gt_u64_e32 vcc, s[72:73], v[2:3]
	v_and_b32_sdwa v50, v16, s70 dst_sel:DWORD dst_unused:UNUSED_PAD src0_sel:BYTE_3 src1_sel:DWORD
                                        ; implicit-def: $vgpr36
	s_and_saveexec_b64 s[28:29], vcc
	s_xor_b64 s[34:35], exec, s[28:29]
	s_cbranch_execz .LBB4_911
; %bb.902:                              ;   in Loop: Header=BB4_356 Depth=4
	v_mov_b32_e32 v36, 0
	v_cmp_ne_u32_e32 vcc, 0, v16
	s_and_saveexec_b64 s[36:37], vcc
	s_cbranch_execz .LBB4_910
; %bb.903:                              ;   in Loop: Header=BB4_356 Depth=4
	v_bfe_u32 v36, v16, 23, 8
	v_cmp_gt_u32_e64 s[28:29], s80, v36
	v_sub_u32_e32 v2, 0x79, v36
	v_and_b32_e32 v1, 0x7fffff, v16
	v_cmp_eq_u32_e32 vcc, 0, v36
	v_cndmask_b32_e64 v2, 0, v2, s[28:29]
	v_mov_b32_e32 v17, 0x78
	v_or_b32_e32 v16, 0x800000, v1
	v_cndmask_b32_e32 v51, v2, v17, vcc
	v_cndmask_b32_e32 v2, v16, v1, vcc
	v_add_u32_e32 v1, 20, v51
	v_lshlrev_b64 v[16:17], v1, -1
	v_add_u32_e32 v1, 19, v51
	v_lshlrev_b64 v[56:57], v1, 1
	v_bfi_b32 v17, v17, 0, 0
	v_bfi_b32 v16, v16, 0, v2
	v_cmp_eq_u64_e64 s[28:29], v[16:17], v[56:57]
	v_lshrrev_b64 v[16:17], v51, v[2:3]
	v_mov_b32_e32 v18, v17
	v_mov_b32_e32 v17, v16
	s_and_saveexec_b64 s[38:39], s[28:29]
; %bb.904:                              ;   in Loop: Header=BB4_356 Depth=4
	v_bfe_u32 v1, v16, 20, 1
	v_add_co_u32_e64 v1, s[28:29], v16, v1
	v_add_co_u32_e64 v17, s[28:29], -1, v1
; %bb.905:                              ;   in Loop: Header=BB4_356 Depth=4
	s_or_b64 exec, exec, s[38:39]
	v_add_u32_e32 v1, 0xffffff81, v36
	v_mov_b32_e32 v2, 0xffffff82
	v_cndmask_b32_e32 v1, v1, v2, vcc
	v_lshrrev_b32_e32 v2, 23, v16
	v_add3_u32 v36, v51, v1, v2
	v_add_u32_e32 v18, 6, v36
	v_and_b32_e32 v1, 0xfffff, v17
	v_add_u32_e32 v2, v1, v16
	v_cmp_ne_u32_e32 vcc, 0, v18
                                        ; implicit-def: $vgpr16_vgpr17
                                        ; implicit-def: $vgpr1
	s_and_saveexec_b64 s[28:29], vcc
	s_xor_b64 s[28:29], exec, s[28:29]
; %bb.906:                              ;   in Loop: Header=BB4_356 Depth=4
	v_cmp_lt_u64_e32 vcc, s[88:89], v[2:3]
	v_add_u32_e32 v1, 7, v36
	v_cndmask_b32_e64 v16, 0, 1, vcc
	v_lshrrev_b64 v[16:17], v16, v[2:3]
	v_cndmask_b32_e32 v1, v18, v1, vcc
; %bb.907:                              ;   in Loop: Header=BB4_356 Depth=4
	s_andn2_saveexec_b64 s[28:29], s[28:29]
; %bb.908:                              ;   in Loop: Header=BB4_356 Depth=4
	v_mov_b32_e32 v17, v3
	v_bfe_u32 v1, v2, 23, 1
	v_mov_b32_e32 v16, v2
; %bb.909:                              ;   in Loop: Header=BB4_356 Depth=4
	s_or_b64 exec, exec, s[28:29]
	v_lshrrev_b64 v[16:17], 20, v[16:17]
	v_cmp_gt_i32_e32 vcc, 16, v1
	v_cndmask_b32_e32 v17, 0, v17, vcc
	v_cndmask_b32_e32 v16, 7, v16, vcc
	v_cmp_eq_u32_e32 vcc, 0, v1
	v_min_i32_e32 v1, 15, v1
	v_cmp_eq_u64_e64 s[28:29], 0, v[16:17]
	v_lshlrev_b32_e32 v1, 3, v1
	v_and_b32_e32 v1, 0xf8, v1
	v_and_or_b32 v1, v16, 7, v1
	s_and_b64 s[28:29], vcc, s[28:29]
	v_cndmask_b32_e64 v1, v1, 0, s[28:29]
	v_or_b32_e32 v36, v1, v50
.LBB4_910:                              ;   in Loop: Header=BB4_356 Depth=4
	s_or_b64 exec, exec, s[36:37]
                                        ; implicit-def: $vgpr50
.LBB4_911:                              ;   in Loop: Header=BB4_356 Depth=4
	s_andn2_saveexec_b64 s[28:29], s[34:35]
; %bb.912:                              ;   in Loop: Header=BB4_356 Depth=4
	v_or_b32_e32 v36, 0x7e, v50
; %bb.913:                              ;   in Loop: Header=BB4_356 Depth=4
	s_or_b64 exec, exec, s[28:29]
                                        ; implicit-def: $vgpr16
.LBB4_914:                              ;   in Loop: Header=BB4_356 Depth=4
	s_andn2_saveexec_b64 s[28:29], s[30:31]
; %bb.915:                              ;   in Loop: Header=BB4_356 Depth=4
	v_or_b32_sdwa v36, v16, s71 dst_sel:DWORD dst_unused:UNUSED_PAD src0_sel:BYTE_3 src1_sel:DWORD
; %bb.916:                              ;   in Loop: Header=BB4_356 Depth=4
	s_or_b64 exec, exec, s[28:29]
	v_mov_b32_e32 v2, v13
	v_cmp_ne_u16_sdwa s[44:45], v13, v3 src0_sel:BYTE_0 src1_sel:DWORD
	v_mov_b32_e32 v17, 0
	v_mov_b32_e32 v16, 0
	s_and_saveexec_b64 s[28:29], s[44:45]
	s_cbranch_execz .LBB4_922
; %bb.917:                              ;   in Loop: Header=BB4_356 Depth=4
	v_cmp_ne_u16_sdwa s[44:45], v13, s70 src0_sel:BYTE_0 src1_sel:DWORD
	v_bfrev_b32_e32 v16, 1
	s_and_saveexec_b64 s[30:31], s[44:45]
	s_cbranch_execz .LBB4_921
; %bb.918:                              ;   in Loop: Header=BB4_356 Depth=4
	v_and_b32_e32 v1, 0x7f, v13
	v_cmp_ne_u32_e32 vcc, s71, v1
	v_mov_b32_e32 v16, 0x7f800001
	s_and_saveexec_b64 s[34:35], vcc
	s_cbranch_execz .LBB4_920
; %bb.919:                              ;   in Loop: Header=BB4_356 Depth=4
	v_and_b32_e32 v16, 7, v13
	v_lshrrev_b32_e32 v18, 3, v1
	v_cmp_gt_u32_e32 vcc, 8, v1
	v_ffbh_u32_e32 v1, v16
	v_min_u32_e32 v1, 32, v1
	v_subrev_u32_e32 v16, 28, v1
	v_cndmask_b32_e32 v16, 0, v16, vcc
	v_lshlrev_b64 v[50:51], v16, v[2:3]
	v_sub_u32_e32 v1, 29, v1
	v_cndmask_b32_e32 v1, v18, v1, vcc
	v_lshlrev_b32_e32 v16, 20, v50
	v_lshlrev_b32_e32 v18, 24, v2
	v_and_b32_e32 v16, 0x700000, v16
	v_and_b32_e32 v18, 0x80000000, v18
	v_lshl_add_u32 v1, v1, 23, v0
	v_or3_b32 v16, v18, v1, v16
.LBB4_920:                              ;   in Loop: Header=BB4_356 Depth=4
	s_or_b64 exec, exec, s[34:35]
.LBB4_921:                              ;   in Loop: Header=BB4_356 Depth=4
	s_or_b64 exec, exec, s[30:31]
.LBB4_922:                              ;   in Loop: Header=BB4_356 Depth=4
	s_or_b64 exec, exec, s[28:29]
	v_cmp_ne_u16_sdwa s[44:45], v9, v3 src0_sel:BYTE_0 src1_sel:DWORD
	s_and_saveexec_b64 s[28:29], s[44:45]
	s_cbranch_execz .LBB4_928
; %bb.923:                              ;   in Loop: Header=BB4_356 Depth=4
	v_cmp_ne_u16_sdwa s[44:45], v9, s70 src0_sel:BYTE_0 src1_sel:DWORD
	v_bfrev_b32_e32 v17, 1
	s_and_saveexec_b64 s[30:31], s[44:45]
	s_cbranch_execz .LBB4_927
; %bb.924:                              ;   in Loop: Header=BB4_356 Depth=4
	v_and_b32_e32 v1, 0x7f, v9
	v_cmp_ne_u32_e32 vcc, s71, v1
	v_mov_b32_e32 v17, 0x7f800001
	s_and_saveexec_b64 s[34:35], vcc
	s_cbranch_execz .LBB4_926
; %bb.925:                              ;   in Loop: Header=BB4_356 Depth=4
	v_and_b32_e32 v50, 7, v9
	v_lshrrev_b32_e32 v51, 3, v1
	v_cmp_gt_u32_e32 vcc, 8, v1
	v_ffbh_u32_e32 v1, v50
	v_min_u32_e32 v1, 32, v1
	v_subrev_u32_e32 v50, 28, v1
	v_mov_b32_e32 v17, v9
	v_mov_b32_e32 v18, v3
	v_sub_u32_e32 v1, 29, v1
	v_cndmask_b32_e32 v50, 0, v50, vcc
	v_cndmask_b32_e32 v1, v51, v1, vcc
	v_lshlrev_b64 v[50:51], v50, v[17:18]
	v_lshlrev_b32_e32 v17, 24, v17
	v_lshlrev_b32_e32 v18, 20, v50
	v_and_b32_e32 v18, 0x700000, v18
	v_and_b32_e32 v17, 0x80000000, v17
	v_lshl_add_u32 v1, v1, 23, v0
	v_or3_b32 v17, v17, v1, v18
.LBB4_926:                              ;   in Loop: Header=BB4_356 Depth=4
	s_or_b64 exec, exec, s[34:35]
.LBB4_927:                              ;   in Loop: Header=BB4_356 Depth=4
	s_or_b64 exec, exec, s[30:31]
.LBB4_928:                              ;   in Loop: Header=BB4_356 Depth=4
	s_or_b64 exec, exec, s[28:29]
	v_mul_f32_e32 v16, v16, v17
	v_and_b32_e32 v17, 0x7f800000, v16
	v_mov_b32_e32 v18, v3
	v_cmp_ne_u64_e32 vcc, s[62:63], v[17:18]
                                        ; implicit-def: $vgpr45
	s_and_saveexec_b64 s[28:29], vcc
	s_xor_b64 s[30:31], exec, s[28:29]
	s_cbranch_execz .LBB4_942
; %bb.929:                              ;   in Loop: Header=BB4_356 Depth=4
	v_and_b32_e32 v17, 0x7fffffff, v16
	v_mov_b32_e32 v18, v3
	v_cmp_gt_u64_e32 vcc, s[72:73], v[17:18]
	v_and_b32_sdwa v50, v16, s70 dst_sel:DWORD dst_unused:UNUSED_PAD src0_sel:BYTE_3 src1_sel:DWORD
                                        ; implicit-def: $vgpr45
	s_and_saveexec_b64 s[28:29], vcc
	s_xor_b64 s[34:35], exec, s[28:29]
	s_cbranch_execz .LBB4_939
; %bb.930:                              ;   in Loop: Header=BB4_356 Depth=4
	v_mov_b32_e32 v45, 0
	v_cmp_ne_u32_e32 vcc, 0, v16
	s_and_saveexec_b64 s[36:37], vcc
	s_cbranch_execz .LBB4_938
; %bb.931:                              ;   in Loop: Header=BB4_356 Depth=4
	v_bfe_u32 v51, v16, 23, 8
	v_and_b32_e32 v1, 0x7fffff, v16
	v_cmp_gt_u32_e64 s[28:29], s80, v51
	v_sub_u32_e32 v16, 0x79, v51
	v_cmp_eq_u32_e32 vcc, 0, v51
	v_cndmask_b32_e64 v16, 0, v16, s[28:29]
	v_mov_b32_e32 v18, 0x78
	v_or_b32_e32 v17, 0x800000, v1
	v_cndmask_b32_e32 v43, v16, v18, vcc
	v_cndmask_b32_e32 v16, v17, v1, vcc
	v_add_u32_e32 v1, 20, v43
	v_lshlrev_b64 v[56:57], v1, -1
	v_mov_b32_e32 v17, v3
	v_add_u32_e32 v1, 19, v43
	v_bfi_b32 v56, v56, 0, v16
	v_lshlrev_b64 v[58:59], v1, 1
	v_lshrrev_b64 v[16:17], v43, v[16:17]
	v_bfi_b32 v57, v57, 0, 0
	v_cmp_eq_u64_e64 s[28:29], v[56:57], v[58:59]
	v_mov_b32_e32 v18, v17
	v_mov_b32_e32 v17, v16
	s_and_saveexec_b64 s[38:39], s[28:29]
; %bb.932:                              ;   in Loop: Header=BB4_356 Depth=4
	v_bfe_u32 v1, v16, 20, 1
	v_add_co_u32_e64 v1, s[28:29], v16, v1
	v_add_co_u32_e64 v17, s[28:29], -1, v1
; %bb.933:                              ;   in Loop: Header=BB4_356 Depth=4
	s_or_b64 exec, exec, s[38:39]
	v_add_u32_e32 v1, 0xffffff81, v51
	v_mov_b32_e32 v18, 0xffffff82
	v_cndmask_b32_e32 v1, v1, v18, vcc
	v_lshrrev_b32_e32 v18, 23, v16
	v_add3_u32 v51, v43, v1, v18
	v_add_u32_e32 v18, 6, v51
	v_and_b32_e32 v1, 0xfffff, v17
	v_add_u32_e32 v16, v1, v16
	v_mov_b32_e32 v17, v3
	v_cmp_ne_u32_e32 vcc, 0, v18
                                        ; implicit-def: $vgpr1
	s_and_saveexec_b64 s[28:29], vcc
	s_xor_b64 s[28:29], exec, s[28:29]
; %bb.934:                              ;   in Loop: Header=BB4_356 Depth=4
	v_cmp_lt_u64_e32 vcc, s[88:89], v[16:17]
	v_add_u32_e32 v1, 7, v51
	v_cndmask_b32_e32 v1, v18, v1, vcc
	v_cndmask_b32_e64 v18, 0, 1, vcc
	v_lshrrev_b64 v[16:17], v18, v[16:17]
; %bb.935:                              ;   in Loop: Header=BB4_356 Depth=4
	s_andn2_saveexec_b64 s[28:29], s[28:29]
; %bb.936:                              ;   in Loop: Header=BB4_356 Depth=4
	v_bfe_u32 v1, v16, 23, 1
; %bb.937:                              ;   in Loop: Header=BB4_356 Depth=4
	s_or_b64 exec, exec, s[28:29]
	v_lshrrev_b64 v[16:17], 20, v[16:17]
	v_cmp_gt_i32_e32 vcc, 16, v1
	v_cndmask_b32_e32 v17, 0, v17, vcc
	v_cndmask_b32_e32 v16, 7, v16, vcc
	v_cmp_eq_u32_e32 vcc, 0, v1
	v_min_i32_e32 v1, 15, v1
	v_cmp_eq_u64_e64 s[28:29], 0, v[16:17]
	v_lshlrev_b32_e32 v1, 3, v1
	v_and_b32_e32 v1, 0xf8, v1
	v_and_or_b32 v1, v16, 7, v1
	s_and_b64 s[28:29], vcc, s[28:29]
	v_cndmask_b32_e64 v1, v1, 0, s[28:29]
	v_or_b32_e32 v45, v1, v50
.LBB4_938:                              ;   in Loop: Header=BB4_356 Depth=4
	s_or_b64 exec, exec, s[36:37]
                                        ; implicit-def: $vgpr50
.LBB4_939:                              ;   in Loop: Header=BB4_356 Depth=4
	s_andn2_saveexec_b64 s[28:29], s[34:35]
; %bb.940:                              ;   in Loop: Header=BB4_356 Depth=4
	v_or_b32_e32 v45, 0x7e, v50
; %bb.941:                              ;   in Loop: Header=BB4_356 Depth=4
	s_or_b64 exec, exec, s[28:29]
                                        ; implicit-def: $vgpr16
.LBB4_942:                              ;   in Loop: Header=BB4_356 Depth=4
	s_andn2_saveexec_b64 s[28:29], s[30:31]
; %bb.943:                              ;   in Loop: Header=BB4_356 Depth=4
	v_or_b32_sdwa v45, v16, s71 dst_sel:DWORD dst_unused:UNUSED_PAD src0_sel:BYTE_3 src1_sel:DWORD
; %bb.944:                              ;   in Loop: Header=BB4_356 Depth=4
	s_or_b64 exec, exec, s[28:29]
	v_lshrrev_b16_e32 v16, 8, v2
	v_cmp_ne_u16_e32 vcc, 0, v16
	v_mov_b32_e32 v17, 0
	v_mov_b32_e32 v18, 0
	s_and_saveexec_b64 s[28:29], vcc
	s_cbranch_execz .LBB4_950
; %bb.945:                              ;   in Loop: Header=BB4_356 Depth=4
	v_cmp_ne_u16_e32 vcc, s70, v16
	v_bfrev_b32_e32 v18, 1
	s_and_saveexec_b64 s[30:31], vcc
	s_cbranch_execz .LBB4_949
; %bb.946:                              ;   in Loop: Header=BB4_356 Depth=4
	v_and_b32_e32 v1, 0x7f, v16
	v_cmp_ne_u32_e32 vcc, s71, v1
	v_mov_b32_e32 v18, 0x7f800001
	s_and_saveexec_b64 s[34:35], vcc
	s_cbranch_execz .LBB4_948
; %bb.947:                              ;   in Loop: Header=BB4_356 Depth=4
	v_and_b32_e32 v18, 7, v16
	v_lshrrev_b32_e32 v40, 3, v1
	v_cmp_gt_u32_e32 vcc, 8, v1
	v_ffbh_u32_e32 v1, v18
	v_min_u32_e32 v1, 32, v1
	v_subrev_u32_e32 v50, 28, v1
	v_lshlrev_b64 v[50:51], v50, v[16:17]
	v_sub_u32_e32 v1, 29, v1
	v_and_b32_e32 v16, 7, v50
	v_cndmask_b32_e32 v1, v40, v1, vcc
	v_cndmask_b32_e32 v16, v18, v16, vcc
	v_lshlrev_b32_e32 v2, 16, v2
	v_lshlrev_b32_e32 v16, 20, v16
	v_and_b32_e32 v2, 0x80000000, v2
	v_lshl_add_u32 v1, v1, 23, v0
	v_or3_b32 v18, v2, v1, v16
.LBB4_948:                              ;   in Loop: Header=BB4_356 Depth=4
	s_or_b64 exec, exec, s[34:35]
.LBB4_949:                              ;   in Loop: Header=BB4_356 Depth=4
	s_or_b64 exec, exec, s[30:31]
.LBB4_950:                              ;   in Loop: Header=BB4_356 Depth=4
	s_or_b64 exec, exec, s[28:29]
	v_lshrrev_b16_e32 v2, 8, v9
	v_cmp_ne_u16_e32 vcc, 0, v2
	s_and_saveexec_b64 s[28:29], vcc
	s_cbranch_execz .LBB4_956
; %bb.951:                              ;   in Loop: Header=BB4_356 Depth=4
	v_cmp_ne_u16_e32 vcc, s70, v2
	v_bfrev_b32_e32 v17, 1
	s_and_saveexec_b64 s[30:31], vcc
	s_cbranch_execz .LBB4_955
; %bb.952:                              ;   in Loop: Header=BB4_356 Depth=4
	v_and_b32_e32 v1, 0x7f, v2
	v_cmp_ne_u32_e32 vcc, s71, v1
	v_mov_b32_e32 v17, 0x7f800001
	s_and_saveexec_b64 s[34:35], vcc
	s_cbranch_execz .LBB4_954
; %bb.953:                              ;   in Loop: Header=BB4_356 Depth=4
	v_and_b32_e32 v16, 7, v2
	v_lshrrev_b32_e32 v17, 3, v1
	v_cmp_gt_u32_e32 vcc, 8, v1
	v_ffbh_u32_e32 v1, v16
	v_min_u32_e32 v50, 32, v1
	v_subrev_u32_e32 v1, 28, v50
	v_lshlrev_b64 v[1:2], v1, v[2:3]
	v_sub_u32_e32 v2, 29, v50
	v_and_b32_e32 v1, 7, v1
	v_cndmask_b32_e32 v2, v17, v2, vcc
	v_cndmask_b32_e32 v1, v16, v1, vcc
	v_lshlrev_b32_e32 v16, 16, v9
	v_lshlrev_b32_e32 v1, 20, v1
	v_and_b32_e32 v16, 0x80000000, v16
	v_lshl_add_u32 v2, v2, 23, v0
	v_or3_b32 v17, v16, v2, v1
.LBB4_954:                              ;   in Loop: Header=BB4_356 Depth=4
	s_or_b64 exec, exec, s[34:35]
.LBB4_955:                              ;   in Loop: Header=BB4_356 Depth=4
	s_or_b64 exec, exec, s[30:31]
.LBB4_956:                              ;   in Loop: Header=BB4_356 Depth=4
	s_or_b64 exec, exec, s[28:29]
	v_mul_f32_e32 v16, v18, v17
	v_and_b32_e32 v2, 0x7f800000, v16
	v_cmp_ne_u64_e32 vcc, s[62:63], v[2:3]
                                        ; implicit-def: $vgpr56
	s_and_saveexec_b64 s[28:29], vcc
	s_xor_b64 s[30:31], exec, s[28:29]
	s_cbranch_execz .LBB4_970
; %bb.957:                              ;   in Loop: Header=BB4_356 Depth=4
	v_and_b32_e32 v2, 0x7fffffff, v16
	v_cmp_gt_u64_e32 vcc, s[72:73], v[2:3]
	v_and_b32_sdwa v50, v16, s70 dst_sel:DWORD dst_unused:UNUSED_PAD src0_sel:BYTE_3 src1_sel:DWORD
                                        ; implicit-def: $vgpr56
	s_and_saveexec_b64 s[28:29], vcc
	s_xor_b64 s[34:35], exec, s[28:29]
	s_cbranch_execz .LBB4_967
; %bb.958:                              ;   in Loop: Header=BB4_356 Depth=4
	v_mov_b32_e32 v56, 0
	v_cmp_ne_u32_e32 vcc, 0, v16
	s_and_saveexec_b64 s[36:37], vcc
	s_cbranch_execz .LBB4_966
; %bb.959:                              ;   in Loop: Header=BB4_356 Depth=4
	v_bfe_u32 v51, v16, 23, 8
	v_cmp_gt_u32_e64 s[28:29], s80, v51
	v_sub_u32_e32 v2, 0x79, v51
	v_and_b32_e32 v1, 0x7fffff, v16
	v_cmp_eq_u32_e32 vcc, 0, v51
	v_cndmask_b32_e64 v2, 0, v2, s[28:29]
	v_mov_b32_e32 v17, 0x78
	v_or_b32_e32 v16, 0x800000, v1
	v_cndmask_b32_e32 v43, v2, v17, vcc
	v_cndmask_b32_e32 v2, v16, v1, vcc
	v_add_u32_e32 v1, 20, v43
	v_lshlrev_b64 v[16:17], v1, -1
	v_add_u32_e32 v1, 19, v43
	v_lshlrev_b64 v[56:57], v1, 1
	v_bfi_b32 v17, v17, 0, 0
	v_bfi_b32 v16, v16, 0, v2
	v_cmp_eq_u64_e64 s[28:29], v[16:17], v[56:57]
	v_lshrrev_b64 v[16:17], v43, v[2:3]
	v_mov_b32_e32 v18, v17
	v_mov_b32_e32 v17, v16
	s_and_saveexec_b64 s[38:39], s[28:29]
; %bb.960:                              ;   in Loop: Header=BB4_356 Depth=4
	v_bfe_u32 v1, v16, 20, 1
	v_add_co_u32_e64 v1, s[28:29], v16, v1
	v_add_co_u32_e64 v17, s[28:29], -1, v1
; %bb.961:                              ;   in Loop: Header=BB4_356 Depth=4
	s_or_b64 exec, exec, s[38:39]
	v_add_u32_e32 v1, 0xffffff81, v51
	v_mov_b32_e32 v2, 0xffffff82
	v_cndmask_b32_e32 v1, v1, v2, vcc
	v_lshrrev_b32_e32 v2, 23, v16
	v_add3_u32 v51, v43, v1, v2
	v_add_u32_e32 v18, 6, v51
	v_and_b32_e32 v1, 0xfffff, v17
	v_add_u32_e32 v2, v1, v16
	v_cmp_ne_u32_e32 vcc, 0, v18
                                        ; implicit-def: $vgpr16_vgpr17
                                        ; implicit-def: $vgpr1
	s_and_saveexec_b64 s[28:29], vcc
	s_xor_b64 s[28:29], exec, s[28:29]
; %bb.962:                              ;   in Loop: Header=BB4_356 Depth=4
	v_cmp_lt_u64_e32 vcc, s[88:89], v[2:3]
	v_add_u32_e32 v1, 7, v51
	v_cndmask_b32_e64 v16, 0, 1, vcc
	v_lshrrev_b64 v[16:17], v16, v[2:3]
	v_cndmask_b32_e32 v1, v18, v1, vcc
; %bb.963:                              ;   in Loop: Header=BB4_356 Depth=4
	s_andn2_saveexec_b64 s[28:29], s[28:29]
; %bb.964:                              ;   in Loop: Header=BB4_356 Depth=4
	v_mov_b32_e32 v17, v3
	v_bfe_u32 v1, v2, 23, 1
	v_mov_b32_e32 v16, v2
; %bb.965:                              ;   in Loop: Header=BB4_356 Depth=4
	s_or_b64 exec, exec, s[28:29]
	v_lshrrev_b64 v[16:17], 20, v[16:17]
	v_cmp_gt_i32_e32 vcc, 16, v1
	v_cndmask_b32_e32 v17, 0, v17, vcc
	v_cndmask_b32_e32 v16, 7, v16, vcc
	v_cmp_eq_u32_e32 vcc, 0, v1
	v_min_i32_e32 v1, 15, v1
	v_cmp_eq_u64_e64 s[28:29], 0, v[16:17]
	v_lshlrev_b32_e32 v1, 3, v1
	v_and_b32_e32 v1, 0xf8, v1
	v_and_or_b32 v1, v16, 7, v1
	s_and_b64 s[28:29], vcc, s[28:29]
	v_cndmask_b32_e64 v1, v1, 0, s[28:29]
	v_or_b32_e32 v56, v1, v50
.LBB4_966:                              ;   in Loop: Header=BB4_356 Depth=4
	s_or_b64 exec, exec, s[36:37]
                                        ; implicit-def: $vgpr50
.LBB4_967:                              ;   in Loop: Header=BB4_356 Depth=4
	s_andn2_saveexec_b64 s[28:29], s[34:35]
; %bb.968:                              ;   in Loop: Header=BB4_356 Depth=4
	v_or_b32_e32 v56, 0x7e, v50
; %bb.969:                              ;   in Loop: Header=BB4_356 Depth=4
	s_or_b64 exec, exec, s[28:29]
                                        ; implicit-def: $vgpr16
.LBB4_970:                              ;   in Loop: Header=BB4_356 Depth=4
	s_andn2_saveexec_b64 s[28:29], s[30:31]
; %bb.971:                              ;   in Loop: Header=BB4_356 Depth=4
	v_or_b32_sdwa v56, v16, s71 dst_sel:DWORD dst_unused:UNUSED_PAD src0_sel:BYTE_3 src1_sel:DWORD
; %bb.972:                              ;   in Loop: Header=BB4_356 Depth=4
	s_or_b64 exec, exec, s[28:29]
	v_lshrrev_b32_e32 v2, 16, v13
	v_cmp_ne_u16_sdwa s[44:45], v2, v3 src0_sel:BYTE_0 src1_sel:DWORD
	v_mov_b32_e32 v16, 0
	v_mov_b32_e32 v17, 0
	s_and_saveexec_b64 s[28:29], s[44:45]
	s_cbranch_execz .LBB4_978
; %bb.973:                              ;   in Loop: Header=BB4_356 Depth=4
	v_cmp_ne_u16_sdwa s[44:45], v2, s70 src0_sel:BYTE_0 src1_sel:DWORD
	v_bfrev_b32_e32 v17, 1
	s_and_saveexec_b64 s[30:31], s[44:45]
	s_cbranch_execz .LBB4_977
; %bb.974:                              ;   in Loop: Header=BB4_356 Depth=4
	v_bfe_u32 v1, v13, 16, 7
	v_cmp_ne_u32_e32 vcc, s71, v1
	v_mov_b32_e32 v17, 0x7f800001
	s_and_saveexec_b64 s[34:35], vcc
	s_cbranch_execz .LBB4_976
; %bb.975:                              ;   in Loop: Header=BB4_356 Depth=4
	v_and_b32_e32 v50, 7, v2
	v_lshrrev_b32_e32 v51, 3, v1
	v_cmp_gt_u32_e32 vcc, 8, v1
	v_ffbh_u32_e32 v1, v50
	v_min_u32_e32 v1, 32, v1
	v_subrev_u32_e32 v17, 28, v1
	v_lshlrev_b64 v[17:18], v17, v[2:3]
	v_sub_u32_e32 v1, 29, v1
	v_and_b32_e32 v17, 7, v17
	v_cndmask_b32_e32 v1, v51, v1, vcc
	v_cndmask_b32_e32 v17, v50, v17, vcc
	v_lshlrev_b32_e32 v2, 24, v2
	v_lshlrev_b32_e32 v17, 20, v17
	v_and_b32_e32 v2, 0x80000000, v2
	v_lshl_add_u32 v1, v1, 23, v0
	v_or3_b32 v17, v2, v1, v17
.LBB4_976:                              ;   in Loop: Header=BB4_356 Depth=4
	s_or_b64 exec, exec, s[34:35]
.LBB4_977:                              ;   in Loop: Header=BB4_356 Depth=4
	s_or_b64 exec, exec, s[30:31]
.LBB4_978:                              ;   in Loop: Header=BB4_356 Depth=4
	s_or_b64 exec, exec, s[28:29]
	v_lshrrev_b32_e32 v2, 16, v9
	v_cmp_ne_u16_sdwa s[44:45], v2, v3 src0_sel:BYTE_0 src1_sel:DWORD
	s_and_saveexec_b64 s[28:29], s[44:45]
	s_cbranch_execz .LBB4_984
; %bb.979:                              ;   in Loop: Header=BB4_356 Depth=4
	v_cmp_ne_u16_sdwa s[44:45], v2, s70 src0_sel:BYTE_0 src1_sel:DWORD
	v_bfrev_b32_e32 v16, 1
	s_and_saveexec_b64 s[30:31], s[44:45]
	s_cbranch_execz .LBB4_983
; %bb.980:                              ;   in Loop: Header=BB4_356 Depth=4
	v_bfe_u32 v1, v9, 16, 7
	v_cmp_ne_u32_e32 vcc, s71, v1
	v_mov_b32_e32 v16, 0x7f800001
	s_and_saveexec_b64 s[34:35], vcc
	s_cbranch_execz .LBB4_982
; %bb.981:                              ;   in Loop: Header=BB4_356 Depth=4
	v_and_b32_e32 v16, 7, v2
	v_lshrrev_b32_e32 v18, 3, v1
	v_cmp_gt_u32_e32 vcc, 8, v1
	v_ffbh_u32_e32 v1, v16
	v_min_u32_e32 v50, 32, v1
	v_subrev_u32_e32 v1, 28, v50
	v_lshlrev_b64 v[1:2], v1, v[2:3]
	v_sub_u32_e32 v2, 29, v50
	v_and_b32_e32 v1, 7, v1
	v_cndmask_b32_e32 v2, v18, v2, vcc
	v_cndmask_b32_e32 v1, v16, v1, vcc
	v_lshlrev_b32_e32 v16, 8, v9
	v_lshlrev_b32_e32 v1, 20, v1
	v_and_b32_e32 v16, 0x80000000, v16
	v_lshl_add_u32 v2, v2, 23, v0
	v_or3_b32 v16, v16, v2, v1
.LBB4_982:                              ;   in Loop: Header=BB4_356 Depth=4
	s_or_b64 exec, exec, s[34:35]
.LBB4_983:                              ;   in Loop: Header=BB4_356 Depth=4
	s_or_b64 exec, exec, s[30:31]
.LBB4_984:                              ;   in Loop: Header=BB4_356 Depth=4
	s_or_b64 exec, exec, s[28:29]
	v_mul_f32_e32 v17, v17, v16
	v_and_b32_e32 v2, 0x7f800000, v17
	v_cmp_ne_u64_e32 vcc, s[62:63], v[2:3]
                                        ; implicit-def: $vgpr16
	s_and_saveexec_b64 s[28:29], vcc
	s_xor_b64 s[30:31], exec, s[28:29]
	s_cbranch_execz .LBB4_998
; %bb.985:                              ;   in Loop: Header=BB4_356 Depth=4
	v_and_b32_e32 v2, 0x7fffffff, v17
	v_cmp_gt_u64_e32 vcc, s[72:73], v[2:3]
	v_and_b32_sdwa v50, v17, s70 dst_sel:DWORD dst_unused:UNUSED_PAD src0_sel:BYTE_3 src1_sel:DWORD
                                        ; implicit-def: $vgpr16
	s_and_saveexec_b64 s[28:29], vcc
	s_xor_b64 s[34:35], exec, s[28:29]
	s_cbranch_execz .LBB4_995
; %bb.986:                              ;   in Loop: Header=BB4_356 Depth=4
	v_mov_b32_e32 v16, 0
	v_cmp_ne_u32_e32 vcc, 0, v17
	s_and_saveexec_b64 s[36:37], vcc
	s_cbranch_execz .LBB4_994
; %bb.987:                              ;   in Loop: Header=BB4_356 Depth=4
	v_bfe_u32 v51, v17, 23, 8
	v_cmp_gt_u32_e64 s[28:29], s80, v51
	v_sub_u32_e32 v2, 0x79, v51
	v_and_b32_e32 v1, 0x7fffff, v17
	v_cmp_eq_u32_e32 vcc, 0, v51
	v_cndmask_b32_e64 v2, 0, v2, s[28:29]
	v_mov_b32_e32 v17, 0x78
	v_or_b32_e32 v16, 0x800000, v1
	v_cndmask_b32_e32 v43, v2, v17, vcc
	v_cndmask_b32_e32 v2, v16, v1, vcc
	v_add_u32_e32 v1, 20, v43
	v_lshlrev_b64 v[16:17], v1, -1
	v_add_u32_e32 v1, 19, v43
	v_lshlrev_b64 v[57:58], v1, 1
	v_bfi_b32 v17, v17, 0, 0
	v_bfi_b32 v16, v16, 0, v2
	v_cmp_eq_u64_e64 s[28:29], v[16:17], v[57:58]
	v_lshrrev_b64 v[16:17], v43, v[2:3]
	v_mov_b32_e32 v18, v17
	v_mov_b32_e32 v17, v16
	s_and_saveexec_b64 s[38:39], s[28:29]
; %bb.988:                              ;   in Loop: Header=BB4_356 Depth=4
	v_bfe_u32 v1, v16, 20, 1
	v_add_co_u32_e64 v1, s[28:29], v16, v1
	v_add_co_u32_e64 v17, s[28:29], -1, v1
; %bb.989:                              ;   in Loop: Header=BB4_356 Depth=4
	s_or_b64 exec, exec, s[38:39]
	v_add_u32_e32 v1, 0xffffff81, v51
	v_mov_b32_e32 v2, 0xffffff82
	v_cndmask_b32_e32 v1, v1, v2, vcc
	v_lshrrev_b32_e32 v2, 23, v16
	v_add3_u32 v51, v43, v1, v2
	v_add_u32_e32 v18, 6, v51
	v_and_b32_e32 v1, 0xfffff, v17
	v_add_u32_e32 v2, v1, v16
	v_cmp_ne_u32_e32 vcc, 0, v18
                                        ; implicit-def: $vgpr16_vgpr17
                                        ; implicit-def: $vgpr1
	s_and_saveexec_b64 s[28:29], vcc
	s_xor_b64 s[28:29], exec, s[28:29]
; %bb.990:                              ;   in Loop: Header=BB4_356 Depth=4
	v_cmp_lt_u64_e32 vcc, s[88:89], v[2:3]
	v_add_u32_e32 v1, 7, v51
	v_cndmask_b32_e64 v16, 0, 1, vcc
	v_lshrrev_b64 v[16:17], v16, v[2:3]
	v_cndmask_b32_e32 v1, v18, v1, vcc
; %bb.991:                              ;   in Loop: Header=BB4_356 Depth=4
	s_andn2_saveexec_b64 s[28:29], s[28:29]
; %bb.992:                              ;   in Loop: Header=BB4_356 Depth=4
	v_mov_b32_e32 v17, v3
	v_bfe_u32 v1, v2, 23, 1
	v_mov_b32_e32 v16, v2
; %bb.993:                              ;   in Loop: Header=BB4_356 Depth=4
	s_or_b64 exec, exec, s[28:29]
	v_lshrrev_b64 v[16:17], 20, v[16:17]
	v_cmp_gt_i32_e32 vcc, 16, v1
	v_cndmask_b32_e32 v17, 0, v17, vcc
	v_cndmask_b32_e32 v16, 7, v16, vcc
	v_cmp_eq_u32_e32 vcc, 0, v1
	v_min_i32_e32 v1, 15, v1
	v_cmp_eq_u64_e64 s[28:29], 0, v[16:17]
	v_lshlrev_b32_e32 v1, 3, v1
	v_and_b32_e32 v1, 0xf8, v1
	v_and_or_b32 v1, v16, 7, v1
	s_and_b64 s[28:29], vcc, s[28:29]
	v_cndmask_b32_e64 v1, v1, 0, s[28:29]
	v_or_b32_e32 v16, v1, v50
.LBB4_994:                              ;   in Loop: Header=BB4_356 Depth=4
	s_or_b64 exec, exec, s[36:37]
                                        ; implicit-def: $vgpr50
.LBB4_995:                              ;   in Loop: Header=BB4_356 Depth=4
	s_andn2_saveexec_b64 s[28:29], s[34:35]
; %bb.996:                              ;   in Loop: Header=BB4_356 Depth=4
	v_or_b32_e32 v16, 0x7e, v50
; %bb.997:                              ;   in Loop: Header=BB4_356 Depth=4
	s_or_b64 exec, exec, s[28:29]
                                        ; implicit-def: $vgpr17
.LBB4_998:                              ;   in Loop: Header=BB4_356 Depth=4
	s_andn2_saveexec_b64 s[28:29], s[30:31]
; %bb.999:                              ;   in Loop: Header=BB4_356 Depth=4
	v_or_b32_sdwa v16, v17, s71 dst_sel:DWORD dst_unused:UNUSED_PAD src0_sel:BYTE_3 src1_sel:DWORD
; %bb.1000:                             ;   in Loop: Header=BB4_356 Depth=4
	s_or_b64 exec, exec, s[28:29]
	v_cmp_lt_u64_e32 vcc, s[56:57], v[12:13]
	v_mov_b32_e32 v12, 0
	v_mov_b32_e32 v17, 0
	s_and_saveexec_b64 s[28:29], vcc
	s_cbranch_execz .LBB4_1006
; %bb.1001:                             ;   in Loop: Header=BB4_356 Depth=4
	v_lshrrev_b32_e32 v2, 24, v13
	v_cmp_ne_u32_e32 vcc, s70, v2
	v_bfrev_b32_e32 v17, 1
	s_and_saveexec_b64 s[30:31], vcc
	s_cbranch_execz .LBB4_1005
; %bb.1002:                             ;   in Loop: Header=BB4_356 Depth=4
	v_bfe_u32 v1, v13, 24, 7
	v_cmp_ne_u32_e32 vcc, s71, v1
	v_mov_b32_e32 v17, 0x7f800001
	s_and_saveexec_b64 s[34:35], vcc
	s_cbranch_execz .LBB4_1004
; %bb.1003:                             ;   in Loop: Header=BB4_356 Depth=4
	v_and_b32_e32 v13, 7, v2
	v_lshrrev_b32_e32 v50, 3, v1
	v_cmp_gt_u32_e32 vcc, 8, v1
	v_ffbh_u32_e32 v1, v13
	v_min_u32_e32 v1, 32, v1
	v_subrev_u32_e32 v17, 28, v1
	v_lshlrev_b64 v[17:18], v17, v[2:3]
	v_sub_u32_e32 v1, 29, v1
	v_and_b32_e32 v17, 7, v17
	v_cndmask_b32_e32 v1, v50, v1, vcc
	v_cndmask_b32_e32 v13, v13, v17, vcc
	v_lshlrev_b32_e32 v2, 24, v2
	v_lshlrev_b32_e32 v13, 20, v13
	v_and_b32_e32 v2, 0x80000000, v2
	v_lshl_add_u32 v1, v1, 23, v0
	v_or3_b32 v17, v2, v1, v13
.LBB4_1004:                             ;   in Loop: Header=BB4_356 Depth=4
	s_or_b64 exec, exec, s[34:35]
.LBB4_1005:                             ;   in Loop: Header=BB4_356 Depth=4
	s_or_b64 exec, exec, s[30:31]
.LBB4_1006:                             ;   in Loop: Header=BB4_356 Depth=4
	s_or_b64 exec, exec, s[28:29]
	v_cmp_lt_u64_e32 vcc, s[56:57], v[8:9]
	s_and_saveexec_b64 s[28:29], vcc
	s_cbranch_execz .LBB4_1012
; %bb.1007:                             ;   in Loop: Header=BB4_356 Depth=4
	v_lshrrev_b32_e32 v2, 24, v9
	v_cmp_ne_u32_e32 vcc, s70, v2
	v_bfrev_b32_e32 v12, 1
	s_and_saveexec_b64 s[30:31], vcc
	s_cbranch_execz .LBB4_1011
; %bb.1008:                             ;   in Loop: Header=BB4_356 Depth=4
	v_bfe_u32 v1, v9, 24, 7
	v_cmp_ne_u32_e32 vcc, s71, v1
	v_mov_b32_e32 v12, 0x7f800001
	s_and_saveexec_b64 s[34:35], vcc
	s_cbranch_execz .LBB4_1010
; %bb.1009:                             ;   in Loop: Header=BB4_356 Depth=4
	v_and_b32_e32 v12, 7, v2
	v_lshrrev_b32_e32 v13, 3, v1
	v_cmp_gt_u32_e32 vcc, 8, v1
	v_ffbh_u32_e32 v1, v12
	v_min_u32_e32 v1, 32, v1
	v_subrev_u32_e32 v8, 28, v1
	v_lshlrev_b64 v[8:9], v8, v[2:3]
	v_sub_u32_e32 v1, 29, v1
	v_and_b32_e32 v8, 7, v8
	v_cndmask_b32_e32 v1, v13, v1, vcc
	v_cndmask_b32_e32 v8, v12, v8, vcc
	v_lshlrev_b32_e32 v2, 24, v2
	v_lshlrev_b32_e32 v8, 20, v8
	v_and_b32_e32 v2, 0x80000000, v2
	v_lshl_add_u32 v1, v1, 23, v0
	v_or3_b32 v12, v2, v1, v8
.LBB4_1010:                             ;   in Loop: Header=BB4_356 Depth=4
	s_or_b64 exec, exec, s[34:35]
.LBB4_1011:                             ;   in Loop: Header=BB4_356 Depth=4
	s_or_b64 exec, exec, s[30:31]
.LBB4_1012:                             ;   in Loop: Header=BB4_356 Depth=4
	s_or_b64 exec, exec, s[28:29]
	v_mul_f32_e32 v8, v17, v12
	v_and_b32_e32 v2, 0x7f800000, v8
	v_cmp_ne_u64_e32 vcc, s[62:63], v[2:3]
                                        ; implicit-def: $vgpr17
	s_and_saveexec_b64 s[28:29], vcc
	s_xor_b64 s[30:31], exec, s[28:29]
	s_cbranch_execz .LBB4_1026
; %bb.1013:                             ;   in Loop: Header=BB4_356 Depth=4
	v_and_b32_e32 v2, 0x7fffffff, v8
	v_cmp_gt_u64_e32 vcc, s[72:73], v[2:3]
	v_and_b32_sdwa v18, v8, s70 dst_sel:DWORD dst_unused:UNUSED_PAD src0_sel:BYTE_3 src1_sel:DWORD
                                        ; implicit-def: $vgpr17
	s_and_saveexec_b64 s[28:29], vcc
	s_xor_b64 s[34:35], exec, s[28:29]
	s_cbranch_execz .LBB4_1023
; %bb.1014:                             ;   in Loop: Header=BB4_356 Depth=4
	v_mov_b32_e32 v17, 0
	v_cmp_ne_u32_e32 vcc, 0, v8
	s_and_saveexec_b64 s[36:37], vcc
	s_cbranch_execz .LBB4_1022
; %bb.1015:                             ;   in Loop: Header=BB4_356 Depth=4
	v_bfe_u32 v17, v8, 23, 8
	v_cmp_gt_u32_e64 s[28:29], s80, v17
	v_sub_u32_e32 v2, 0x79, v17
	v_and_b32_e32 v1, 0x7fffff, v8
	v_cmp_eq_u32_e32 vcc, 0, v17
	v_cndmask_b32_e64 v2, 0, v2, s[28:29]
	v_mov_b32_e32 v9, 0x78
	v_or_b32_e32 v8, 0x800000, v1
	v_cndmask_b32_e32 v50, v2, v9, vcc
	v_cndmask_b32_e32 v2, v8, v1, vcc
	v_add_u32_e32 v1, 20, v50
	v_lshlrev_b64 v[8:9], v1, -1
	v_add_u32_e32 v1, 19, v50
	v_lshlrev_b64 v[12:13], v1, 1
	v_bfi_b32 v9, v9, 0, 0
	v_bfi_b32 v8, v8, 0, v2
	v_cmp_eq_u64_e64 s[28:29], v[8:9], v[12:13]
	v_lshrrev_b64 v[8:9], v50, v[2:3]
	v_mov_b32_e32 v13, v9
	v_mov_b32_e32 v12, v8
	s_and_saveexec_b64 s[38:39], s[28:29]
; %bb.1016:                             ;   in Loop: Header=BB4_356 Depth=4
	v_bfe_u32 v1, v8, 20, 1
	v_add_co_u32_e64 v1, s[28:29], v8, v1
	v_add_co_u32_e64 v12, s[28:29], -1, v1
; %bb.1017:                             ;   in Loop: Header=BB4_356 Depth=4
	s_or_b64 exec, exec, s[38:39]
	v_add_u32_e32 v1, 0xffffff81, v17
	v_mov_b32_e32 v2, 0xffffff82
	v_cndmask_b32_e32 v1, v1, v2, vcc
	v_lshrrev_b32_e32 v2, 23, v8
	v_add3_u32 v17, v50, v1, v2
	v_add_u32_e32 v13, 6, v17
	v_and_b32_e32 v1, 0xfffff, v12
	v_add_u32_e32 v2, v1, v8
	v_cmp_ne_u32_e32 vcc, 0, v13
                                        ; implicit-def: $vgpr8_vgpr9
                                        ; implicit-def: $vgpr1
	s_and_saveexec_b64 s[28:29], vcc
	s_xor_b64 s[28:29], exec, s[28:29]
; %bb.1018:                             ;   in Loop: Header=BB4_356 Depth=4
	v_cmp_lt_u64_e32 vcc, s[88:89], v[2:3]
	v_add_u32_e32 v1, 7, v17
	v_cndmask_b32_e64 v8, 0, 1, vcc
	v_lshrrev_b64 v[8:9], v8, v[2:3]
	v_cndmask_b32_e32 v1, v13, v1, vcc
; %bb.1019:                             ;   in Loop: Header=BB4_356 Depth=4
	s_andn2_saveexec_b64 s[28:29], s[28:29]
; %bb.1020:                             ;   in Loop: Header=BB4_356 Depth=4
	v_mov_b32_e32 v9, v3
	v_bfe_u32 v1, v2, 23, 1
	v_mov_b32_e32 v8, v2
; %bb.1021:                             ;   in Loop: Header=BB4_356 Depth=4
	s_or_b64 exec, exec, s[28:29]
	v_lshrrev_b64 v[8:9], 20, v[8:9]
	v_cmp_gt_i32_e32 vcc, 16, v1
	v_cndmask_b32_e32 v9, 0, v9, vcc
	v_cndmask_b32_e32 v8, 7, v8, vcc
	v_cmp_eq_u32_e32 vcc, 0, v1
	v_min_i32_e32 v1, 15, v1
	v_cmp_eq_u64_e64 s[28:29], 0, v[8:9]
	v_lshlrev_b32_e32 v1, 3, v1
	v_and_b32_e32 v1, 0xf8, v1
	v_and_or_b32 v1, v8, 7, v1
	s_and_b64 s[28:29], vcc, s[28:29]
	v_cndmask_b32_e64 v1, v1, 0, s[28:29]
	v_or_b32_e32 v17, v1, v18
.LBB4_1022:                             ;   in Loop: Header=BB4_356 Depth=4
	s_or_b64 exec, exec, s[36:37]
                                        ; implicit-def: $vgpr18
.LBB4_1023:                             ;   in Loop: Header=BB4_356 Depth=4
	s_andn2_saveexec_b64 s[28:29], s[34:35]
; %bb.1024:                             ;   in Loop: Header=BB4_356 Depth=4
	v_or_b32_e32 v17, 0x7e, v18
; %bb.1025:                             ;   in Loop: Header=BB4_356 Depth=4
	s_or_b64 exec, exec, s[28:29]
                                        ; implicit-def: $vgpr8
.LBB4_1026:                             ;   in Loop: Header=BB4_356 Depth=4
	s_andn2_saveexec_b64 s[28:29], s[30:31]
; %bb.1027:                             ;   in Loop: Header=BB4_356 Depth=4
	v_or_b32_sdwa v17, v8, s71 dst_sel:DWORD dst_unused:UNUSED_PAD src0_sel:BYTE_3 src1_sel:DWORD
; %bb.1028:                             ;   in Loop: Header=BB4_356 Depth=4
	s_or_b64 exec, exec, s[28:29]
	v_cmp_ne_u16_sdwa s[44:45], v14, v3 src0_sel:BYTE_0 src1_sel:DWORD
	v_mov_b32_e32 v2, 0
	v_mov_b32_e32 v8, 0
	s_and_saveexec_b64 s[28:29], s[44:45]
	s_cbranch_execz .LBB4_1034
; %bb.1029:                             ;   in Loop: Header=BB4_356 Depth=4
	v_cmp_ne_u16_sdwa s[44:45], v14, s70 src0_sel:BYTE_0 src1_sel:DWORD
	v_bfrev_b32_e32 v8, 1
	s_and_saveexec_b64 s[30:31], s[44:45]
	s_cbranch_execz .LBB4_1033
; %bb.1030:                             ;   in Loop: Header=BB4_356 Depth=4
	v_and_b32_e32 v1, 0x7f, v14
	v_cmp_ne_u32_e32 vcc, s71, v1
	v_mov_b32_e32 v8, 0x7f800001
	s_and_saveexec_b64 s[34:35], vcc
	s_cbranch_execz .LBB4_1032
; %bb.1031:                             ;   in Loop: Header=BB4_356 Depth=4
	v_and_b32_e32 v8, 7, v14
	v_lshrrev_b32_e32 v9, 3, v1
	v_cmp_gt_u32_e32 vcc, 8, v1
	v_ffbh_u32_e32 v1, v8
	v_min_u32_e32 v1, 32, v1
	v_subrev_u32_e32 v8, 28, v1
	v_sub_u32_e32 v1, 29, v1
	v_cndmask_b32_e32 v8, 0, v8, vcc
	v_cndmask_b32_e32 v1, v9, v1, vcc
	v_lshlrev_b64 v[8:9], v8, v[14:15]
	v_lshlrev_b32_e32 v9, 24, v14
	v_lshlrev_b32_e32 v8, 20, v8
	v_and_b32_e32 v8, 0x700000, v8
	v_and_b32_e32 v9, 0x80000000, v9
	v_lshl_add_u32 v1, v1, 23, v0
	v_or3_b32 v8, v9, v1, v8
.LBB4_1032:                             ;   in Loop: Header=BB4_356 Depth=4
	s_or_b64 exec, exec, s[34:35]
.LBB4_1033:                             ;   in Loop: Header=BB4_356 Depth=4
	s_or_b64 exec, exec, s[30:31]
.LBB4_1034:                             ;   in Loop: Header=BB4_356 Depth=4
	s_or_b64 exec, exec, s[28:29]
	v_cmp_ne_u16_sdwa s[44:45], v10, v3 src0_sel:BYTE_0 src1_sel:DWORD
	s_and_saveexec_b64 s[28:29], s[44:45]
	s_cbranch_execz .LBB4_1040
; %bb.1035:                             ;   in Loop: Header=BB4_356 Depth=4
	v_cmp_ne_u16_sdwa s[44:45], v10, s70 src0_sel:BYTE_0 src1_sel:DWORD
	v_bfrev_b32_e32 v2, 1
	s_and_saveexec_b64 s[30:31], s[44:45]
	s_cbranch_execz .LBB4_1039
; %bb.1036:                             ;   in Loop: Header=BB4_356 Depth=4
	v_and_b32_e32 v1, 0x7f, v10
	v_cmp_ne_u32_e32 vcc, s71, v1
	v_mov_b32_e32 v2, 0x7f800001
	s_and_saveexec_b64 s[34:35], vcc
	s_cbranch_execz .LBB4_1038
; %bb.1037:                             ;   in Loop: Header=BB4_356 Depth=4
	v_and_b32_e32 v2, 7, v10
	v_lshrrev_b32_e32 v9, 3, v1
	v_cmp_gt_u32_e32 vcc, 8, v1
	v_ffbh_u32_e32 v1, v2
	v_min_u32_e32 v1, 32, v1
	v_subrev_u32_e32 v2, 28, v1
	v_sub_u32_e32 v1, 29, v1
	v_cndmask_b32_e32 v9, v9, v1, vcc
	v_cndmask_b32_e32 v1, 0, v2, vcc
	v_lshlrev_b64 v[1:2], v1, v[10:11]
	v_lshlrev_b32_e32 v2, 24, v10
	v_lshlrev_b32_e32 v1, 20, v1
	v_and_b32_e32 v1, 0x700000, v1
	v_and_b32_e32 v2, 0x80000000, v2
	v_lshl_add_u32 v9, v9, 23, v0
	v_or3_b32 v2, v2, v9, v1
.LBB4_1038:                             ;   in Loop: Header=BB4_356 Depth=4
	s_or_b64 exec, exec, s[34:35]
.LBB4_1039:                             ;   in Loop: Header=BB4_356 Depth=4
	s_or_b64 exec, exec, s[30:31]
.LBB4_1040:                             ;   in Loop: Header=BB4_356 Depth=4
	s_or_b64 exec, exec, s[28:29]
	v_mul_f32_e32 v8, v8, v2
	v_and_b32_e32 v2, 0x7f800000, v8
	v_cmp_ne_u64_e32 vcc, s[62:63], v[2:3]
                                        ; implicit-def: $vgpr18
	s_and_saveexec_b64 s[28:29], vcc
	s_xor_b64 s[30:31], exec, s[28:29]
	s_cbranch_execz .LBB4_1054
; %bb.1041:                             ;   in Loop: Header=BB4_356 Depth=4
	v_and_b32_e32 v2, 0x7fffffff, v8
	v_cmp_gt_u64_e32 vcc, s[72:73], v[2:3]
	v_and_b32_sdwa v50, v8, s70 dst_sel:DWORD dst_unused:UNUSED_PAD src0_sel:BYTE_3 src1_sel:DWORD
                                        ; implicit-def: $vgpr18
	s_and_saveexec_b64 s[28:29], vcc
	s_xor_b64 s[34:35], exec, s[28:29]
	s_cbranch_execz .LBB4_1051
; %bb.1042:                             ;   in Loop: Header=BB4_356 Depth=4
	v_mov_b32_e32 v18, 0
	v_cmp_ne_u32_e32 vcc, 0, v8
	s_and_saveexec_b64 s[36:37], vcc
	s_cbranch_execz .LBB4_1050
; %bb.1043:                             ;   in Loop: Header=BB4_356 Depth=4
	v_bfe_u32 v18, v8, 23, 8
	v_cmp_gt_u32_e64 s[28:29], s80, v18
	v_sub_u32_e32 v2, 0x79, v18
	v_and_b32_e32 v1, 0x7fffff, v8
	v_cmp_eq_u32_e32 vcc, 0, v18
	v_cndmask_b32_e64 v2, 0, v2, s[28:29]
	v_mov_b32_e32 v9, 0x78
	v_or_b32_e32 v8, 0x800000, v1
	v_cndmask_b32_e32 v51, v2, v9, vcc
	v_cndmask_b32_e32 v2, v8, v1, vcc
	v_add_u32_e32 v1, 20, v51
	v_lshlrev_b64 v[8:9], v1, -1
	v_add_u32_e32 v1, 19, v51
	v_lshlrev_b64 v[12:13], v1, 1
	v_bfi_b32 v9, v9, 0, 0
	v_bfi_b32 v8, v8, 0, v2
	v_cmp_eq_u64_e64 s[28:29], v[8:9], v[12:13]
	v_lshrrev_b64 v[8:9], v51, v[2:3]
	v_mov_b32_e32 v13, v9
	v_mov_b32_e32 v12, v8
	s_and_saveexec_b64 s[38:39], s[28:29]
; %bb.1044:                             ;   in Loop: Header=BB4_356 Depth=4
	v_bfe_u32 v1, v8, 20, 1
	v_add_co_u32_e64 v1, s[28:29], v8, v1
	v_add_co_u32_e64 v12, s[28:29], -1, v1
; %bb.1045:                             ;   in Loop: Header=BB4_356 Depth=4
	s_or_b64 exec, exec, s[38:39]
	v_add_u32_e32 v1, 0xffffff81, v18
	v_mov_b32_e32 v2, 0xffffff82
	v_cndmask_b32_e32 v1, v1, v2, vcc
	v_lshrrev_b32_e32 v2, 23, v8
	v_add3_u32 v18, v51, v1, v2
	v_add_u32_e32 v13, 6, v18
	v_and_b32_e32 v1, 0xfffff, v12
	v_add_u32_e32 v2, v1, v8
	v_cmp_ne_u32_e32 vcc, 0, v13
                                        ; implicit-def: $vgpr8_vgpr9
                                        ; implicit-def: $vgpr1
	s_and_saveexec_b64 s[28:29], vcc
	s_xor_b64 s[28:29], exec, s[28:29]
; %bb.1046:                             ;   in Loop: Header=BB4_356 Depth=4
	v_cmp_lt_u64_e32 vcc, s[88:89], v[2:3]
	v_add_u32_e32 v1, 7, v18
	v_cndmask_b32_e64 v8, 0, 1, vcc
	v_lshrrev_b64 v[8:9], v8, v[2:3]
	v_cndmask_b32_e32 v1, v13, v1, vcc
; %bb.1047:                             ;   in Loop: Header=BB4_356 Depth=4
	s_andn2_saveexec_b64 s[28:29], s[28:29]
; %bb.1048:                             ;   in Loop: Header=BB4_356 Depth=4
	v_mov_b32_e32 v9, v3
	v_bfe_u32 v1, v2, 23, 1
	v_mov_b32_e32 v8, v2
; %bb.1049:                             ;   in Loop: Header=BB4_356 Depth=4
	s_or_b64 exec, exec, s[28:29]
	v_lshrrev_b64 v[8:9], 20, v[8:9]
	v_cmp_gt_i32_e32 vcc, 16, v1
	v_cndmask_b32_e32 v9, 0, v9, vcc
	v_cndmask_b32_e32 v8, 7, v8, vcc
	v_cmp_eq_u32_e32 vcc, 0, v1
	v_min_i32_e32 v1, 15, v1
	v_cmp_eq_u64_e64 s[28:29], 0, v[8:9]
	v_lshlrev_b32_e32 v1, 3, v1
	v_and_b32_e32 v1, 0xf8, v1
	v_and_or_b32 v1, v8, 7, v1
	s_and_b64 s[28:29], vcc, s[28:29]
	v_cndmask_b32_e64 v1, v1, 0, s[28:29]
	v_or_b32_e32 v18, v1, v50
.LBB4_1050:                             ;   in Loop: Header=BB4_356 Depth=4
	s_or_b64 exec, exec, s[36:37]
                                        ; implicit-def: $vgpr50
.LBB4_1051:                             ;   in Loop: Header=BB4_356 Depth=4
	s_andn2_saveexec_b64 s[28:29], s[34:35]
; %bb.1052:                             ;   in Loop: Header=BB4_356 Depth=4
	v_or_b32_e32 v18, 0x7e, v50
; %bb.1053:                             ;   in Loop: Header=BB4_356 Depth=4
	s_or_b64 exec, exec, s[28:29]
                                        ; implicit-def: $vgpr8
.LBB4_1054:                             ;   in Loop: Header=BB4_356 Depth=4
	s_andn2_saveexec_b64 s[28:29], s[30:31]
; %bb.1055:                             ;   in Loop: Header=BB4_356 Depth=4
	v_or_b32_sdwa v18, v8, s71 dst_sel:DWORD dst_unused:UNUSED_PAD src0_sel:BYTE_3 src1_sel:DWORD
; %bb.1056:                             ;   in Loop: Header=BB4_356 Depth=4
	s_or_b64 exec, exec, s[28:29]
	v_lshrrev_b16_e32 v2, 8, v14
	v_cmp_ne_u16_e32 vcc, 0, v2
	v_mov_b32_e32 v8, 0
	v_mov_b32_e32 v9, 0
	s_and_saveexec_b64 s[28:29], vcc
	s_cbranch_execz .LBB4_1062
; %bb.1057:                             ;   in Loop: Header=BB4_356 Depth=4
	v_cmp_ne_u16_e32 vcc, s70, v2
	v_bfrev_b32_e32 v9, 1
	s_and_saveexec_b64 s[30:31], vcc
	s_cbranch_execz .LBB4_1061
; %bb.1058:                             ;   in Loop: Header=BB4_356 Depth=4
	v_and_b32_e32 v1, 0x7f, v2
	v_cmp_ne_u32_e32 vcc, s71, v1
	v_mov_b32_e32 v9, 0x7f800001
	s_and_saveexec_b64 s[34:35], vcc
	s_cbranch_execz .LBB4_1060
; %bb.1059:                             ;   in Loop: Header=BB4_356 Depth=4
	v_and_b32_e32 v9, 7, v2
	v_lshrrev_b32_e32 v12, 3, v1
	v_cmp_gt_u32_e32 vcc, 8, v1
	v_ffbh_u32_e32 v1, v9
	v_min_u32_e32 v13, 32, v1
	v_subrev_u32_e32 v1, 28, v13
	v_lshlrev_b64 v[1:2], v1, v[2:3]
	v_sub_u32_e32 v2, 29, v13
	v_and_b32_e32 v1, 7, v1
	v_cndmask_b32_e32 v2, v12, v2, vcc
	v_cndmask_b32_e32 v1, v9, v1, vcc
	v_lshlrev_b32_e32 v9, 16, v14
	v_lshlrev_b32_e32 v1, 20, v1
	v_and_b32_e32 v9, 0x80000000, v9
	v_lshl_add_u32 v2, v2, 23, v0
	v_or3_b32 v9, v9, v2, v1
.LBB4_1060:                             ;   in Loop: Header=BB4_356 Depth=4
	s_or_b64 exec, exec, s[34:35]
.LBB4_1061:                             ;   in Loop: Header=BB4_356 Depth=4
	s_or_b64 exec, exec, s[30:31]
.LBB4_1062:                             ;   in Loop: Header=BB4_356 Depth=4
	s_or_b64 exec, exec, s[28:29]
	v_lshrrev_b16_e32 v2, 8, v10
	v_cmp_ne_u16_e32 vcc, 0, v2
	s_and_saveexec_b64 s[28:29], vcc
	s_cbranch_execz .LBB4_1068
; %bb.1063:                             ;   in Loop: Header=BB4_356 Depth=4
	v_cmp_ne_u16_e32 vcc, s70, v2
	v_bfrev_b32_e32 v8, 1
	s_and_saveexec_b64 s[30:31], vcc
	s_cbranch_execz .LBB4_1067
; %bb.1064:                             ;   in Loop: Header=BB4_356 Depth=4
	v_and_b32_e32 v1, 0x7f, v2
	v_cmp_ne_u32_e32 vcc, s71, v1
	v_mov_b32_e32 v8, 0x7f800001
	s_and_saveexec_b64 s[34:35], vcc
	s_cbranch_execz .LBB4_1066
; %bb.1065:                             ;   in Loop: Header=BB4_356 Depth=4
	v_and_b32_e32 v8, 7, v2
	v_lshrrev_b32_e32 v12, 3, v1
	v_cmp_gt_u32_e32 vcc, 8, v1
	v_ffbh_u32_e32 v1, v8
	v_min_u32_e32 v13, 32, v1
	v_subrev_u32_e32 v1, 28, v13
	v_lshlrev_b64 v[1:2], v1, v[2:3]
	v_sub_u32_e32 v2, 29, v13
	v_and_b32_e32 v1, 7, v1
	v_cndmask_b32_e32 v2, v12, v2, vcc
	v_cndmask_b32_e32 v1, v8, v1, vcc
	v_lshlrev_b32_e32 v8, 16, v10
	v_lshlrev_b32_e32 v1, 20, v1
	v_and_b32_e32 v8, 0x80000000, v8
	v_lshl_add_u32 v2, v2, 23, v0
	v_or3_b32 v8, v8, v2, v1
.LBB4_1066:                             ;   in Loop: Header=BB4_356 Depth=4
	s_or_b64 exec, exec, s[34:35]
.LBB4_1067:                             ;   in Loop: Header=BB4_356 Depth=4
	s_or_b64 exec, exec, s[30:31]
.LBB4_1068:                             ;   in Loop: Header=BB4_356 Depth=4
	s_or_b64 exec, exec, s[28:29]
	v_mul_f32_e32 v8, v9, v8
	v_and_b32_e32 v2, 0x7f800000, v8
	v_cmp_ne_u64_e32 vcc, s[62:63], v[2:3]
                                        ; implicit-def: $vgpr57
	s_and_saveexec_b64 s[28:29], vcc
	s_xor_b64 s[30:31], exec, s[28:29]
	s_cbranch_execz .LBB4_1082
; %bb.1069:                             ;   in Loop: Header=BB4_356 Depth=4
	v_and_b32_e32 v2, 0x7fffffff, v8
	v_cmp_gt_u64_e32 vcc, s[72:73], v[2:3]
	v_and_b32_sdwa v50, v8, s70 dst_sel:DWORD dst_unused:UNUSED_PAD src0_sel:BYTE_3 src1_sel:DWORD
                                        ; implicit-def: $vgpr57
	s_and_saveexec_b64 s[28:29], vcc
	s_xor_b64 s[34:35], exec, s[28:29]
	s_cbranch_execz .LBB4_1079
; %bb.1070:                             ;   in Loop: Header=BB4_356 Depth=4
	v_mov_b32_e32 v57, 0
	v_cmp_ne_u32_e32 vcc, 0, v8
	s_and_saveexec_b64 s[36:37], vcc
	s_cbranch_execz .LBB4_1078
; %bb.1071:                             ;   in Loop: Header=BB4_356 Depth=4
	v_bfe_u32 v51, v8, 23, 8
	v_cmp_gt_u32_e64 s[28:29], s80, v51
	v_sub_u32_e32 v2, 0x79, v51
	v_and_b32_e32 v1, 0x7fffff, v8
	v_cmp_eq_u32_e32 vcc, 0, v51
	v_cndmask_b32_e64 v2, 0, v2, s[28:29]
	v_mov_b32_e32 v9, 0x78
	v_or_b32_e32 v8, 0x800000, v1
	v_cndmask_b32_e32 v43, v2, v9, vcc
	v_cndmask_b32_e32 v2, v8, v1, vcc
	v_add_u32_e32 v1, 20, v43
	v_lshlrev_b64 v[8:9], v1, -1
	v_add_u32_e32 v1, 19, v43
	v_lshlrev_b64 v[12:13], v1, 1
	v_bfi_b32 v9, v9, 0, 0
	v_bfi_b32 v8, v8, 0, v2
	v_cmp_eq_u64_e64 s[28:29], v[8:9], v[12:13]
	v_lshrrev_b64 v[8:9], v43, v[2:3]
	v_mov_b32_e32 v13, v9
	v_mov_b32_e32 v12, v8
	s_and_saveexec_b64 s[38:39], s[28:29]
; %bb.1072:                             ;   in Loop: Header=BB4_356 Depth=4
	v_bfe_u32 v1, v8, 20, 1
	v_add_co_u32_e64 v1, s[28:29], v8, v1
	v_add_co_u32_e64 v12, s[28:29], -1, v1
; %bb.1073:                             ;   in Loop: Header=BB4_356 Depth=4
	s_or_b64 exec, exec, s[38:39]
	v_add_u32_e32 v1, 0xffffff81, v51
	v_mov_b32_e32 v2, 0xffffff82
	v_cndmask_b32_e32 v1, v1, v2, vcc
	v_lshrrev_b32_e32 v2, 23, v8
	v_add3_u32 v51, v43, v1, v2
	v_add_u32_e32 v13, 6, v51
	v_and_b32_e32 v1, 0xfffff, v12
	v_add_u32_e32 v2, v1, v8
	v_cmp_ne_u32_e32 vcc, 0, v13
                                        ; implicit-def: $vgpr8_vgpr9
                                        ; implicit-def: $vgpr1
	s_and_saveexec_b64 s[28:29], vcc
	s_xor_b64 s[28:29], exec, s[28:29]
; %bb.1074:                             ;   in Loop: Header=BB4_356 Depth=4
	v_cmp_lt_u64_e32 vcc, s[88:89], v[2:3]
	v_add_u32_e32 v1, 7, v51
	v_cndmask_b32_e64 v8, 0, 1, vcc
	v_lshrrev_b64 v[8:9], v8, v[2:3]
	v_cndmask_b32_e32 v1, v13, v1, vcc
; %bb.1075:                             ;   in Loop: Header=BB4_356 Depth=4
	s_andn2_saveexec_b64 s[28:29], s[28:29]
; %bb.1076:                             ;   in Loop: Header=BB4_356 Depth=4
	v_mov_b32_e32 v9, v3
	v_bfe_u32 v1, v2, 23, 1
	v_mov_b32_e32 v8, v2
; %bb.1077:                             ;   in Loop: Header=BB4_356 Depth=4
	s_or_b64 exec, exec, s[28:29]
	v_lshrrev_b64 v[8:9], 20, v[8:9]
	v_cmp_gt_i32_e32 vcc, 16, v1
	v_cndmask_b32_e32 v9, 0, v9, vcc
	v_cndmask_b32_e32 v8, 7, v8, vcc
	v_cmp_eq_u32_e32 vcc, 0, v1
	v_min_i32_e32 v1, 15, v1
	v_cmp_eq_u64_e64 s[28:29], 0, v[8:9]
	v_lshlrev_b32_e32 v1, 3, v1
	v_and_b32_e32 v1, 0xf8, v1
	v_and_or_b32 v1, v8, 7, v1
	s_and_b64 s[28:29], vcc, s[28:29]
	v_cndmask_b32_e64 v1, v1, 0, s[28:29]
	v_or_b32_e32 v57, v1, v50
.LBB4_1078:                             ;   in Loop: Header=BB4_356 Depth=4
	s_or_b64 exec, exec, s[36:37]
                                        ; implicit-def: $vgpr50
.LBB4_1079:                             ;   in Loop: Header=BB4_356 Depth=4
	s_andn2_saveexec_b64 s[28:29], s[34:35]
; %bb.1080:                             ;   in Loop: Header=BB4_356 Depth=4
	v_or_b32_e32 v57, 0x7e, v50
; %bb.1081:                             ;   in Loop: Header=BB4_356 Depth=4
	s_or_b64 exec, exec, s[28:29]
                                        ; implicit-def: $vgpr8
.LBB4_1082:                             ;   in Loop: Header=BB4_356 Depth=4
	s_andn2_saveexec_b64 s[28:29], s[30:31]
; %bb.1083:                             ;   in Loop: Header=BB4_356 Depth=4
	v_or_b32_sdwa v57, v8, s71 dst_sel:DWORD dst_unused:UNUSED_PAD src0_sel:BYTE_3 src1_sel:DWORD
; %bb.1084:                             ;   in Loop: Header=BB4_356 Depth=4
	s_or_b64 exec, exec, s[28:29]
	v_lshrrev_b32_e32 v2, 16, v14
	v_cmp_ne_u16_sdwa s[44:45], v2, v3 src0_sel:BYTE_0 src1_sel:DWORD
	v_mov_b32_e32 v8, 0
	v_mov_b32_e32 v9, 0
	s_and_saveexec_b64 s[28:29], s[44:45]
	s_cbranch_execz .LBB4_1090
; %bb.1085:                             ;   in Loop: Header=BB4_356 Depth=4
	v_cmp_ne_u16_sdwa s[44:45], v2, s70 src0_sel:BYTE_0 src1_sel:DWORD
	v_bfrev_b32_e32 v9, 1
	s_and_saveexec_b64 s[30:31], s[44:45]
	s_cbranch_execz .LBB4_1089
; %bb.1086:                             ;   in Loop: Header=BB4_356 Depth=4
	v_bfe_u32 v1, v14, 16, 7
	v_cmp_ne_u32_e32 vcc, s71, v1
	v_mov_b32_e32 v9, 0x7f800001
	s_and_saveexec_b64 s[34:35], vcc
	s_cbranch_execz .LBB4_1088
; %bb.1087:                             ;   in Loop: Header=BB4_356 Depth=4
	v_and_b32_e32 v9, 7, v2
	v_lshrrev_b32_e32 v50, 3, v1
	v_cmp_gt_u32_e32 vcc, 8, v1
	v_ffbh_u32_e32 v1, v9
	v_min_u32_e32 v1, 32, v1
	v_subrev_u32_e32 v12, 28, v1
	v_lshlrev_b64 v[12:13], v12, v[2:3]
	v_sub_u32_e32 v1, 29, v1
	v_and_b32_e32 v12, 7, v12
	v_cndmask_b32_e32 v1, v50, v1, vcc
	v_cndmask_b32_e32 v9, v9, v12, vcc
	v_lshlrev_b32_e32 v2, 24, v2
	v_lshlrev_b32_e32 v9, 20, v9
	v_and_b32_e32 v2, 0x80000000, v2
	v_lshl_add_u32 v1, v1, 23, v0
	v_or3_b32 v9, v2, v1, v9
.LBB4_1088:                             ;   in Loop: Header=BB4_356 Depth=4
	s_or_b64 exec, exec, s[34:35]
.LBB4_1089:                             ;   in Loop: Header=BB4_356 Depth=4
	s_or_b64 exec, exec, s[30:31]
.LBB4_1090:                             ;   in Loop: Header=BB4_356 Depth=4
	s_or_b64 exec, exec, s[28:29]
	v_lshrrev_b32_e32 v2, 16, v10
	v_cmp_ne_u16_sdwa s[44:45], v2, v3 src0_sel:BYTE_0 src1_sel:DWORD
	s_and_saveexec_b64 s[28:29], s[44:45]
	s_cbranch_execz .LBB4_1096
; %bb.1091:                             ;   in Loop: Header=BB4_356 Depth=4
	v_cmp_ne_u16_sdwa s[44:45], v2, s70 src0_sel:BYTE_0 src1_sel:DWORD
	v_bfrev_b32_e32 v8, 1
	s_and_saveexec_b64 s[30:31], s[44:45]
	s_cbranch_execz .LBB4_1095
; %bb.1092:                             ;   in Loop: Header=BB4_356 Depth=4
	v_bfe_u32 v1, v10, 16, 7
	v_cmp_ne_u32_e32 vcc, s71, v1
	v_mov_b32_e32 v8, 0x7f800001
	s_and_saveexec_b64 s[34:35], vcc
	s_cbranch_execz .LBB4_1094
; %bb.1093:                             ;   in Loop: Header=BB4_356 Depth=4
	v_and_b32_e32 v8, 7, v2
	v_lshrrev_b32_e32 v12, 3, v1
	v_cmp_gt_u32_e32 vcc, 8, v1
	v_ffbh_u32_e32 v1, v8
	v_min_u32_e32 v13, 32, v1
	v_subrev_u32_e32 v1, 28, v13
	v_lshlrev_b64 v[1:2], v1, v[2:3]
	v_sub_u32_e32 v2, 29, v13
	v_and_b32_e32 v1, 7, v1
	v_cndmask_b32_e32 v2, v12, v2, vcc
	v_cndmask_b32_e32 v1, v8, v1, vcc
	v_lshlrev_b32_e32 v8, 8, v10
	v_lshlrev_b32_e32 v1, 20, v1
	v_and_b32_e32 v8, 0x80000000, v8
	v_lshl_add_u32 v2, v2, 23, v0
	v_or3_b32 v8, v8, v2, v1
.LBB4_1094:                             ;   in Loop: Header=BB4_356 Depth=4
	s_or_b64 exec, exec, s[34:35]
.LBB4_1095:                             ;   in Loop: Header=BB4_356 Depth=4
	s_or_b64 exec, exec, s[30:31]
.LBB4_1096:                             ;   in Loop: Header=BB4_356 Depth=4
	s_or_b64 exec, exec, s[28:29]
	v_mul_f32_e32 v8, v9, v8
	v_and_b32_e32 v2, 0x7f800000, v8
	v_cmp_ne_u64_e32 vcc, s[62:63], v[2:3]
                                        ; implicit-def: $vgpr51
	s_and_saveexec_b64 s[28:29], vcc
	s_xor_b64 s[30:31], exec, s[28:29]
	s_cbranch_execz .LBB4_1110
; %bb.1097:                             ;   in Loop: Header=BB4_356 Depth=4
	v_and_b32_e32 v2, 0x7fffffff, v8
	v_cmp_gt_u64_e32 vcc, s[72:73], v[2:3]
	v_and_b32_sdwa v50, v8, s70 dst_sel:DWORD dst_unused:UNUSED_PAD src0_sel:BYTE_3 src1_sel:DWORD
                                        ; implicit-def: $vgpr51
	s_and_saveexec_b64 s[28:29], vcc
	s_xor_b64 s[34:35], exec, s[28:29]
	s_cbranch_execz .LBB4_1107
; %bb.1098:                             ;   in Loop: Header=BB4_356 Depth=4
	v_mov_b32_e32 v51, 0
	v_cmp_ne_u32_e32 vcc, 0, v8
	s_and_saveexec_b64 s[36:37], vcc
	s_cbranch_execz .LBB4_1106
; %bb.1099:                             ;   in Loop: Header=BB4_356 Depth=4
	v_bfe_u32 v51, v8, 23, 8
	v_cmp_gt_u32_e64 s[28:29], s80, v51
	v_sub_u32_e32 v2, 0x79, v51
	v_and_b32_e32 v1, 0x7fffff, v8
	v_cmp_eq_u32_e32 vcc, 0, v51
	v_cndmask_b32_e64 v2, 0, v2, s[28:29]
	v_mov_b32_e32 v9, 0x78
	v_or_b32_e32 v8, 0x800000, v1
	v_cndmask_b32_e32 v43, v2, v9, vcc
	v_cndmask_b32_e32 v2, v8, v1, vcc
	v_add_u32_e32 v1, 20, v43
	v_lshlrev_b64 v[8:9], v1, -1
	v_add_u32_e32 v1, 19, v43
	v_lshlrev_b64 v[12:13], v1, 1
	v_bfi_b32 v9, v9, 0, 0
	v_bfi_b32 v8, v8, 0, v2
	v_cmp_eq_u64_e64 s[28:29], v[8:9], v[12:13]
	v_lshrrev_b64 v[8:9], v43, v[2:3]
	v_mov_b32_e32 v13, v9
	v_mov_b32_e32 v12, v8
	s_and_saveexec_b64 s[38:39], s[28:29]
; %bb.1100:                             ;   in Loop: Header=BB4_356 Depth=4
	v_bfe_u32 v1, v8, 20, 1
	v_add_co_u32_e64 v1, s[28:29], v8, v1
	v_add_co_u32_e64 v12, s[28:29], -1, v1
; %bb.1101:                             ;   in Loop: Header=BB4_356 Depth=4
	s_or_b64 exec, exec, s[38:39]
	v_add_u32_e32 v1, 0xffffff81, v51
	v_mov_b32_e32 v2, 0xffffff82
	v_cndmask_b32_e32 v1, v1, v2, vcc
	v_lshrrev_b32_e32 v2, 23, v8
	v_add3_u32 v51, v43, v1, v2
	v_add_u32_e32 v13, 6, v51
	v_and_b32_e32 v1, 0xfffff, v12
	v_add_u32_e32 v2, v1, v8
	v_cmp_ne_u32_e32 vcc, 0, v13
                                        ; implicit-def: $vgpr8_vgpr9
                                        ; implicit-def: $vgpr1
	s_and_saveexec_b64 s[28:29], vcc
	s_xor_b64 s[28:29], exec, s[28:29]
; %bb.1102:                             ;   in Loop: Header=BB4_356 Depth=4
	v_cmp_lt_u64_e32 vcc, s[88:89], v[2:3]
	v_add_u32_e32 v1, 7, v51
	v_cndmask_b32_e64 v8, 0, 1, vcc
	v_lshrrev_b64 v[8:9], v8, v[2:3]
	v_cndmask_b32_e32 v1, v13, v1, vcc
; %bb.1103:                             ;   in Loop: Header=BB4_356 Depth=4
	s_andn2_saveexec_b64 s[28:29], s[28:29]
; %bb.1104:                             ;   in Loop: Header=BB4_356 Depth=4
	v_mov_b32_e32 v9, v3
	v_bfe_u32 v1, v2, 23, 1
	v_mov_b32_e32 v8, v2
; %bb.1105:                             ;   in Loop: Header=BB4_356 Depth=4
	s_or_b64 exec, exec, s[28:29]
	v_lshrrev_b64 v[8:9], 20, v[8:9]
	v_cmp_gt_i32_e32 vcc, 16, v1
	v_cndmask_b32_e32 v9, 0, v9, vcc
	v_cndmask_b32_e32 v8, 7, v8, vcc
	v_cmp_eq_u32_e32 vcc, 0, v1
	v_min_i32_e32 v1, 15, v1
	v_cmp_eq_u64_e64 s[28:29], 0, v[8:9]
	v_lshlrev_b32_e32 v1, 3, v1
	v_and_b32_e32 v1, 0xf8, v1
	v_and_or_b32 v1, v8, 7, v1
	s_and_b64 s[28:29], vcc, s[28:29]
	v_cndmask_b32_e64 v1, v1, 0, s[28:29]
	v_or_b32_e32 v51, v1, v50
.LBB4_1106:                             ;   in Loop: Header=BB4_356 Depth=4
	s_or_b64 exec, exec, s[36:37]
                                        ; implicit-def: $vgpr50
.LBB4_1107:                             ;   in Loop: Header=BB4_356 Depth=4
	s_andn2_saveexec_b64 s[28:29], s[34:35]
; %bb.1108:                             ;   in Loop: Header=BB4_356 Depth=4
	v_or_b32_e32 v51, 0x7e, v50
; %bb.1109:                             ;   in Loop: Header=BB4_356 Depth=4
	s_or_b64 exec, exec, s[28:29]
                                        ; implicit-def: $vgpr8
.LBB4_1110:                             ;   in Loop: Header=BB4_356 Depth=4
	s_andn2_saveexec_b64 s[28:29], s[30:31]
; %bb.1111:                             ;   in Loop: Header=BB4_356 Depth=4
	v_or_b32_sdwa v51, v8, s71 dst_sel:DWORD dst_unused:UNUSED_PAD src0_sel:BYTE_3 src1_sel:DWORD
; %bb.1112:                             ;   in Loop: Header=BB4_356 Depth=4
	s_or_b64 exec, exec, s[28:29]
	v_cmp_lt_u32_e32 vcc, s57, v14
	v_mov_b32_e32 v8, 0
	v_mov_b32_e32 v9, 0
	s_and_saveexec_b64 s[28:29], vcc
	s_cbranch_execz .LBB4_1118
; %bb.1113:                             ;   in Loop: Header=BB4_356 Depth=4
	v_lshrrev_b32_e32 v2, 24, v14
	v_cmp_ne_u32_e32 vcc, s70, v2
	v_bfrev_b32_e32 v9, 1
	s_and_saveexec_b64 s[30:31], vcc
	s_cbranch_execz .LBB4_1117
; %bb.1114:                             ;   in Loop: Header=BB4_356 Depth=4
	v_bfe_u32 v1, v14, 24, 7
	v_cmp_ne_u32_e32 vcc, s71, v1
	v_mov_b32_e32 v9, 0x7f800001
	s_and_saveexec_b64 s[34:35], vcc
	s_cbranch_execz .LBB4_1116
; %bb.1115:                             ;   in Loop: Header=BB4_356 Depth=4
	v_and_b32_e32 v9, 7, v2
	v_lshrrev_b32_e32 v50, 3, v1
	v_cmp_gt_u32_e32 vcc, 8, v1
	v_ffbh_u32_e32 v1, v9
	v_min_u32_e32 v1, 32, v1
	v_subrev_u32_e32 v12, 28, v1
	v_lshlrev_b64 v[12:13], v12, v[2:3]
	v_sub_u32_e32 v1, 29, v1
	v_and_b32_e32 v12, 7, v12
	v_cndmask_b32_e32 v1, v50, v1, vcc
	v_cndmask_b32_e32 v9, v9, v12, vcc
	v_lshlrev_b32_e32 v2, 24, v2
	v_lshlrev_b32_e32 v9, 20, v9
	v_and_b32_e32 v2, 0x80000000, v2
	v_lshl_add_u32 v1, v1, 23, v0
	v_or3_b32 v9, v2, v1, v9
.LBB4_1116:                             ;   in Loop: Header=BB4_356 Depth=4
	s_or_b64 exec, exec, s[34:35]
.LBB4_1117:                             ;   in Loop: Header=BB4_356 Depth=4
	s_or_b64 exec, exec, s[30:31]
.LBB4_1118:                             ;   in Loop: Header=BB4_356 Depth=4
	s_or_b64 exec, exec, s[28:29]
	v_cmp_lt_u32_e32 vcc, s57, v10
	s_and_saveexec_b64 s[28:29], vcc
	s_cbranch_execz .LBB4_1124
; %bb.1119:                             ;   in Loop: Header=BB4_356 Depth=4
	v_lshrrev_b32_e32 v2, 24, v10
	v_cmp_ne_u32_e32 vcc, s70, v2
	v_bfrev_b32_e32 v8, 1
	s_and_saveexec_b64 s[30:31], vcc
	s_cbranch_execz .LBB4_1123
; %bb.1120:                             ;   in Loop: Header=BB4_356 Depth=4
	v_bfe_u32 v1, v10, 24, 7
	v_cmp_ne_u32_e32 vcc, s71, v1
	v_mov_b32_e32 v8, 0x7f800001
	s_and_saveexec_b64 s[34:35], vcc
	s_cbranch_execz .LBB4_1122
; %bb.1121:                             ;   in Loop: Header=BB4_356 Depth=4
	v_and_b32_e32 v8, 7, v2
	v_lshrrev_b32_e32 v50, 3, v1
	v_cmp_gt_u32_e32 vcc, 8, v1
	v_ffbh_u32_e32 v1, v8
	v_min_u32_e32 v1, 32, v1
	v_subrev_u32_e32 v12, 28, v1
	v_lshlrev_b64 v[12:13], v12, v[2:3]
	v_sub_u32_e32 v1, 29, v1
	v_and_b32_e32 v12, 7, v12
	v_cndmask_b32_e32 v1, v50, v1, vcc
	v_cndmask_b32_e32 v8, v8, v12, vcc
	v_lshlrev_b32_e32 v2, 24, v2
	v_lshlrev_b32_e32 v8, 20, v8
	v_and_b32_e32 v2, 0x80000000, v2
	v_lshl_add_u32 v1, v1, 23, v0
	v_or3_b32 v8, v2, v1, v8
.LBB4_1122:                             ;   in Loop: Header=BB4_356 Depth=4
	s_or_b64 exec, exec, s[34:35]
.LBB4_1123:                             ;   in Loop: Header=BB4_356 Depth=4
	s_or_b64 exec, exec, s[30:31]
.LBB4_1124:                             ;   in Loop: Header=BB4_356 Depth=4
	s_or_b64 exec, exec, s[28:29]
	v_mul_f32_e32 v8, v9, v8
	v_and_b32_e32 v2, 0x7f800000, v8
	v_cmp_ne_u64_e32 vcc, s[62:63], v[2:3]
                                        ; implicit-def: $vgpr50
	s_and_saveexec_b64 s[28:29], vcc
	s_xor_b64 s[30:31], exec, s[28:29]
	s_cbranch_execz .LBB4_1138
; %bb.1125:                             ;   in Loop: Header=BB4_356 Depth=4
	v_and_b32_e32 v2, 0x7fffffff, v8
	v_cmp_gt_u64_e32 vcc, s[72:73], v[2:3]
	v_and_b32_sdwa v43, v8, s70 dst_sel:DWORD dst_unused:UNUSED_PAD src0_sel:BYTE_3 src1_sel:DWORD
                                        ; implicit-def: $vgpr50
	s_and_saveexec_b64 s[28:29], vcc
	s_xor_b64 s[34:35], exec, s[28:29]
	s_cbranch_execz .LBB4_1135
; %bb.1126:                             ;   in Loop: Header=BB4_356 Depth=4
	v_mov_b32_e32 v50, 0
	v_cmp_ne_u32_e32 vcc, 0, v8
	s_and_saveexec_b64 s[36:37], vcc
	s_cbranch_execz .LBB4_1134
; %bb.1127:                             ;   in Loop: Header=BB4_356 Depth=4
	v_bfe_u32 v50, v8, 23, 8
	v_cmp_gt_u32_e64 s[28:29], s80, v50
	v_sub_u32_e32 v2, 0x79, v50
	v_and_b32_e32 v1, 0x7fffff, v8
	v_cmp_eq_u32_e32 vcc, 0, v50
	v_cndmask_b32_e64 v2, 0, v2, s[28:29]
	v_mov_b32_e32 v9, 0x78
	v_or_b32_e32 v8, 0x800000, v1
	v_cndmask_b32_e32 v58, v2, v9, vcc
	v_cndmask_b32_e32 v2, v8, v1, vcc
	v_add_u32_e32 v1, 20, v58
	v_lshlrev_b64 v[8:9], v1, -1
	v_add_u32_e32 v1, 19, v58
	v_lshlrev_b64 v[12:13], v1, 1
	v_bfi_b32 v9, v9, 0, 0
	v_bfi_b32 v8, v8, 0, v2
	v_cmp_eq_u64_e64 s[28:29], v[8:9], v[12:13]
	v_lshrrev_b64 v[8:9], v58, v[2:3]
	v_mov_b32_e32 v13, v9
	v_mov_b32_e32 v12, v8
	s_and_saveexec_b64 s[38:39], s[28:29]
; %bb.1128:                             ;   in Loop: Header=BB4_356 Depth=4
	v_bfe_u32 v1, v8, 20, 1
	v_add_co_u32_e64 v1, s[28:29], v8, v1
	v_add_co_u32_e64 v12, s[28:29], -1, v1
; %bb.1129:                             ;   in Loop: Header=BB4_356 Depth=4
	s_or_b64 exec, exec, s[38:39]
	v_add_u32_e32 v1, 0xffffff81, v50
	v_mov_b32_e32 v2, 0xffffff82
	v_cndmask_b32_e32 v1, v1, v2, vcc
	v_lshrrev_b32_e32 v2, 23, v8
	v_add3_u32 v50, v58, v1, v2
	v_add_u32_e32 v13, 6, v50
	v_and_b32_e32 v1, 0xfffff, v12
	v_add_u32_e32 v2, v1, v8
	v_cmp_ne_u32_e32 vcc, 0, v13
                                        ; implicit-def: $vgpr8_vgpr9
                                        ; implicit-def: $vgpr1
	s_and_saveexec_b64 s[28:29], vcc
	s_xor_b64 s[28:29], exec, s[28:29]
; %bb.1130:                             ;   in Loop: Header=BB4_356 Depth=4
	v_cmp_lt_u64_e32 vcc, s[88:89], v[2:3]
	v_add_u32_e32 v1, 7, v50
	v_cndmask_b32_e64 v8, 0, 1, vcc
	v_lshrrev_b64 v[8:9], v8, v[2:3]
	v_cndmask_b32_e32 v1, v13, v1, vcc
; %bb.1131:                             ;   in Loop: Header=BB4_356 Depth=4
	s_andn2_saveexec_b64 s[28:29], s[28:29]
; %bb.1132:                             ;   in Loop: Header=BB4_356 Depth=4
	v_mov_b32_e32 v9, v3
	v_bfe_u32 v1, v2, 23, 1
	v_mov_b32_e32 v8, v2
; %bb.1133:                             ;   in Loop: Header=BB4_356 Depth=4
	s_or_b64 exec, exec, s[28:29]
	v_lshrrev_b64 v[8:9], 20, v[8:9]
	v_cmp_gt_i32_e32 vcc, 16, v1
	v_cndmask_b32_e32 v9, 0, v9, vcc
	v_cndmask_b32_e32 v8, 7, v8, vcc
	v_cmp_eq_u32_e32 vcc, 0, v1
	v_min_i32_e32 v1, 15, v1
	v_cmp_eq_u64_e64 s[28:29], 0, v[8:9]
	v_lshlrev_b32_e32 v1, 3, v1
	v_and_b32_e32 v1, 0xf8, v1
	v_and_or_b32 v1, v8, 7, v1
	s_and_b64 s[28:29], vcc, s[28:29]
	v_cndmask_b32_e64 v1, v1, 0, s[28:29]
	v_or_b32_e32 v50, v1, v43
.LBB4_1134:                             ;   in Loop: Header=BB4_356 Depth=4
	s_or_b64 exec, exec, s[36:37]
                                        ; implicit-def: $vgpr43
.LBB4_1135:                             ;   in Loop: Header=BB4_356 Depth=4
	s_andn2_saveexec_b64 s[28:29], s[34:35]
; %bb.1136:                             ;   in Loop: Header=BB4_356 Depth=4
	v_or_b32_e32 v50, 0x7e, v43
; %bb.1137:                             ;   in Loop: Header=BB4_356 Depth=4
	s_or_b64 exec, exec, s[28:29]
                                        ; implicit-def: $vgpr8
.LBB4_1138:                             ;   in Loop: Header=BB4_356 Depth=4
	s_andn2_saveexec_b64 s[28:29], s[30:31]
; %bb.1139:                             ;   in Loop: Header=BB4_356 Depth=4
	v_or_b32_sdwa v50, v8, s71 dst_sel:DWORD dst_unused:UNUSED_PAD src0_sel:BYTE_3 src1_sel:DWORD
; %bb.1140:                             ;   in Loop: Header=BB4_356 Depth=4
	s_or_b64 exec, exec, s[28:29]
	v_mov_b32_e32 v2, v15
	v_cmp_ne_u16_sdwa s[44:45], v15, v3 src0_sel:BYTE_0 src1_sel:DWORD
	v_mov_b32_e32 v9, 0
	v_mov_b32_e32 v8, 0
	s_and_saveexec_b64 s[28:29], s[44:45]
	s_cbranch_execz .LBB4_1146
; %bb.1141:                             ;   in Loop: Header=BB4_356 Depth=4
	v_cmp_ne_u16_sdwa s[44:45], v15, s70 src0_sel:BYTE_0 src1_sel:DWORD
	v_bfrev_b32_e32 v8, 1
	s_and_saveexec_b64 s[30:31], s[44:45]
	s_cbranch_execz .LBB4_1145
; %bb.1142:                             ;   in Loop: Header=BB4_356 Depth=4
	v_and_b32_e32 v1, 0x7f, v15
	v_cmp_ne_u32_e32 vcc, s71, v1
	v_mov_b32_e32 v8, 0x7f800001
	s_and_saveexec_b64 s[34:35], vcc
	s_cbranch_execz .LBB4_1144
; %bb.1143:                             ;   in Loop: Header=BB4_356 Depth=4
	v_and_b32_e32 v8, 7, v15
	v_lshrrev_b32_e32 v12, 3, v1
	v_cmp_gt_u32_e32 vcc, 8, v1
	v_ffbh_u32_e32 v1, v8
	v_min_u32_e32 v1, 32, v1
	v_subrev_u32_e32 v8, 28, v1
	v_sub_u32_e32 v1, 29, v1
	v_cndmask_b32_e32 v8, 0, v8, vcc
	v_cndmask_b32_e32 v1, v12, v1, vcc
	v_lshlrev_b64 v[12:13], v8, v[2:3]
	v_lshl_add_u32 v1, v1, 23, v0
	v_lshlrev_b32_e32 v8, 20, v12
	v_lshlrev_b32_e32 v12, 24, v2
	v_and_b32_e32 v8, 0x700000, v8
	v_and_b32_e32 v12, 0x80000000, v12
	v_or3_b32 v8, v12, v1, v8
.LBB4_1144:                             ;   in Loop: Header=BB4_356 Depth=4
	s_or_b64 exec, exec, s[34:35]
.LBB4_1145:                             ;   in Loop: Header=BB4_356 Depth=4
	s_or_b64 exec, exec, s[30:31]
.LBB4_1146:                             ;   in Loop: Header=BB4_356 Depth=4
	s_or_b64 exec, exec, s[28:29]
	v_cmp_ne_u16_sdwa s[44:45], v11, v3 src0_sel:BYTE_0 src1_sel:DWORD
	s_and_saveexec_b64 s[28:29], s[44:45]
	s_cbranch_execz .LBB4_1152
; %bb.1147:                             ;   in Loop: Header=BB4_356 Depth=4
	v_cmp_ne_u16_sdwa s[44:45], v11, s70 src0_sel:BYTE_0 src1_sel:DWORD
	v_bfrev_b32_e32 v9, 1
	s_and_saveexec_b64 s[30:31], s[44:45]
	s_cbranch_execz .LBB4_1151
; %bb.1148:                             ;   in Loop: Header=BB4_356 Depth=4
	v_and_b32_e32 v1, 0x7f, v11
	v_cmp_ne_u32_e32 vcc, s71, v1
	v_mov_b32_e32 v9, 0x7f800001
	s_and_saveexec_b64 s[34:35], vcc
	s_cbranch_execz .LBB4_1150
; %bb.1149:                             ;   in Loop: Header=BB4_356 Depth=4
	v_and_b32_e32 v9, 7, v11
	v_lshrrev_b32_e32 v40, 3, v1
	v_cmp_gt_u32_e32 vcc, 8, v1
	v_ffbh_u32_e32 v1, v9
	v_min_u32_e32 v1, 32, v1
	v_subrev_u32_e32 v9, 28, v1
	v_mov_b32_e32 v12, v11
	v_mov_b32_e32 v13, v3
	v_cndmask_b32_e32 v9, 0, v9, vcc
	v_lshlrev_b64 v[58:59], v9, v[12:13]
	v_sub_u32_e32 v1, 29, v1
	v_cndmask_b32_e32 v1, v40, v1, vcc
	v_lshlrev_b32_e32 v9, 20, v58
	v_lshlrev_b32_e32 v12, 24, v12
	v_and_b32_e32 v9, 0x700000, v9
	v_and_b32_e32 v12, 0x80000000, v12
	v_lshl_add_u32 v1, v1, 23, v0
	v_or3_b32 v9, v12, v1, v9
.LBB4_1150:                             ;   in Loop: Header=BB4_356 Depth=4
	s_or_b64 exec, exec, s[34:35]
.LBB4_1151:                             ;   in Loop: Header=BB4_356 Depth=4
	s_or_b64 exec, exec, s[30:31]
.LBB4_1152:                             ;   in Loop: Header=BB4_356 Depth=4
	s_or_b64 exec, exec, s[28:29]
	v_mul_f32_e32 v8, v8, v9
	v_and_b32_e32 v12, 0x7f800000, v8
	v_mov_b32_e32 v13, v3
	v_cmp_ne_u64_e32 vcc, s[62:63], v[12:13]
                                        ; implicit-def: $vgpr43
	s_and_saveexec_b64 s[28:29], vcc
	s_xor_b64 s[30:31], exec, s[28:29]
	s_cbranch_execz .LBB4_1166
; %bb.1153:                             ;   in Loop: Header=BB4_356 Depth=4
	v_and_b32_e32 v12, 0x7fffffff, v8
	v_mov_b32_e32 v13, v3
	v_cmp_gt_u64_e32 vcc, s[72:73], v[12:13]
	v_and_b32_sdwa v60, v8, s70 dst_sel:DWORD dst_unused:UNUSED_PAD src0_sel:BYTE_3 src1_sel:DWORD
                                        ; implicit-def: $vgpr43
	s_and_saveexec_b64 s[28:29], vcc
	s_xor_b64 s[34:35], exec, s[28:29]
	s_cbranch_execz .LBB4_1163
; %bb.1154:                             ;   in Loop: Header=BB4_356 Depth=4
	v_mov_b32_e32 v43, 0
	v_cmp_ne_u32_e32 vcc, 0, v8
	s_and_saveexec_b64 s[36:37], vcc
	s_cbranch_execz .LBB4_1162
; %bb.1155:                             ;   in Loop: Header=BB4_356 Depth=4
	v_bfe_u32 v43, v8, 23, 8
	v_and_b32_e32 v1, 0x7fffff, v8
	v_cmp_gt_u32_e64 s[28:29], s80, v43
	v_sub_u32_e32 v8, 0x79, v43
	v_cmp_eq_u32_e32 vcc, 0, v43
	v_cndmask_b32_e64 v8, 0, v8, s[28:29]
	v_mov_b32_e32 v12, 0x78
	v_or_b32_e32 v9, 0x800000, v1
	v_cndmask_b32_e32 v58, v8, v12, vcc
	v_cndmask_b32_e32 v8, v9, v1, vcc
	v_add_u32_e32 v1, 20, v58
	v_lshlrev_b64 v[12:13], v1, -1
	v_mov_b32_e32 v9, v3
	v_add_u32_e32 v1, 19, v58
	v_bfi_b32 v12, v12, 0, v8
	v_lshlrev_b64 v[40:41], v1, 1
	v_lshrrev_b64 v[8:9], v58, v[8:9]
	v_bfi_b32 v13, v13, 0, 0
	v_cmp_eq_u64_e64 s[28:29], v[12:13], v[40:41]
	v_mov_b32_e32 v13, v9
	v_mov_b32_e32 v12, v8
	s_and_saveexec_b64 s[38:39], s[28:29]
; %bb.1156:                             ;   in Loop: Header=BB4_356 Depth=4
	v_bfe_u32 v1, v8, 20, 1
	v_add_co_u32_e64 v1, s[28:29], v8, v1
	v_add_co_u32_e64 v12, s[28:29], -1, v1
; %bb.1157:                             ;   in Loop: Header=BB4_356 Depth=4
	s_or_b64 exec, exec, s[38:39]
	v_add_u32_e32 v1, 0xffffff81, v43
	v_mov_b32_e32 v9, 0xffffff82
	v_cndmask_b32_e32 v1, v1, v9, vcc
	v_lshrrev_b32_e32 v9, 23, v8
	v_add3_u32 v43, v58, v1, v9
	v_add_u32_e32 v13, 6, v43
	v_and_b32_e32 v1, 0xfffff, v12
	v_add_u32_e32 v8, v1, v8
	v_mov_b32_e32 v9, v3
	v_cmp_ne_u32_e32 vcc, 0, v13
                                        ; implicit-def: $vgpr1
	s_and_saveexec_b64 s[28:29], vcc
	s_xor_b64 s[28:29], exec, s[28:29]
; %bb.1158:                             ;   in Loop: Header=BB4_356 Depth=4
	v_cmp_lt_u64_e32 vcc, s[88:89], v[8:9]
	v_add_u32_e32 v1, 7, v43
	v_cndmask_b32_e64 v12, 0, 1, vcc
	v_lshrrev_b64 v[8:9], v12, v[8:9]
	v_cndmask_b32_e32 v1, v13, v1, vcc
; %bb.1159:                             ;   in Loop: Header=BB4_356 Depth=4
	s_andn2_saveexec_b64 s[28:29], s[28:29]
; %bb.1160:                             ;   in Loop: Header=BB4_356 Depth=4
	v_bfe_u32 v1, v8, 23, 1
; %bb.1161:                             ;   in Loop: Header=BB4_356 Depth=4
	s_or_b64 exec, exec, s[28:29]
	v_lshrrev_b64 v[8:9], 20, v[8:9]
	v_cmp_gt_i32_e32 vcc, 16, v1
	v_cndmask_b32_e32 v9, 0, v9, vcc
	v_cndmask_b32_e32 v8, 7, v8, vcc
	v_cmp_eq_u32_e32 vcc, 0, v1
	v_min_i32_e32 v1, 15, v1
	v_cmp_eq_u64_e64 s[28:29], 0, v[8:9]
	v_lshlrev_b32_e32 v1, 3, v1
	v_and_b32_e32 v1, 0xf8, v1
	v_and_or_b32 v1, v8, 7, v1
	s_and_b64 s[28:29], vcc, s[28:29]
	v_cndmask_b32_e64 v1, v1, 0, s[28:29]
	v_or_b32_e32 v43, v1, v60
.LBB4_1162:                             ;   in Loop: Header=BB4_356 Depth=4
	s_or_b64 exec, exec, s[36:37]
                                        ; implicit-def: $vgpr60
.LBB4_1163:                             ;   in Loop: Header=BB4_356 Depth=4
	s_andn2_saveexec_b64 s[28:29], s[34:35]
; %bb.1164:                             ;   in Loop: Header=BB4_356 Depth=4
	v_or_b32_e32 v43, 0x7e, v60
; %bb.1165:                             ;   in Loop: Header=BB4_356 Depth=4
	s_or_b64 exec, exec, s[28:29]
                                        ; implicit-def: $vgpr8
.LBB4_1166:                             ;   in Loop: Header=BB4_356 Depth=4
	s_andn2_saveexec_b64 s[28:29], s[30:31]
; %bb.1167:                             ;   in Loop: Header=BB4_356 Depth=4
	v_or_b32_sdwa v43, v8, s71 dst_sel:DWORD dst_unused:UNUSED_PAD src0_sel:BYTE_3 src1_sel:DWORD
; %bb.1168:                             ;   in Loop: Header=BB4_356 Depth=4
	s_or_b64 exec, exec, s[28:29]
	v_lshrrev_b16_e32 v8, 8, v2
	v_cmp_ne_u16_e32 vcc, 0, v8
	v_mov_b32_e32 v9, 0
	v_mov_b32_e32 v12, 0
	s_and_saveexec_b64 s[28:29], vcc
	s_cbranch_execz .LBB4_1174
; %bb.1169:                             ;   in Loop: Header=BB4_356 Depth=4
	v_cmp_ne_u16_e32 vcc, s70, v8
	v_bfrev_b32_e32 v12, 1
	s_and_saveexec_b64 s[30:31], vcc
	s_cbranch_execz .LBB4_1173
; %bb.1170:                             ;   in Loop: Header=BB4_356 Depth=4
	v_and_b32_e32 v1, 0x7f, v8
	v_cmp_ne_u32_e32 vcc, s71, v1
	v_mov_b32_e32 v12, 0x7f800001
	s_and_saveexec_b64 s[34:35], vcc
	s_cbranch_execz .LBB4_1172
; %bb.1171:                             ;   in Loop: Header=BB4_356 Depth=4
	v_and_b32_e32 v40, 7, v8
	v_lshrrev_b32_e32 v41, 3, v1
	v_cmp_gt_u32_e32 vcc, 8, v1
	v_ffbh_u32_e32 v1, v40
	v_min_u32_e32 v1, 32, v1
	v_subrev_u32_e32 v12, 28, v1
	v_lshlrev_b64 v[12:13], v12, v[8:9]
	v_sub_u32_e32 v1, 29, v1
	v_and_b32_e32 v8, 7, v12
	v_cndmask_b32_e32 v1, v41, v1, vcc
	v_cndmask_b32_e32 v8, v40, v8, vcc
	v_lshlrev_b32_e32 v2, 16, v2
	v_lshlrev_b32_e32 v8, 20, v8
	v_and_b32_e32 v2, 0x80000000, v2
	v_lshl_add_u32 v1, v1, 23, v0
	v_or3_b32 v12, v2, v1, v8
.LBB4_1172:                             ;   in Loop: Header=BB4_356 Depth=4
	s_or_b64 exec, exec, s[34:35]
.LBB4_1173:                             ;   in Loop: Header=BB4_356 Depth=4
	s_or_b64 exec, exec, s[30:31]
.LBB4_1174:                             ;   in Loop: Header=BB4_356 Depth=4
	s_or_b64 exec, exec, s[28:29]
	v_lshrrev_b16_e32 v2, 8, v11
	v_cmp_ne_u16_e32 vcc, 0, v2
	s_and_saveexec_b64 s[28:29], vcc
	s_cbranch_execz .LBB4_1180
; %bb.1175:                             ;   in Loop: Header=BB4_356 Depth=4
	v_cmp_ne_u16_e32 vcc, s70, v2
	v_bfrev_b32_e32 v9, 1
	s_and_saveexec_b64 s[30:31], vcc
	s_cbranch_execz .LBB4_1179
; %bb.1176:                             ;   in Loop: Header=BB4_356 Depth=4
	v_and_b32_e32 v1, 0x7f, v2
	v_cmp_ne_u32_e32 vcc, s71, v1
	v_mov_b32_e32 v9, 0x7f800001
	s_and_saveexec_b64 s[34:35], vcc
	s_cbranch_execz .LBB4_1178
; %bb.1177:                             ;   in Loop: Header=BB4_356 Depth=4
	v_and_b32_e32 v8, 7, v2
	v_lshrrev_b32_e32 v9, 3, v1
	v_cmp_gt_u32_e32 vcc, 8, v1
	v_ffbh_u32_e32 v1, v8
	v_min_u32_e32 v13, 32, v1
	v_subrev_u32_e32 v1, 28, v13
	v_lshlrev_b64 v[1:2], v1, v[2:3]
	v_sub_u32_e32 v2, 29, v13
	v_and_b32_e32 v1, 7, v1
	v_cndmask_b32_e32 v2, v9, v2, vcc
	v_cndmask_b32_e32 v1, v8, v1, vcc
	v_lshlrev_b32_e32 v8, 16, v11
	v_lshlrev_b32_e32 v1, 20, v1
	v_and_b32_e32 v8, 0x80000000, v8
	v_lshl_add_u32 v2, v2, 23, v0
	v_or3_b32 v9, v8, v2, v1
.LBB4_1178:                             ;   in Loop: Header=BB4_356 Depth=4
	s_or_b64 exec, exec, s[34:35]
.LBB4_1179:                             ;   in Loop: Header=BB4_356 Depth=4
	s_or_b64 exec, exec, s[30:31]
.LBB4_1180:                             ;   in Loop: Header=BB4_356 Depth=4
	s_or_b64 exec, exec, s[28:29]
	v_mul_f32_e32 v8, v12, v9
	v_and_b32_e32 v2, 0x7f800000, v8
	v_cmp_ne_u64_e32 vcc, s[62:63], v[2:3]
                                        ; implicit-def: $vgpr60
	s_and_saveexec_b64 s[28:29], vcc
	s_xor_b64 s[30:31], exec, s[28:29]
	s_cbranch_execz .LBB4_1194
; %bb.1181:                             ;   in Loop: Header=BB4_356 Depth=4
	v_and_b32_e32 v2, 0x7fffffff, v8
	v_cmp_gt_u64_e32 vcc, s[72:73], v[2:3]
	v_and_b32_sdwa v58, v8, s70 dst_sel:DWORD dst_unused:UNUSED_PAD src0_sel:BYTE_3 src1_sel:DWORD
                                        ; implicit-def: $vgpr60
	s_and_saveexec_b64 s[28:29], vcc
	s_xor_b64 s[34:35], exec, s[28:29]
	s_cbranch_execz .LBB4_1191
; %bb.1182:                             ;   in Loop: Header=BB4_356 Depth=4
	v_mov_b32_e32 v60, 0
	v_cmp_ne_u32_e32 vcc, 0, v8
	s_and_saveexec_b64 s[36:37], vcc
	s_cbranch_execz .LBB4_1190
; %bb.1183:                             ;   in Loop: Header=BB4_356 Depth=4
	v_bfe_u32 v59, v8, 23, 8
	v_cmp_gt_u32_e64 s[28:29], s80, v59
	v_sub_u32_e32 v2, 0x79, v59
	v_and_b32_e32 v1, 0x7fffff, v8
	v_cmp_eq_u32_e32 vcc, 0, v59
	v_cndmask_b32_e64 v2, 0, v2, s[28:29]
	v_mov_b32_e32 v9, 0x78
	v_or_b32_e32 v8, 0x800000, v1
	v_cndmask_b32_e32 v60, v2, v9, vcc
	v_cndmask_b32_e32 v2, v8, v1, vcc
	v_add_u32_e32 v1, 20, v60
	v_lshlrev_b64 v[8:9], v1, -1
	v_add_u32_e32 v1, 19, v60
	v_lshlrev_b64 v[12:13], v1, 1
	v_bfi_b32 v9, v9, 0, 0
	v_bfi_b32 v8, v8, 0, v2
	v_cmp_eq_u64_e64 s[28:29], v[8:9], v[12:13]
	v_lshrrev_b64 v[8:9], v60, v[2:3]
	v_mov_b32_e32 v13, v9
	v_mov_b32_e32 v12, v8
	s_and_saveexec_b64 s[38:39], s[28:29]
; %bb.1184:                             ;   in Loop: Header=BB4_356 Depth=4
	v_bfe_u32 v1, v8, 20, 1
	v_add_co_u32_e64 v1, s[28:29], v8, v1
	v_add_co_u32_e64 v12, s[28:29], -1, v1
; %bb.1185:                             ;   in Loop: Header=BB4_356 Depth=4
	s_or_b64 exec, exec, s[38:39]
	v_add_u32_e32 v1, 0xffffff81, v59
	v_mov_b32_e32 v2, 0xffffff82
	v_cndmask_b32_e32 v1, v1, v2, vcc
	v_lshrrev_b32_e32 v2, 23, v8
	v_add3_u32 v59, v60, v1, v2
	v_add_u32_e32 v13, 6, v59
	v_and_b32_e32 v1, 0xfffff, v12
	v_add_u32_e32 v2, v1, v8
	v_cmp_ne_u32_e32 vcc, 0, v13
                                        ; implicit-def: $vgpr8_vgpr9
                                        ; implicit-def: $vgpr1
	s_and_saveexec_b64 s[28:29], vcc
	s_xor_b64 s[28:29], exec, s[28:29]
; %bb.1186:                             ;   in Loop: Header=BB4_356 Depth=4
	v_cmp_lt_u64_e32 vcc, s[88:89], v[2:3]
	v_add_u32_e32 v1, 7, v59
	v_cndmask_b32_e64 v8, 0, 1, vcc
	v_lshrrev_b64 v[8:9], v8, v[2:3]
	v_cndmask_b32_e32 v1, v13, v1, vcc
; %bb.1187:                             ;   in Loop: Header=BB4_356 Depth=4
	s_andn2_saveexec_b64 s[28:29], s[28:29]
; %bb.1188:                             ;   in Loop: Header=BB4_356 Depth=4
	v_mov_b32_e32 v9, v3
	v_bfe_u32 v1, v2, 23, 1
	v_mov_b32_e32 v8, v2
; %bb.1189:                             ;   in Loop: Header=BB4_356 Depth=4
	s_or_b64 exec, exec, s[28:29]
	v_lshrrev_b64 v[8:9], 20, v[8:9]
	v_cmp_gt_i32_e32 vcc, 16, v1
	v_cndmask_b32_e32 v9, 0, v9, vcc
	v_cndmask_b32_e32 v8, 7, v8, vcc
	v_cmp_eq_u32_e32 vcc, 0, v1
	v_min_i32_e32 v1, 15, v1
	v_cmp_eq_u64_e64 s[28:29], 0, v[8:9]
	v_lshlrev_b32_e32 v1, 3, v1
	v_and_b32_e32 v1, 0xf8, v1
	v_and_or_b32 v1, v8, 7, v1
	s_and_b64 s[28:29], vcc, s[28:29]
	v_cndmask_b32_e64 v1, v1, 0, s[28:29]
	v_or_b32_e32 v60, v1, v58
.LBB4_1190:                             ;   in Loop: Header=BB4_356 Depth=4
	s_or_b64 exec, exec, s[36:37]
                                        ; implicit-def: $vgpr58
.LBB4_1191:                             ;   in Loop: Header=BB4_356 Depth=4
	s_andn2_saveexec_b64 s[28:29], s[34:35]
; %bb.1192:                             ;   in Loop: Header=BB4_356 Depth=4
	v_or_b32_e32 v60, 0x7e, v58
; %bb.1193:                             ;   in Loop: Header=BB4_356 Depth=4
	s_or_b64 exec, exec, s[28:29]
                                        ; implicit-def: $vgpr8
.LBB4_1194:                             ;   in Loop: Header=BB4_356 Depth=4
	s_andn2_saveexec_b64 s[28:29], s[30:31]
; %bb.1195:                             ;   in Loop: Header=BB4_356 Depth=4
	v_or_b32_sdwa v60, v8, s71 dst_sel:DWORD dst_unused:UNUSED_PAD src0_sel:BYTE_3 src1_sel:DWORD
; %bb.1196:                             ;   in Loop: Header=BB4_356 Depth=4
	s_or_b64 exec, exec, s[28:29]
	v_lshrrev_b32_e32 v2, 16, v15
	v_cmp_ne_u16_sdwa s[44:45], v2, v3 src0_sel:BYTE_0 src1_sel:DWORD
	v_mov_b32_e32 v8, 0
	v_mov_b32_e32 v9, 0
	s_and_saveexec_b64 s[28:29], s[44:45]
	s_cbranch_execz .LBB4_1202
; %bb.1197:                             ;   in Loop: Header=BB4_356 Depth=4
	v_cmp_ne_u16_sdwa s[44:45], v2, s70 src0_sel:BYTE_0 src1_sel:DWORD
	v_bfrev_b32_e32 v9, 1
	s_and_saveexec_b64 s[30:31], s[44:45]
	s_cbranch_execz .LBB4_1201
; %bb.1198:                             ;   in Loop: Header=BB4_356 Depth=4
	v_bfe_u32 v1, v15, 16, 7
	v_cmp_ne_u32_e32 vcc, s71, v1
	v_mov_b32_e32 v9, 0x7f800001
	s_and_saveexec_b64 s[34:35], vcc
	s_cbranch_execz .LBB4_1200
; %bb.1199:                             ;   in Loop: Header=BB4_356 Depth=4
	v_and_b32_e32 v9, 7, v2
	v_lshrrev_b32_e32 v40, 3, v1
	v_cmp_gt_u32_e32 vcc, 8, v1
	v_ffbh_u32_e32 v1, v9
	v_min_u32_e32 v1, 32, v1
	v_subrev_u32_e32 v12, 28, v1
	v_lshlrev_b64 v[12:13], v12, v[2:3]
	v_sub_u32_e32 v1, 29, v1
	v_and_b32_e32 v12, 7, v12
	v_cndmask_b32_e32 v1, v40, v1, vcc
	v_cndmask_b32_e32 v9, v9, v12, vcc
	v_lshlrev_b32_e32 v2, 24, v2
	v_lshlrev_b32_e32 v9, 20, v9
	v_and_b32_e32 v2, 0x80000000, v2
	v_lshl_add_u32 v1, v1, 23, v0
	v_or3_b32 v9, v2, v1, v9
.LBB4_1200:                             ;   in Loop: Header=BB4_356 Depth=4
	s_or_b64 exec, exec, s[34:35]
.LBB4_1201:                             ;   in Loop: Header=BB4_356 Depth=4
	s_or_b64 exec, exec, s[30:31]
.LBB4_1202:                             ;   in Loop: Header=BB4_356 Depth=4
	s_or_b64 exec, exec, s[28:29]
	v_lshrrev_b32_e32 v2, 16, v11
	v_cmp_ne_u16_sdwa s[44:45], v2, v3 src0_sel:BYTE_0 src1_sel:DWORD
	s_and_saveexec_b64 s[28:29], s[44:45]
	s_cbranch_execz .LBB4_1208
; %bb.1203:                             ;   in Loop: Header=BB4_356 Depth=4
	v_cmp_ne_u16_sdwa s[44:45], v2, s70 src0_sel:BYTE_0 src1_sel:DWORD
	v_bfrev_b32_e32 v8, 1
	s_and_saveexec_b64 s[30:31], s[44:45]
	s_cbranch_execz .LBB4_1207
; %bb.1204:                             ;   in Loop: Header=BB4_356 Depth=4
	v_bfe_u32 v1, v11, 16, 7
	v_cmp_ne_u32_e32 vcc, s71, v1
	v_mov_b32_e32 v8, 0x7f800001
	s_and_saveexec_b64 s[34:35], vcc
	s_cbranch_execz .LBB4_1206
; %bb.1205:                             ;   in Loop: Header=BB4_356 Depth=4
	v_and_b32_e32 v8, 7, v2
	v_lshrrev_b32_e32 v12, 3, v1
	v_cmp_gt_u32_e32 vcc, 8, v1
	v_ffbh_u32_e32 v1, v8
	v_min_u32_e32 v13, 32, v1
	v_subrev_u32_e32 v1, 28, v13
	v_lshlrev_b64 v[1:2], v1, v[2:3]
	v_sub_u32_e32 v2, 29, v13
	v_and_b32_e32 v1, 7, v1
	v_cndmask_b32_e32 v2, v12, v2, vcc
	v_cndmask_b32_e32 v1, v8, v1, vcc
	v_lshlrev_b32_e32 v8, 8, v11
	v_lshlrev_b32_e32 v1, 20, v1
	v_and_b32_e32 v8, 0x80000000, v8
	v_lshl_add_u32 v2, v2, 23, v0
	v_or3_b32 v8, v8, v2, v1
.LBB4_1206:                             ;   in Loop: Header=BB4_356 Depth=4
	s_or_b64 exec, exec, s[34:35]
.LBB4_1207:                             ;   in Loop: Header=BB4_356 Depth=4
	s_or_b64 exec, exec, s[30:31]
.LBB4_1208:                             ;   in Loop: Header=BB4_356 Depth=4
	s_or_b64 exec, exec, s[28:29]
	v_mul_f32_e32 v8, v9, v8
	v_and_b32_e32 v2, 0x7f800000, v8
	v_cmp_ne_u64_e32 vcc, s[62:63], v[2:3]
                                        ; implicit-def: $vgpr12
	s_and_saveexec_b64 s[28:29], vcc
	s_xor_b64 s[30:31], exec, s[28:29]
	s_cbranch_execz .LBB4_1222
; %bb.1209:                             ;   in Loop: Header=BB4_356 Depth=4
	v_and_b32_e32 v2, 0x7fffffff, v8
	v_cmp_gt_u64_e32 vcc, s[72:73], v[2:3]
	v_and_b32_sdwa v58, v8, s70 dst_sel:DWORD dst_unused:UNUSED_PAD src0_sel:BYTE_3 src1_sel:DWORD
                                        ; implicit-def: $vgpr12
	s_and_saveexec_b64 s[28:29], vcc
	s_xor_b64 s[34:35], exec, s[28:29]
	s_cbranch_execz .LBB4_1219
; %bb.1210:                             ;   in Loop: Header=BB4_356 Depth=4
	v_mov_b32_e32 v12, 0
	v_cmp_ne_u32_e32 vcc, 0, v8
	s_and_saveexec_b64 s[36:37], vcc
	s_cbranch_execz .LBB4_1218
; %bb.1211:                             ;   in Loop: Header=BB4_356 Depth=4
	v_bfe_u32 v59, v8, 23, 8
	v_cmp_gt_u32_e64 s[28:29], s80, v59
	v_sub_u32_e32 v1, 0x79, v59
	v_and_b32_e32 v2, 0x7fffff, v8
	v_cmp_eq_u32_e32 vcc, 0, v59
	v_cndmask_b32_e64 v1, 0, v1, s[28:29]
	v_mov_b32_e32 v9, 0x78
	v_or_b32_e32 v8, 0x800000, v2
	v_cndmask_b32_e32 v1, v1, v9, vcc
	v_cndmask_b32_e32 v2, v8, v2, vcc
	v_add_u32_e32 v8, 20, v1
	v_lshlrev_b64 v[8:9], v8, -1
	v_add_u32_e32 v12, 19, v1
	v_lshlrev_b64 v[12:13], v12, 1
	v_bfi_b32 v9, v9, 0, 0
	v_bfi_b32 v8, v8, 0, v2
	v_cmp_eq_u64_e64 s[28:29], v[8:9], v[12:13]
	v_lshrrev_b64 v[8:9], v1, v[2:3]
	v_mov_b32_e32 v13, v9
	v_mov_b32_e32 v12, v8
	s_and_saveexec_b64 s[38:39], s[28:29]
; %bb.1212:                             ;   in Loop: Header=BB4_356 Depth=4
	v_bfe_u32 v2, v8, 20, 1
	v_add_co_u32_e64 v2, s[28:29], v8, v2
	v_add_co_u32_e64 v12, s[28:29], -1, v2
; %bb.1213:                             ;   in Loop: Header=BB4_356 Depth=4
	s_or_b64 exec, exec, s[38:39]
	v_add_u32_e32 v2, 0xffffff81, v59
	v_mov_b32_e32 v9, 0xffffff82
	v_cndmask_b32_e32 v2, v2, v9, vcc
	v_lshrrev_b32_e32 v9, 23, v8
	v_add3_u32 v59, v1, v2, v9
	v_add_u32_e32 v13, 6, v59
	v_and_b32_e32 v1, 0xfffff, v12
	v_add_u32_e32 v2, v1, v8
	v_cmp_ne_u32_e32 vcc, 0, v13
                                        ; implicit-def: $vgpr8_vgpr9
                                        ; implicit-def: $vgpr1
	s_and_saveexec_b64 s[28:29], vcc
	s_xor_b64 s[28:29], exec, s[28:29]
; %bb.1214:                             ;   in Loop: Header=BB4_356 Depth=4
	v_cmp_lt_u64_e32 vcc, s[88:89], v[2:3]
	v_add_u32_e32 v1, 7, v59
	v_cndmask_b32_e64 v8, 0, 1, vcc
	v_lshrrev_b64 v[8:9], v8, v[2:3]
	v_cndmask_b32_e32 v1, v13, v1, vcc
; %bb.1215:                             ;   in Loop: Header=BB4_356 Depth=4
	s_andn2_saveexec_b64 s[28:29], s[28:29]
; %bb.1216:                             ;   in Loop: Header=BB4_356 Depth=4
	v_mov_b32_e32 v9, v3
	v_bfe_u32 v1, v2, 23, 1
	v_mov_b32_e32 v8, v2
; %bb.1217:                             ;   in Loop: Header=BB4_356 Depth=4
	s_or_b64 exec, exec, s[28:29]
	v_lshrrev_b64 v[8:9], 20, v[8:9]
	v_cmp_gt_i32_e32 vcc, 16, v1
	v_cndmask_b32_e32 v9, 0, v9, vcc
	v_cndmask_b32_e32 v8, 7, v8, vcc
	v_cmp_eq_u32_e32 vcc, 0, v1
	v_min_i32_e32 v1, 15, v1
	v_cmp_eq_u64_e64 s[28:29], 0, v[8:9]
	v_lshlrev_b32_e32 v1, 3, v1
	v_and_b32_e32 v1, 0xf8, v1
	v_and_or_b32 v1, v8, 7, v1
	s_and_b64 s[28:29], vcc, s[28:29]
	v_cndmask_b32_e64 v1, v1, 0, s[28:29]
	v_or_b32_e32 v12, v1, v58
.LBB4_1218:                             ;   in Loop: Header=BB4_356 Depth=4
	s_or_b64 exec, exec, s[36:37]
                                        ; implicit-def: $vgpr58
.LBB4_1219:                             ;   in Loop: Header=BB4_356 Depth=4
	s_andn2_saveexec_b64 s[28:29], s[34:35]
; %bb.1220:                             ;   in Loop: Header=BB4_356 Depth=4
	v_or_b32_e32 v12, 0x7e, v58
; %bb.1221:                             ;   in Loop: Header=BB4_356 Depth=4
	s_or_b64 exec, exec, s[28:29]
                                        ; implicit-def: $vgpr8
.LBB4_1222:                             ;   in Loop: Header=BB4_356 Depth=4
	s_andn2_saveexec_b64 s[28:29], s[30:31]
; %bb.1223:                             ;   in Loop: Header=BB4_356 Depth=4
	v_or_b32_sdwa v12, v8, s71 dst_sel:DWORD dst_unused:UNUSED_PAD src0_sel:BYTE_3 src1_sel:DWORD
; %bb.1224:                             ;   in Loop: Header=BB4_356 Depth=4
	s_or_b64 exec, exec, s[28:29]
	v_cmp_lt_u64_e32 vcc, s[56:57], v[14:15]
	v_mov_b32_e32 v8, 0
	v_mov_b32_e32 v9, 0
	s_and_saveexec_b64 s[28:29], vcc
	s_cbranch_execz .LBB4_1230
; %bb.1225:                             ;   in Loop: Header=BB4_356 Depth=4
	v_lshrrev_b32_e32 v2, 24, v15
	v_cmp_ne_u32_e32 vcc, s70, v2
	v_bfrev_b32_e32 v9, 1
	s_and_saveexec_b64 s[30:31], vcc
	s_cbranch_execz .LBB4_1229
; %bb.1226:                             ;   in Loop: Header=BB4_356 Depth=4
	v_bfe_u32 v1, v15, 24, 7
	v_cmp_ne_u32_e32 vcc, s71, v1
	v_mov_b32_e32 v9, 0x7f800001
	s_and_saveexec_b64 s[34:35], vcc
	s_cbranch_execz .LBB4_1228
; %bb.1227:                             ;   in Loop: Header=BB4_356 Depth=4
	v_and_b32_e32 v9, 7, v2
	v_lshrrev_b32_e32 v15, 3, v1
	v_cmp_gt_u32_e32 vcc, 8, v1
	v_ffbh_u32_e32 v1, v9
	v_min_u32_e32 v1, 32, v1
	v_subrev_u32_e32 v13, 28, v1
	v_lshlrev_b64 v[13:14], v13, v[2:3]
	v_sub_u32_e32 v1, 29, v1
	v_and_b32_e32 v13, 7, v13
	v_cndmask_b32_e32 v1, v15, v1, vcc
	v_cndmask_b32_e32 v9, v9, v13, vcc
	v_lshlrev_b32_e32 v2, 24, v2
	v_lshlrev_b32_e32 v9, 20, v9
	v_and_b32_e32 v2, 0x80000000, v2
	v_lshl_add_u32 v1, v1, 23, v0
	v_or3_b32 v9, v2, v1, v9
.LBB4_1228:                             ;   in Loop: Header=BB4_356 Depth=4
	s_or_b64 exec, exec, s[34:35]
.LBB4_1229:                             ;   in Loop: Header=BB4_356 Depth=4
	s_or_b64 exec, exec, s[30:31]
.LBB4_1230:                             ;   in Loop: Header=BB4_356 Depth=4
	s_or_b64 exec, exec, s[28:29]
	v_cmp_lt_u64_e32 vcc, s[56:57], v[10:11]
	s_and_saveexec_b64 s[28:29], vcc
	s_cbranch_execz .LBB4_1236
; %bb.1231:                             ;   in Loop: Header=BB4_356 Depth=4
	v_lshrrev_b32_e32 v2, 24, v11
	v_cmp_ne_u32_e32 vcc, s70, v2
	v_bfrev_b32_e32 v8, 1
	s_and_saveexec_b64 s[30:31], vcc
	s_cbranch_execz .LBB4_1235
; %bb.1232:                             ;   in Loop: Header=BB4_356 Depth=4
	v_bfe_u32 v1, v11, 24, 7
	v_cmp_ne_u32_e32 vcc, s71, v1
	v_mov_b32_e32 v8, 0x7f800001
	s_and_saveexec_b64 s[34:35], vcc
	s_cbranch_execz .LBB4_1234
; %bb.1233:                             ;   in Loop: Header=BB4_356 Depth=4
	v_and_b32_e32 v8, 7, v2
	v_lshrrev_b32_e32 v13, 3, v1
	v_cmp_gt_u32_e32 vcc, 8, v1
	v_ffbh_u32_e32 v1, v8
	v_min_u32_e32 v1, 32, v1
	v_subrev_u32_e32 v10, 28, v1
	v_lshlrev_b64 v[10:11], v10, v[2:3]
	v_sub_u32_e32 v1, 29, v1
	v_and_b32_e32 v10, 7, v10
	v_cndmask_b32_e32 v1, v13, v1, vcc
	v_cndmask_b32_e32 v8, v8, v10, vcc
	v_lshlrev_b32_e32 v2, 24, v2
	v_lshlrev_b32_e32 v8, 20, v8
	v_and_b32_e32 v2, 0x80000000, v2
	v_lshl_add_u32 v1, v1, 23, v0
	v_or3_b32 v8, v2, v1, v8
.LBB4_1234:                             ;   in Loop: Header=BB4_356 Depth=4
	s_or_b64 exec, exec, s[34:35]
.LBB4_1235:                             ;   in Loop: Header=BB4_356 Depth=4
	s_or_b64 exec, exec, s[30:31]
.LBB4_1236:                             ;   in Loop: Header=BB4_356 Depth=4
	s_or_b64 exec, exec, s[28:29]
	v_mul_f32_e32 v8, v9, v8
	v_and_b32_e32 v2, 0x7f800000, v8
	v_cmp_ne_u64_e32 vcc, s[62:63], v[2:3]
                                        ; implicit-def: $vgpr2
	s_and_saveexec_b64 s[28:29], vcc
	s_xor_b64 s[30:31], exec, s[28:29]
	s_cbranch_execz .LBB4_1250
; %bb.1237:                             ;   in Loop: Header=BB4_356 Depth=4
	v_and_b32_e32 v2, 0x7fffffff, v8
	v_cmp_gt_u64_e32 vcc, s[72:73], v[2:3]
	v_and_b32_sdwa v11, v8, s70 dst_sel:DWORD dst_unused:UNUSED_PAD src0_sel:BYTE_3 src1_sel:DWORD
                                        ; implicit-def: $vgpr2
	s_and_saveexec_b64 s[28:29], vcc
	s_xor_b64 s[34:35], exec, s[28:29]
	s_cbranch_execz .LBB4_1247
; %bb.1238:                             ;   in Loop: Header=BB4_356 Depth=4
	v_mov_b32_e32 v2, 0
	v_cmp_ne_u32_e32 vcc, 0, v8
	s_and_saveexec_b64 s[36:37], vcc
	s_cbranch_execz .LBB4_1246
; %bb.1239:                             ;   in Loop: Header=BB4_356 Depth=4
	v_bfe_u32 v13, v8, 23, 8
	v_cmp_gt_u32_e64 s[28:29], s80, v13
	v_sub_u32_e32 v1, 0x79, v13
	v_and_b32_e32 v2, 0x7fffff, v8
	v_cmp_eq_u32_e32 vcc, 0, v13
	v_cndmask_b32_e64 v1, 0, v1, s[28:29]
	v_mov_b32_e32 v9, 0x78
	v_or_b32_e32 v8, 0x800000, v2
	v_cndmask_b32_e32 v1, v1, v9, vcc
	v_cndmask_b32_e32 v2, v8, v2, vcc
	v_add_u32_e32 v8, 20, v1
	v_lshlrev_b64 v[8:9], v8, -1
	v_add_u32_e32 v10, 19, v1
	v_lshlrev_b64 v[14:15], v10, 1
	v_bfi_b32 v9, v9, 0, 0
	v_bfi_b32 v8, v8, 0, v2
	v_cmp_eq_u64_e64 s[28:29], v[8:9], v[14:15]
	v_lshrrev_b64 v[8:9], v1, v[2:3]
	v_mov_b32_e32 v10, v9
	v_mov_b32_e32 v9, v8
	s_and_saveexec_b64 s[38:39], s[28:29]
; %bb.1240:                             ;   in Loop: Header=BB4_356 Depth=4
	v_bfe_u32 v2, v8, 20, 1
	v_add_co_u32_e64 v2, s[28:29], v8, v2
	v_add_co_u32_e64 v9, s[28:29], -1, v2
; %bb.1241:                             ;   in Loop: Header=BB4_356 Depth=4
	s_or_b64 exec, exec, s[38:39]
	v_add_u32_e32 v2, 0xffffff81, v13
	v_mov_b32_e32 v10, 0xffffff82
	v_cndmask_b32_e32 v2, v2, v10, vcc
	v_lshrrev_b32_e32 v10, 23, v8
	v_add3_u32 v13, v1, v2, v10
	v_add_u32_e32 v10, 6, v13
	v_and_b32_e32 v1, 0xfffff, v9
	v_add_u32_e32 v2, v1, v8
	v_cmp_ne_u32_e32 vcc, 0, v10
                                        ; implicit-def: $vgpr8_vgpr9
                                        ; implicit-def: $vgpr1
	s_and_saveexec_b64 s[28:29], vcc
	s_xor_b64 s[28:29], exec, s[28:29]
; %bb.1242:                             ;   in Loop: Header=BB4_356 Depth=4
	v_cmp_lt_u64_e32 vcc, s[88:89], v[2:3]
	v_add_u32_e32 v1, 7, v13
	v_cndmask_b32_e64 v8, 0, 1, vcc
	v_lshrrev_b64 v[8:9], v8, v[2:3]
	v_cndmask_b32_e32 v1, v10, v1, vcc
; %bb.1243:                             ;   in Loop: Header=BB4_356 Depth=4
	s_andn2_saveexec_b64 s[28:29], s[28:29]
; %bb.1244:                             ;   in Loop: Header=BB4_356 Depth=4
	v_mov_b32_e32 v9, v3
	v_bfe_u32 v1, v2, 23, 1
	v_mov_b32_e32 v8, v2
; %bb.1245:                             ;   in Loop: Header=BB4_356 Depth=4
	s_or_b64 exec, exec, s[28:29]
	v_lshrrev_b64 v[8:9], 20, v[8:9]
	v_cmp_gt_i32_e32 vcc, 16, v1
	v_cndmask_b32_e32 v9, 0, v9, vcc
	v_cndmask_b32_e32 v8, 7, v8, vcc
	v_cmp_eq_u32_e32 vcc, 0, v1
	v_min_i32_e32 v1, 15, v1
	v_cmp_eq_u64_e64 s[28:29], 0, v[8:9]
	v_lshlrev_b32_e32 v1, 3, v1
	v_and_b32_e32 v1, 0xf8, v1
	v_and_or_b32 v1, v8, 7, v1
	s_and_b64 s[28:29], vcc, s[28:29]
	v_cndmask_b32_e64 v1, v1, 0, s[28:29]
	v_or_b32_e32 v2, v1, v11
.LBB4_1246:                             ;   in Loop: Header=BB4_356 Depth=4
	s_or_b64 exec, exec, s[36:37]
                                        ; implicit-def: $vgpr11
.LBB4_1247:                             ;   in Loop: Header=BB4_356 Depth=4
	s_andn2_saveexec_b64 s[28:29], s[34:35]
; %bb.1248:                             ;   in Loop: Header=BB4_356 Depth=4
	v_or_b32_e32 v2, 0x7e, v11
; %bb.1249:                             ;   in Loop: Header=BB4_356 Depth=4
	s_or_b64 exec, exec, s[28:29]
                                        ; implicit-def: $vgpr8
.LBB4_1250:                             ;   in Loop: Header=BB4_356 Depth=4
	s_andn2_saveexec_b64 s[28:29], s[30:31]
	s_cbranch_execz .LBB4_355
; %bb.1251:                             ;   in Loop: Header=BB4_356 Depth=4
	v_or_b32_sdwa v2, v8, s71 dst_sel:DWORD dst_unused:UNUSED_PAD src0_sel:BYTE_3 src1_sel:DWORD
	s_branch .LBB4_355
.LBB4_1252:                             ;   in Loop: Header=BB4_274 Depth=3
	s_or_b64 exec, exec, s[94:95]
	buffer_load_dword v20, off, s[0:3], s33 offset:188 ; 4-byte Folded Reload
	buffer_load_dword v21, off, s[0:3], s33 offset:184 ; 4-byte Folded Reload
	buffer_load_dword v41, off, s[0:3], s33 offset:200 ; 4-byte Folded Reload
	buffer_load_dword v42, off, s[0:3], s33 offset:204 ; 4-byte Folded Reload
	buffer_load_dword v2, off, s[0:3], s33 offset:208 ; 4-byte Folded Reload
.LBB4_1253:                             ;   in Loop: Header=BB4_274 Depth=3
	s_or_b64 exec, exec, s[40:41]
	s_waitcnt vmcnt(0)
	v_lshlrev_b32_e32 v26, 11, v2
	v_cmp_ne_u32_e32 vcc, v21, v26
	s_mov_b64 s[28:29], 0
	v_mov_b32_e32 v5, 0
                                        ; implicit-def: $vgpr7
                                        ; implicit-def: $vgpr17
                                        ; implicit-def: $vgpr2
	s_and_saveexec_b64 s[94:95], vcc
	s_cbranch_execz .LBB4_1709
; %bb.1254:                             ;   in Loop: Header=BB4_274 Depth=3
	buffer_load_dword v5, off, s[0:3], s33 offset:196 ; 4-byte Folded Reload
	v_lshlrev_b32_e32 v1, 6, v6
	v_sub_u32_e32 v2, v21, v26
	v_ashrrev_i32_e32 v8, 31, v2
	v_lshrrev_b32_e32 v8, 22, v8
	v_add_u32_e32 v8, v2, v8
	v_and_b32_e32 v27, 0xfffffc00, v8
	v_sub_u32_e32 v29, v2, v27
	v_ashrrev_i32_e32 v9, 10, v8
	v_cmp_lt_i32_e32 vcc, 15, v29
	v_mov_b32_e32 v40, v21
	s_waitcnt vmcnt(0)
	v_sub_u32_e32 v1, v5, v1
	v_ashrrev_i32_e32 v5, 31, v1
	v_lshrrev_b32_e32 v5, 26, v5
	v_add_u32_e32 v5, v1, v5
	v_ashrrev_i32_e32 v7, 6, v5
	v_and_b32_e32 v5, 0xffffffc0, v5
	v_sub_u32_e32 v6, v1, v5
	v_lshlrev_b32_e32 v1, 4, v6
	v_lshl_add_u32 v1, v7, 10, v1
	v_sub_u32_e32 v5, v2, v1
	v_addc_co_u32_e64 v2, s[28:29], 0, v9, vcc
	v_sub_u32_e32 v28, v2, v7
	v_cmp_lt_i32_e64 s[28:29], 15, v5
	s_and_saveexec_b64 s[30:31], s[28:29]
	s_cbranch_execz .LBB4_1706
; %bb.1255:                             ;   in Loop: Header=BB4_274 Depth=3
	v_add_u32_e32 v7, v1, v26
	s_trap 2
	ds_read_b64 v[1:2], v0
	v_mov_b32_e32 v9, v41
	v_ashrrev_i32_e32 v8, 31, v7
	v_mov_b32_e32 v10, v42
	v_add_co_u32_e64 v16, s[28:29], v7, v9
	v_addc_co_u32_e64 v17, s[28:29], v8, v10, s[28:29]
	s_waitcnt lgkmcnt(0)
	v_add_co_u32_e64 v18, s[28:29], v1, v7
	v_addc_co_u32_e64 v19, s[28:29], v2, v8, s[28:29]
	buffer_load_dword v1, off, s[0:3], s33 offset:176 ; 4-byte Folded Reload
	buffer_load_dword v2, off, s[0:3], s33 offset:180 ; 4-byte Folded Reload
	s_mov_b64 s[34:35], 0
	s_waitcnt vmcnt(1)
	v_add_co_u32_e64 v20, s[28:29], v7, v1
	s_waitcnt vmcnt(0)
	v_addc_co_u32_e64 v21, s[28:29], v8, v2, s[28:29]
	s_branch .LBB4_1257
.LBB4_1256:                             ;   in Loop: Header=BB4_1257 Depth=4
	s_or_b64 exec, exec, s[28:29]
	v_lshl_or_b32 v1, v35, 8, v25
	v_lshlrev_b32_e32 v8, 16, v24
	v_lshlrev_b32_e32 v9, 24, v36
	v_or3_b32 v8, v1, v8, v9
	v_lshl_or_b32 v1, v30, 8, v7
	v_lshlrev_b32_e32 v7, 16, v31
	v_lshlrev_b32_e32 v9, 24, v34
	v_or3_b32 v7, v1, v7, v9
	;; [unrolled: 4-line block ×3, first 2 shown]
	v_lshlrev_b32_e32 v1, 24, v2
	v_lshlrev_b32_e32 v2, 16, v12
	v_lshl_or_b32 v10, v23, 8, v22
	v_or3_b32 v10, v10, v2, v1
	buffer_load_dword v1, off, s[0:3], s33 offset:68 ; 4-byte Folded Reload
	s_waitcnt vmcnt(0)
	v_add_co_u32_e64 v16, s[28:29], v16, v1
	v_addc_co_u32_e64 v17, s[28:29], 0, v17, s[28:29]
	v_add_co_u32_e64 v18, s[28:29], v18, v1
	v_addc_co_u32_e64 v19, s[28:29], 0, v19, s[28:29]
	global_store_dwordx4 v[20:21], v[7:10], off glc slc
	v_add_co_u32_e64 v20, s[28:29], v20, v1
	v_sub_u32_e32 v5, v5, v1
	buffer_load_dword v1, off, s[0:3], s33 offset:64 ; 4-byte Folded Reload
	v_addc_co_u32_e64 v21, s[28:29], 0, v21, s[28:29]
	v_cmp_gt_i32_e64 s[28:29], 16, v5
	s_or_b64 s[34:35], s[28:29], s[34:35]
	s_waitcnt vmcnt(0)
	v_sub_u32_e32 v28, v28, v1
	s_andn2_b64 exec, exec, s[34:35]
	s_cbranch_execz .LBB4_1705
.LBB4_1257:                             ;   Parent Loop BB4_47 Depth=1
                                        ;     Parent Loop BB4_271 Depth=2
                                        ;       Parent Loop BB4_274 Depth=3
                                        ; =>      This Inner Loop Header: Depth=4
	global_load_dwordx4 v[12:15], v[16:17], off glc slc
	global_load_dwordx4 v[8:11], v[18:19], off glc slc
	v_mov_b32_e32 v2, 0
	s_waitcnt vmcnt(1)
	v_cmp_ne_u16_sdwa s[28:29], v12, v3 src0_sel:BYTE_0 src1_sel:DWORD
	s_and_saveexec_b64 s[40:41], s[28:29]
	s_cbranch_execz .LBB4_1263
; %bb.1258:                             ;   in Loop: Header=BB4_1257 Depth=4
	v_cmp_ne_u16_sdwa s[28:29], v12, s70 src0_sel:BYTE_0 src1_sel:DWORD
	v_bfrev_b32_e32 v2, 1
	s_and_saveexec_b64 s[36:37], s[28:29]
	s_cbranch_execz .LBB4_1262
; %bb.1259:                             ;   in Loop: Header=BB4_1257 Depth=4
	v_and_b32_e32 v1, 0x7f, v12
	v_cmp_ne_u32_e64 s[28:29], s71, v1
	v_mov_b32_e32 v2, 0x7f800001
	s_and_saveexec_b64 s[38:39], s[28:29]
	s_cbranch_execz .LBB4_1261
; %bb.1260:                             ;   in Loop: Header=BB4_1257 Depth=4
	v_and_b32_e32 v2, 7, v12
	v_lshrrev_b32_e32 v7, 3, v1
	v_cmp_gt_u32_e64 s[28:29], 8, v1
	v_ffbh_u32_e32 v1, v2
	v_min_u32_e32 v1, 32, v1
	v_subrev_u32_e32 v2, 28, v1
	v_sub_u32_e32 v1, 29, v1
	v_cndmask_b32_e64 v7, v7, v1, s[28:29]
	v_cndmask_b32_e64 v1, 0, v2, s[28:29]
	v_lshlrev_b64 v[1:2], v1, v[12:13]
	v_lshlrev_b32_e32 v2, 24, v12
	v_lshlrev_b32_e32 v1, 20, v1
	v_and_b32_e32 v1, 0x700000, v1
	v_and_b32_e32 v2, 0x80000000, v2
	v_lshl_add_u32 v7, v7, 23, v0
	v_or3_b32 v2, v2, v7, v1
.LBB4_1261:                             ;   in Loop: Header=BB4_1257 Depth=4
	s_or_b64 exec, exec, s[38:39]
.LBB4_1262:                             ;   in Loop: Header=BB4_1257 Depth=4
	s_or_b64 exec, exec, s[36:37]
.LBB4_1263:                             ;   in Loop: Header=BB4_1257 Depth=4
	s_or_b64 exec, exec, s[40:41]
	s_waitcnt vmcnt(0)
	v_cmp_gt_i16_sdwa s[40:41], v8, s71 src0_sel:BYTE_0 src1_sel:DWORD
	s_mov_b64 s[28:29], 0
	s_and_saveexec_b64 s[44:45], s[40:41]
	s_xor_b64 s[40:41], exec, s[44:45]
	s_cbranch_execz .LBB4_1685
; %bb.1264:                             ;   in Loop: Header=BB4_1257 Depth=4
	v_cmp_eq_u16_sdwa s[44:45], v8, s70 src0_sel:BYTE_0 src1_sel:DWORD
	s_mov_b64 s[28:29], -1
	s_and_saveexec_b64 s[36:37], s[44:45]
; %bb.1265:                             ;   in Loop: Header=BB4_1257 Depth=4
	s_xor_b64 s[28:29], exec, -1
; %bb.1266:                             ;   in Loop: Header=BB4_1257 Depth=4
	s_or_b64 exec, exec, s[36:37]
	s_and_b64 s[28:29], s[28:29], exec
	s_or_saveexec_b64 s[40:41], s[40:41]
	v_bfrev_b32_e32 v1, 1
	s_xor_b64 exec, exec, s[40:41]
	s_cbranch_execnz .LBB4_1686
.LBB4_1267:                             ;   in Loop: Header=BB4_1257 Depth=4
	s_or_b64 exec, exec, s[40:41]
	s_and_saveexec_b64 s[40:41], s[28:29]
	s_cbranch_execz .LBB4_1269
.LBB4_1268:                             ;   in Loop: Header=BB4_1257 Depth=4
	v_and_b32_e32 v1, 7, v8
	v_ffbh_u32_e32 v1, v1
	v_and_b32_e32 v7, 0x7f, v8
	v_min_u32_e32 v1, 32, v1
	v_bfe_u32 v22, v8, 3, 4
	v_subrev_u32_e32 v23, 28, v1
	v_sub_u32_e32 v1, 29, v1
	v_cmp_gt_u32_e64 s[28:29], 8, v7
	v_cndmask_b32_e64 v1, v22, v1, s[28:29]
	v_cndmask_b32_e64 v22, 0, v23, s[28:29]
	v_lshlrev_b64 v[22:23], v22, v[8:9]
	v_lshlrev_b32_e32 v23, 24, v8
	v_lshlrev_b32_e32 v22, 20, v22
	v_and_b32_e32 v22, 0x700000, v22
	v_and_b32_e32 v23, 0x80000000, v23
	v_lshl_add_u32 v1, v1, 23, v0
	v_or3_b32 v1, v23, v1, v22
	v_cmp_ne_u32_e64 s[28:29], s71, v7
	v_mov_b32_e32 v7, 0x7f800001
	v_cndmask_b32_e64 v1, v7, v1, s[28:29]
.LBB4_1269:                             ;   in Loop: Header=BB4_1257 Depth=4
	s_or_b64 exec, exec, s[40:41]
	v_mul_f32_e32 v22, v2, v1
	v_and_b32_e32 v2, 0x7f800000, v22
	v_cmp_ne_u64_e64 s[28:29], s[62:63], v[2:3]
                                        ; implicit-def: $vgpr7
	s_and_saveexec_b64 s[40:41], s[28:29]
	s_xor_b64 s[36:37], exec, s[40:41]
	s_cbranch_execz .LBB4_1283
; %bb.1270:                             ;   in Loop: Header=BB4_1257 Depth=4
	v_and_b32_e32 v2, 0x7fffffff, v22
	v_cmp_gt_u64_e64 s[28:29], s[72:73], v[2:3]
	v_and_b32_sdwa v25, v22, s70 dst_sel:DWORD dst_unused:UNUSED_PAD src0_sel:BYTE_3 src1_sel:DWORD
                                        ; implicit-def: $vgpr7
	s_and_saveexec_b64 s[40:41], s[28:29]
	s_xor_b64 s[38:39], exec, s[40:41]
	s_cbranch_execz .LBB4_1280
; %bb.1271:                             ;   in Loop: Header=BB4_1257 Depth=4
	v_mov_b32_e32 v7, 0
	v_cmp_ne_u32_e64 s[28:29], 0, v22
	s_and_saveexec_b64 s[48:49], s[28:29]
	s_cbranch_execz .LBB4_1279
; %bb.1272:                             ;   in Loop: Header=BB4_1257 Depth=4
	v_bfe_u32 v7, v22, 23, 8
	v_cmp_gt_u32_e64 s[40:41], s80, v7
	v_sub_u32_e32 v1, 0x79, v7
	v_and_b32_e32 v2, 0x7fffff, v22
	v_cmp_eq_u32_e64 s[28:29], 0, v7
	v_cndmask_b32_e64 v1, 0, v1, s[40:41]
	v_mov_b32_e32 v23, 0x78
	v_or_b32_e32 v22, 0x800000, v2
	v_cndmask_b32_e64 v1, v1, v23, s[28:29]
	v_cndmask_b32_e64 v2, v22, v2, s[28:29]
	v_add_u32_e32 v22, 20, v1
	v_lshlrev_b64 v[22:23], v22, -1
	v_add_u32_e32 v24, 19, v1
	v_lshlrev_b64 v[30:31], v24, 1
	v_bfi_b32 v23, v23, 0, 0
	v_bfi_b32 v22, v22, 0, v2
	v_cmp_eq_u64_e64 s[40:41], v[22:23], v[30:31]
	v_lshrrev_b64 v[22:23], v1, v[2:3]
	v_mov_b32_e32 v24, v23
	v_mov_b32_e32 v23, v22
	s_and_saveexec_b64 s[50:51], s[40:41]
; %bb.1273:                             ;   in Loop: Header=BB4_1257 Depth=4
	v_bfe_u32 v2, v22, 20, 1
	v_add_co_u32_e64 v2, s[40:41], v22, v2
	v_add_co_u32_e64 v23, s[40:41], -1, v2
; %bb.1274:                             ;   in Loop: Header=BB4_1257 Depth=4
	s_or_b64 exec, exec, s[50:51]
	v_add_u32_e32 v2, 0xffffff81, v7
	v_mov_b32_e32 v7, 0xffffff82
	v_cndmask_b32_e64 v2, v2, v7, s[28:29]
	v_lshrrev_b32_e32 v7, 23, v22
	v_add3_u32 v24, v1, v2, v7
	v_add_u32_e32 v1, 6, v24
	v_and_b32_e32 v2, 0xfffff, v23
	v_add_u32_e32 v2, v2, v22
	v_cmp_ne_u32_e64 s[28:29], 0, v1
                                        ; implicit-def: $vgpr22_vgpr23
                                        ; implicit-def: $vgpr7
	s_and_saveexec_b64 s[40:41], s[28:29]
	s_xor_b64 s[40:41], exec, s[40:41]
; %bb.1275:                             ;   in Loop: Header=BB4_1257 Depth=4
	v_cmp_lt_u64_e64 s[28:29], s[88:89], v[2:3]
	v_add_u32_e32 v7, 7, v24
	v_cndmask_b32_e64 v7, v1, v7, s[28:29]
	v_cndmask_b32_e64 v1, 0, 1, s[28:29]
	v_lshrrev_b64 v[22:23], v1, v[2:3]
; %bb.1276:                             ;   in Loop: Header=BB4_1257 Depth=4
	s_andn2_saveexec_b64 s[28:29], s[40:41]
; %bb.1277:                             ;   in Loop: Header=BB4_1257 Depth=4
	v_mov_b32_e32 v23, v3
	v_bfe_u32 v7, v2, 23, 1
	v_mov_b32_e32 v22, v2
; %bb.1278:                             ;   in Loop: Header=BB4_1257 Depth=4
	s_or_b64 exec, exec, s[28:29]
	v_lshrrev_b64 v[1:2], 20, v[22:23]
	v_cmp_gt_i32_e64 s[28:29], 16, v7
	v_cndmask_b32_e64 v2, 0, v2, s[28:29]
	v_cndmask_b32_e64 v1, 7, v1, s[28:29]
	v_cmp_eq_u64_e64 s[40:41], 0, v[1:2]
	v_min_i32_e32 v2, 15, v7
	v_lshlrev_b32_e32 v2, 3, v2
	v_cmp_eq_u32_e64 s[28:29], 0, v7
	v_and_b32_e32 v2, 0xf8, v2
	v_and_or_b32 v1, v1, 7, v2
	s_and_b64 s[28:29], s[28:29], s[40:41]
	v_cndmask_b32_e64 v1, v1, 0, s[28:29]
	v_or_b32_e32 v7, v1, v25
.LBB4_1279:                             ;   in Loop: Header=BB4_1257 Depth=4
	s_or_b64 exec, exec, s[48:49]
                                        ; implicit-def: $vgpr25
.LBB4_1280:                             ;   in Loop: Header=BB4_1257 Depth=4
	s_andn2_saveexec_b64 s[28:29], s[38:39]
; %bb.1281:                             ;   in Loop: Header=BB4_1257 Depth=4
	v_or_b32_e32 v7, 0x7e, v25
; %bb.1282:                             ;   in Loop: Header=BB4_1257 Depth=4
	s_or_b64 exec, exec, s[28:29]
                                        ; implicit-def: $vgpr22
.LBB4_1283:                             ;   in Loop: Header=BB4_1257 Depth=4
	s_andn2_saveexec_b64 s[28:29], s[36:37]
; %bb.1284:                             ;   in Loop: Header=BB4_1257 Depth=4
	v_or_b32_sdwa v7, v22, s71 dst_sel:DWORD dst_unused:UNUSED_PAD src0_sel:BYTE_3 src1_sel:DWORD
; %bb.1285:                             ;   in Loop: Header=BB4_1257 Depth=4
	s_or_b64 exec, exec, s[28:29]
	v_lshrrev_b16_e32 v2, 8, v12
	v_cmp_ne_u16_e64 s[28:29], 0, v2
	v_mov_b32_e32 v22, 0
	s_and_saveexec_b64 s[40:41], s[28:29]
	s_cbranch_execz .LBB4_1291
; %bb.1286:                             ;   in Loop: Header=BB4_1257 Depth=4
	v_cmp_ne_u16_e64 s[28:29], s70, v2
	v_bfrev_b32_e32 v22, 1
	s_and_saveexec_b64 s[36:37], s[28:29]
	s_cbranch_execz .LBB4_1290
; %bb.1287:                             ;   in Loop: Header=BB4_1257 Depth=4
	v_and_b32_e32 v1, 0x7f, v2
	v_cmp_ne_u32_e64 s[28:29], s71, v1
	v_mov_b32_e32 v22, 0x7f800001
	s_and_saveexec_b64 s[38:39], s[28:29]
	s_cbranch_execz .LBB4_1289
; %bb.1288:                             ;   in Loop: Header=BB4_1257 Depth=4
	v_and_b32_e32 v22, 7, v2
	v_lshrrev_b32_e32 v23, 3, v1
	v_cmp_gt_u32_e64 s[28:29], 8, v1
	v_ffbh_u32_e32 v1, v22
	v_min_u32_e32 v24, 32, v1
	v_subrev_u32_e32 v1, 28, v24
	v_lshlrev_b64 v[1:2], v1, v[2:3]
	v_sub_u32_e32 v2, 29, v24
	v_and_b32_e32 v1, 7, v1
	v_cndmask_b32_e64 v2, v23, v2, s[28:29]
	v_cndmask_b32_e64 v1, v22, v1, s[28:29]
	v_lshlrev_b32_e32 v22, 16, v12
	v_lshlrev_b32_e32 v1, 20, v1
	v_and_b32_e32 v22, 0x80000000, v22
	v_lshl_add_u32 v2, v2, 23, v0
	v_or3_b32 v22, v22, v2, v1
.LBB4_1289:                             ;   in Loop: Header=BB4_1257 Depth=4
	s_or_b64 exec, exec, s[38:39]
.LBB4_1290:                             ;   in Loop: Header=BB4_1257 Depth=4
	s_or_b64 exec, exec, s[36:37]
.LBB4_1291:                             ;   in Loop: Header=BB4_1257 Depth=4
	s_or_b64 exec, exec, s[40:41]
	v_lshrrev_b16_e32 v2, 8, v8
	v_cmp_lt_i16_e64 s[28:29], s71, v2
	s_mov_b64 s[40:41], 0
	s_and_saveexec_b64 s[44:45], s[28:29]
	s_xor_b64 s[36:37], exec, s[44:45]
	s_cbranch_execz .LBB4_1687
; %bb.1292:                             ;   in Loop: Header=BB4_1257 Depth=4
	v_cmp_eq_u16_e64 s[28:29], s70, v2
	s_mov_b64 s[40:41], -1
	s_and_saveexec_b64 s[38:39], s[28:29]
; %bb.1293:                             ;   in Loop: Header=BB4_1257 Depth=4
	s_xor_b64 s[40:41], exec, -1
; %bb.1294:                             ;   in Loop: Header=BB4_1257 Depth=4
	s_or_b64 exec, exec, s[38:39]
	s_and_b64 s[40:41], s[40:41], exec
	s_or_saveexec_b64 s[36:37], s[36:37]
	v_bfrev_b32_e32 v1, 1
	s_xor_b64 exec, exec, s[36:37]
	s_cbranch_execnz .LBB4_1688
.LBB4_1295:                             ;   in Loop: Header=BB4_1257 Depth=4
	s_or_b64 exec, exec, s[36:37]
	s_and_saveexec_b64 s[36:37], s[40:41]
	s_cbranch_execz .LBB4_1297
.LBB4_1296:                             ;   in Loop: Header=BB4_1257 Depth=4
	v_and_b32_e32 v1, 7, v2
	v_ffbh_u32_e32 v23, v1
	v_min_u32_e32 v31, 32, v23
	v_subrev_u32_e32 v23, 28, v31
	v_lshlrev_b64 v[23:24], v23, v[2:3]
	v_and_b32_e32 v25, 0x7f, v2
	v_bfe_u32 v30, v2, 3, 4
	v_sub_u32_e32 v24, 29, v31
	v_and_b32_e32 v23, 7, v23
	v_cmp_gt_u32_e64 s[28:29], 8, v25
	v_cndmask_b32_e64 v24, v30, v24, s[28:29]
	v_cndmask_b32_e64 v1, v1, v23, s[28:29]
	v_lshlrev_b32_e32 v2, 24, v2
	v_lshlrev_b32_e32 v1, 20, v1
	v_and_b32_e32 v2, 0x80000000, v2
	v_lshl_add_u32 v23, v24, 23, v0
	v_or3_b32 v1, v2, v23, v1
	v_cmp_ne_u32_e64 s[28:29], s71, v25
	v_mov_b32_e32 v2, 0x7f800001
	v_cndmask_b32_e64 v1, v2, v1, s[28:29]
.LBB4_1297:                             ;   in Loop: Header=BB4_1257 Depth=4
	s_or_b64 exec, exec, s[36:37]
	v_mul_f32_e32 v22, v22, v1
	v_and_b32_e32 v2, 0x7f800000, v22
	v_cmp_ne_u64_e64 s[28:29], s[62:63], v[2:3]
                                        ; implicit-def: $vgpr30
	s_and_saveexec_b64 s[40:41], s[28:29]
	s_xor_b64 s[36:37], exec, s[40:41]
	s_cbranch_execz .LBB4_1311
; %bb.1298:                             ;   in Loop: Header=BB4_1257 Depth=4
	v_and_b32_e32 v2, 0x7fffffff, v22
	v_cmp_gt_u64_e64 s[28:29], s[72:73], v[2:3]
	v_and_b32_sdwa v25, v22, s70 dst_sel:DWORD dst_unused:UNUSED_PAD src0_sel:BYTE_3 src1_sel:DWORD
                                        ; implicit-def: $vgpr30
	s_and_saveexec_b64 s[40:41], s[28:29]
	s_xor_b64 s[38:39], exec, s[40:41]
	s_cbranch_execz .LBB4_1308
; %bb.1299:                             ;   in Loop: Header=BB4_1257 Depth=4
	v_mov_b32_e32 v30, 0
	v_cmp_ne_u32_e64 s[28:29], 0, v22
	s_and_saveexec_b64 s[48:49], s[28:29]
	s_cbranch_execz .LBB4_1307
; %bb.1300:                             ;   in Loop: Header=BB4_1257 Depth=4
	v_bfe_u32 v30, v22, 23, 8
	v_cmp_gt_u32_e64 s[40:41], s80, v30
	v_sub_u32_e32 v1, 0x79, v30
	v_and_b32_e32 v2, 0x7fffff, v22
	v_cmp_eq_u32_e64 s[28:29], 0, v30
	v_cndmask_b32_e64 v1, 0, v1, s[40:41]
	v_mov_b32_e32 v23, 0x78
	v_or_b32_e32 v22, 0x800000, v2
	v_cndmask_b32_e64 v1, v1, v23, s[28:29]
	v_cndmask_b32_e64 v2, v22, v2, s[28:29]
	v_add_u32_e32 v22, 20, v1
	v_lshlrev_b64 v[22:23], v22, -1
	v_add_u32_e32 v24, 19, v1
	v_lshlrev_b64 v[34:35], v24, 1
	v_bfi_b32 v23, v23, 0, 0
	v_bfi_b32 v22, v22, 0, v2
	v_cmp_eq_u64_e64 s[40:41], v[22:23], v[34:35]
	v_lshrrev_b64 v[22:23], v1, v[2:3]
	v_mov_b32_e32 v24, v23
	v_mov_b32_e32 v23, v22
	s_and_saveexec_b64 s[50:51], s[40:41]
; %bb.1301:                             ;   in Loop: Header=BB4_1257 Depth=4
	v_bfe_u32 v2, v22, 20, 1
	v_add_co_u32_e64 v2, s[40:41], v22, v2
	v_add_co_u32_e64 v23, s[40:41], -1, v2
; %bb.1302:                             ;   in Loop: Header=BB4_1257 Depth=4
	s_or_b64 exec, exec, s[50:51]
	v_add_u32_e32 v2, 0xffffff81, v30
	v_mov_b32_e32 v24, 0xffffff82
	v_cndmask_b32_e64 v2, v2, v24, s[28:29]
	v_lshrrev_b32_e32 v24, 23, v22
	v_add3_u32 v30, v1, v2, v24
	v_add_u32_e32 v1, 6, v30
	v_and_b32_e32 v2, 0xfffff, v23
	v_add_u32_e32 v2, v2, v22
	v_cmp_ne_u32_e64 s[28:29], 0, v1
                                        ; implicit-def: $vgpr22_vgpr23
                                        ; implicit-def: $vgpr24
	s_and_saveexec_b64 s[40:41], s[28:29]
	s_xor_b64 s[40:41], exec, s[40:41]
; %bb.1303:                             ;   in Loop: Header=BB4_1257 Depth=4
	v_cmp_lt_u64_e64 s[28:29], s[88:89], v[2:3]
	v_add_u32_e32 v22, 7, v30
	v_cndmask_b32_e64 v24, v1, v22, s[28:29]
	v_cndmask_b32_e64 v1, 0, 1, s[28:29]
	v_lshrrev_b64 v[22:23], v1, v[2:3]
; %bb.1304:                             ;   in Loop: Header=BB4_1257 Depth=4
	s_andn2_saveexec_b64 s[28:29], s[40:41]
; %bb.1305:                             ;   in Loop: Header=BB4_1257 Depth=4
	v_mov_b32_e32 v23, v3
	v_bfe_u32 v24, v2, 23, 1
	v_mov_b32_e32 v22, v2
; %bb.1306:                             ;   in Loop: Header=BB4_1257 Depth=4
	s_or_b64 exec, exec, s[28:29]
	v_lshrrev_b64 v[1:2], 20, v[22:23]
	v_cmp_gt_i32_e64 s[28:29], 16, v24
	v_cndmask_b32_e64 v2, 0, v2, s[28:29]
	v_cndmask_b32_e64 v1, 7, v1, s[28:29]
	v_cmp_eq_u64_e64 s[40:41], 0, v[1:2]
	v_min_i32_e32 v2, 15, v24
	v_lshlrev_b32_e32 v2, 3, v2
	v_cmp_eq_u32_e64 s[28:29], 0, v24
	v_and_b32_e32 v2, 0xf8, v2
	v_and_or_b32 v1, v1, 7, v2
	s_and_b64 s[28:29], s[28:29], s[40:41]
	v_cndmask_b32_e64 v1, v1, 0, s[28:29]
	v_or_b32_e32 v30, v1, v25
.LBB4_1307:                             ;   in Loop: Header=BB4_1257 Depth=4
	s_or_b64 exec, exec, s[48:49]
                                        ; implicit-def: $vgpr25
.LBB4_1308:                             ;   in Loop: Header=BB4_1257 Depth=4
	s_andn2_saveexec_b64 s[28:29], s[38:39]
; %bb.1309:                             ;   in Loop: Header=BB4_1257 Depth=4
	v_or_b32_e32 v30, 0x7e, v25
; %bb.1310:                             ;   in Loop: Header=BB4_1257 Depth=4
	s_or_b64 exec, exec, s[28:29]
                                        ; implicit-def: $vgpr22
.LBB4_1311:                             ;   in Loop: Header=BB4_1257 Depth=4
	s_andn2_saveexec_b64 s[28:29], s[36:37]
; %bb.1312:                             ;   in Loop: Header=BB4_1257 Depth=4
	v_or_b32_sdwa v30, v22, s71 dst_sel:DWORD dst_unused:UNUSED_PAD src0_sel:BYTE_3 src1_sel:DWORD
; %bb.1313:                             ;   in Loop: Header=BB4_1257 Depth=4
	s_or_b64 exec, exec, s[28:29]
	v_lshrrev_b32_e32 v2, 16, v12
	v_cmp_ne_u16_sdwa s[28:29], v2, v3 src0_sel:BYTE_0 src1_sel:DWORD
	v_mov_b32_e32 v22, 0
	s_and_saveexec_b64 s[40:41], s[28:29]
	s_cbranch_execz .LBB4_1319
; %bb.1314:                             ;   in Loop: Header=BB4_1257 Depth=4
	v_cmp_ne_u16_sdwa s[28:29], v2, s70 src0_sel:BYTE_0 src1_sel:DWORD
	v_bfrev_b32_e32 v22, 1
	s_and_saveexec_b64 s[36:37], s[28:29]
	s_cbranch_execz .LBB4_1318
; %bb.1315:                             ;   in Loop: Header=BB4_1257 Depth=4
	v_bfe_u32 v1, v12, 16, 7
	v_cmp_ne_u32_e64 s[28:29], s71, v1
	v_mov_b32_e32 v22, 0x7f800001
	s_and_saveexec_b64 s[38:39], s[28:29]
	s_cbranch_execz .LBB4_1317
; %bb.1316:                             ;   in Loop: Header=BB4_1257 Depth=4
	v_and_b32_e32 v24, 7, v2
	v_lshrrev_b32_e32 v25, 3, v1
	v_cmp_gt_u32_e64 s[28:29], 8, v1
	v_ffbh_u32_e32 v1, v24
	v_min_u32_e32 v1, 32, v1
	v_subrev_u32_e32 v22, 28, v1
	v_lshlrev_b64 v[22:23], v22, v[2:3]
	v_sub_u32_e32 v1, 29, v1
	v_and_b32_e32 v22, 7, v22
	v_cndmask_b32_e64 v1, v25, v1, s[28:29]
	v_cndmask_b32_e64 v22, v24, v22, s[28:29]
	v_lshlrev_b32_e32 v2, 24, v2
	v_lshlrev_b32_e32 v22, 20, v22
	v_and_b32_e32 v2, 0x80000000, v2
	v_lshl_add_u32 v1, v1, 23, v0
	v_or3_b32 v22, v2, v1, v22
.LBB4_1317:                             ;   in Loop: Header=BB4_1257 Depth=4
	s_or_b64 exec, exec, s[38:39]
.LBB4_1318:                             ;   in Loop: Header=BB4_1257 Depth=4
	s_or_b64 exec, exec, s[36:37]
.LBB4_1319:                             ;   in Loop: Header=BB4_1257 Depth=4
	s_or_b64 exec, exec, s[40:41]
	v_lshrrev_b32_e32 v2, 16, v8
	v_cmp_gt_i16_sdwa s[40:41], v2, s71 src0_sel:BYTE_0 src1_sel:DWORD
	s_mov_b64 s[28:29], 0
	s_and_saveexec_b64 s[44:45], s[40:41]
	s_xor_b64 s[40:41], exec, s[44:45]
	s_cbranch_execz .LBB4_1689
; %bb.1320:                             ;   in Loop: Header=BB4_1257 Depth=4
	v_cmp_eq_u16_sdwa s[44:45], v2, s70 src0_sel:BYTE_0 src1_sel:DWORD
	s_mov_b64 s[28:29], -1
	s_and_saveexec_b64 s[36:37], s[44:45]
; %bb.1321:                             ;   in Loop: Header=BB4_1257 Depth=4
	s_xor_b64 s[28:29], exec, -1
; %bb.1322:                             ;   in Loop: Header=BB4_1257 Depth=4
	s_or_b64 exec, exec, s[36:37]
	s_and_b64 s[28:29], s[28:29], exec
	s_or_saveexec_b64 s[40:41], s[40:41]
	v_bfrev_b32_e32 v1, 1
	s_xor_b64 exec, exec, s[40:41]
	s_cbranch_execnz .LBB4_1690
.LBB4_1323:                             ;   in Loop: Header=BB4_1257 Depth=4
	s_or_b64 exec, exec, s[40:41]
	s_and_saveexec_b64 s[40:41], s[28:29]
	s_cbranch_execz .LBB4_1325
.LBB4_1324:                             ;   in Loop: Header=BB4_1257 Depth=4
	v_and_b32_e32 v1, 7, v2
	v_ffbh_u32_e32 v23, v1
	v_min_u32_e32 v34, 32, v23
	v_subrev_u32_e32 v23, 28, v34
	v_lshlrev_b64 v[23:24], v23, v[2:3]
	v_and_b32_e32 v25, 0x7f, v2
	v_bfe_u32 v31, v2, 3, 4
	v_sub_u32_e32 v24, 29, v34
	v_and_b32_e32 v23, 7, v23
	v_cmp_gt_u32_e64 s[28:29], 8, v25
	v_cndmask_b32_e64 v24, v31, v24, s[28:29]
	v_cndmask_b32_e64 v1, v1, v23, s[28:29]
	v_lshlrev_b32_e32 v2, 24, v2
	v_lshlrev_b32_e32 v1, 20, v1
	v_and_b32_e32 v2, 0x80000000, v2
	v_lshl_add_u32 v23, v24, 23, v0
	v_or3_b32 v1, v2, v23, v1
	v_cmp_ne_u32_e64 s[28:29], s71, v25
	v_mov_b32_e32 v2, 0x7f800001
	v_cndmask_b32_e64 v1, v2, v1, s[28:29]
.LBB4_1325:                             ;   in Loop: Header=BB4_1257 Depth=4
	s_or_b64 exec, exec, s[40:41]
	v_mul_f32_e32 v22, v22, v1
	v_and_b32_e32 v2, 0x7f800000, v22
	v_cmp_ne_u64_e64 s[28:29], s[62:63], v[2:3]
                                        ; implicit-def: $vgpr31
	s_and_saveexec_b64 s[40:41], s[28:29]
	s_xor_b64 s[36:37], exec, s[40:41]
	s_cbranch_execz .LBB4_1339
; %bb.1326:                             ;   in Loop: Header=BB4_1257 Depth=4
	v_and_b32_e32 v2, 0x7fffffff, v22
	v_cmp_gt_u64_e64 s[28:29], s[72:73], v[2:3]
	v_and_b32_sdwa v25, v22, s70 dst_sel:DWORD dst_unused:UNUSED_PAD src0_sel:BYTE_3 src1_sel:DWORD
                                        ; implicit-def: $vgpr31
	s_and_saveexec_b64 s[40:41], s[28:29]
	s_xor_b64 s[38:39], exec, s[40:41]
	s_cbranch_execz .LBB4_1336
; %bb.1327:                             ;   in Loop: Header=BB4_1257 Depth=4
	v_mov_b32_e32 v31, 0
	v_cmp_ne_u32_e64 s[28:29], 0, v22
	s_and_saveexec_b64 s[48:49], s[28:29]
	s_cbranch_execz .LBB4_1335
; %bb.1328:                             ;   in Loop: Header=BB4_1257 Depth=4
	v_bfe_u32 v31, v22, 23, 8
	v_cmp_gt_u32_e64 s[40:41], s80, v31
	v_sub_u32_e32 v1, 0x79, v31
	v_and_b32_e32 v2, 0x7fffff, v22
	v_cmp_eq_u32_e64 s[28:29], 0, v31
	v_cndmask_b32_e64 v1, 0, v1, s[40:41]
	v_mov_b32_e32 v23, 0x78
	v_or_b32_e32 v22, 0x800000, v2
	v_cndmask_b32_e64 v1, v1, v23, s[28:29]
	v_cndmask_b32_e64 v2, v22, v2, s[28:29]
	v_add_u32_e32 v22, 20, v1
	v_lshlrev_b64 v[22:23], v22, -1
	v_add_u32_e32 v24, 19, v1
	v_lshlrev_b64 v[34:35], v24, 1
	v_bfi_b32 v23, v23, 0, 0
	v_bfi_b32 v22, v22, 0, v2
	v_cmp_eq_u64_e64 s[40:41], v[22:23], v[34:35]
	v_lshrrev_b64 v[22:23], v1, v[2:3]
	v_mov_b32_e32 v24, v23
	v_mov_b32_e32 v23, v22
	s_and_saveexec_b64 s[50:51], s[40:41]
; %bb.1329:                             ;   in Loop: Header=BB4_1257 Depth=4
	v_bfe_u32 v2, v22, 20, 1
	v_add_co_u32_e64 v2, s[40:41], v22, v2
	v_add_co_u32_e64 v23, s[40:41], -1, v2
; %bb.1330:                             ;   in Loop: Header=BB4_1257 Depth=4
	s_or_b64 exec, exec, s[50:51]
	v_add_u32_e32 v2, 0xffffff81, v31
	v_mov_b32_e32 v24, 0xffffff82
	v_cndmask_b32_e64 v2, v2, v24, s[28:29]
	v_lshrrev_b32_e32 v24, 23, v22
	v_add3_u32 v31, v1, v2, v24
	v_add_u32_e32 v1, 6, v31
	v_and_b32_e32 v2, 0xfffff, v23
	v_add_u32_e32 v2, v2, v22
	v_cmp_ne_u32_e64 s[28:29], 0, v1
                                        ; implicit-def: $vgpr22_vgpr23
                                        ; implicit-def: $vgpr24
	s_and_saveexec_b64 s[40:41], s[28:29]
	s_xor_b64 s[40:41], exec, s[40:41]
; %bb.1331:                             ;   in Loop: Header=BB4_1257 Depth=4
	v_cmp_lt_u64_e64 s[28:29], s[88:89], v[2:3]
	v_add_u32_e32 v22, 7, v31
	v_cndmask_b32_e64 v24, v1, v22, s[28:29]
	v_cndmask_b32_e64 v1, 0, 1, s[28:29]
	v_lshrrev_b64 v[22:23], v1, v[2:3]
; %bb.1332:                             ;   in Loop: Header=BB4_1257 Depth=4
	s_andn2_saveexec_b64 s[28:29], s[40:41]
; %bb.1333:                             ;   in Loop: Header=BB4_1257 Depth=4
	v_mov_b32_e32 v23, v3
	v_bfe_u32 v24, v2, 23, 1
	v_mov_b32_e32 v22, v2
; %bb.1334:                             ;   in Loop: Header=BB4_1257 Depth=4
	s_or_b64 exec, exec, s[28:29]
	v_lshrrev_b64 v[1:2], 20, v[22:23]
	v_cmp_gt_i32_e64 s[28:29], 16, v24
	v_cndmask_b32_e64 v2, 0, v2, s[28:29]
	v_cndmask_b32_e64 v1, 7, v1, s[28:29]
	v_cmp_eq_u64_e64 s[40:41], 0, v[1:2]
	v_min_i32_e32 v2, 15, v24
	v_lshlrev_b32_e32 v2, 3, v2
	v_cmp_eq_u32_e64 s[28:29], 0, v24
	v_and_b32_e32 v2, 0xf8, v2
	v_and_or_b32 v1, v1, 7, v2
	s_and_b64 s[28:29], s[28:29], s[40:41]
	v_cndmask_b32_e64 v1, v1, 0, s[28:29]
	v_or_b32_e32 v31, v1, v25
.LBB4_1335:                             ;   in Loop: Header=BB4_1257 Depth=4
	s_or_b64 exec, exec, s[48:49]
                                        ; implicit-def: $vgpr25
.LBB4_1336:                             ;   in Loop: Header=BB4_1257 Depth=4
	s_andn2_saveexec_b64 s[28:29], s[38:39]
; %bb.1337:                             ;   in Loop: Header=BB4_1257 Depth=4
	v_or_b32_e32 v31, 0x7e, v25
; %bb.1338:                             ;   in Loop: Header=BB4_1257 Depth=4
	s_or_b64 exec, exec, s[28:29]
                                        ; implicit-def: $vgpr22
.LBB4_1339:                             ;   in Loop: Header=BB4_1257 Depth=4
	s_andn2_saveexec_b64 s[28:29], s[36:37]
; %bb.1340:                             ;   in Loop: Header=BB4_1257 Depth=4
	v_or_b32_sdwa v31, v22, s71 dst_sel:DWORD dst_unused:UNUSED_PAD src0_sel:BYTE_3 src1_sel:DWORD
; %bb.1341:                             ;   in Loop: Header=BB4_1257 Depth=4
	s_or_b64 exec, exec, s[28:29]
	v_cmp_lt_u32_e64 s[28:29], s57, v12
	v_mov_b32_e32 v22, 0
	s_and_saveexec_b64 s[40:41], s[28:29]
	s_cbranch_execz .LBB4_1347
; %bb.1342:                             ;   in Loop: Header=BB4_1257 Depth=4
	v_lshrrev_b32_e32 v2, 24, v12
	v_cmp_ne_u32_e64 s[28:29], s70, v2
	v_bfrev_b32_e32 v22, 1
	s_and_saveexec_b64 s[36:37], s[28:29]
	s_cbranch_execz .LBB4_1346
; %bb.1343:                             ;   in Loop: Header=BB4_1257 Depth=4
	v_bfe_u32 v1, v12, 24, 7
	v_cmp_ne_u32_e64 s[28:29], s71, v1
	v_mov_b32_e32 v22, 0x7f800001
	s_and_saveexec_b64 s[38:39], s[28:29]
	s_cbranch_execz .LBB4_1345
; %bb.1344:                             ;   in Loop: Header=BB4_1257 Depth=4
	v_and_b32_e32 v24, 7, v2
	v_lshrrev_b32_e32 v25, 3, v1
	v_cmp_gt_u32_e64 s[28:29], 8, v1
	v_ffbh_u32_e32 v1, v24
	v_min_u32_e32 v1, 32, v1
	v_subrev_u32_e32 v22, 28, v1
	v_lshlrev_b64 v[22:23], v22, v[2:3]
	v_sub_u32_e32 v1, 29, v1
	v_and_b32_e32 v22, 7, v22
	v_cndmask_b32_e64 v1, v25, v1, s[28:29]
	v_cndmask_b32_e64 v22, v24, v22, s[28:29]
	v_lshlrev_b32_e32 v2, 24, v2
	v_lshlrev_b32_e32 v22, 20, v22
	v_and_b32_e32 v2, 0x80000000, v2
	v_lshl_add_u32 v1, v1, 23, v0
	v_or3_b32 v22, v2, v1, v22
.LBB4_1345:                             ;   in Loop: Header=BB4_1257 Depth=4
	s_or_b64 exec, exec, s[38:39]
.LBB4_1346:                             ;   in Loop: Header=BB4_1257 Depth=4
	s_or_b64 exec, exec, s[36:37]
.LBB4_1347:                             ;   in Loop: Header=BB4_1257 Depth=4
	s_or_b64 exec, exec, s[40:41]
	v_bfe_u32 v2, v8, 24, 3
	v_ffbh_u32_e32 v23, v2
	v_min_u32_e32 v35, 32, v23
	v_lshrrev_b32_e32 v1, 24, v8
	v_subrev_u32_e32 v23, 28, v35
	v_lshlrev_b64 v[23:24], v23, v[1:2]
	v_bfe_u32 v25, v8, 24, 7
	v_bfe_u32 v34, v1, 3, 4
	v_sub_u32_e32 v24, 29, v35
	v_and_b32_e32 v23, 7, v23
	v_cmp_gt_u32_e64 s[28:29], 8, v25
	v_cndmask_b32_e64 v24, v34, v24, s[28:29]
	v_cndmask_b32_e64 v2, v2, v23, s[28:29]
	v_lshlrev_b32_e32 v2, 20, v2
	v_and_b32_e32 v23, 0x80000000, v8
	v_lshl_add_u32 v24, v24, 23, v0
	v_or3_b32 v2, v23, v24, v2
	v_cmp_ne_u32_e64 s[28:29], s71, v25
	v_mov_b32_e32 v23, 0x7f800001
	v_cndmask_b32_e64 v2, v23, v2, s[28:29]
	v_cmp_ne_u32_e64 s[28:29], s70, v1
	v_bfrev_b32_e32 v1, 1
	v_cndmask_b32_e64 v1, v1, v2, s[28:29]
	v_cmp_lt_u32_e64 s[28:29], s57, v8
	v_cndmask_b32_e64 v1, 0, v1, s[28:29]
	v_mul_f32_e32 v22, v1, v22
	v_and_b32_e32 v2, 0x7f800000, v22
	v_cmp_ne_u64_e64 s[28:29], s[62:63], v[2:3]
                                        ; implicit-def: $vgpr34
	s_and_saveexec_b64 s[40:41], s[28:29]
	s_xor_b64 s[36:37], exec, s[40:41]
	s_cbranch_execz .LBB4_1361
; %bb.1348:                             ;   in Loop: Header=BB4_1257 Depth=4
	v_and_b32_e32 v2, 0x7fffffff, v22
	v_cmp_gt_u64_e64 s[28:29], s[72:73], v[2:3]
	v_and_b32_sdwa v25, v22, s70 dst_sel:DWORD dst_unused:UNUSED_PAD src0_sel:BYTE_3 src1_sel:DWORD
                                        ; implicit-def: $vgpr34
	s_and_saveexec_b64 s[40:41], s[28:29]
	s_xor_b64 s[38:39], exec, s[40:41]
	s_cbranch_execz .LBB4_1358
; %bb.1349:                             ;   in Loop: Header=BB4_1257 Depth=4
	v_mov_b32_e32 v34, 0
	v_cmp_ne_u32_e64 s[28:29], 0, v22
	s_and_saveexec_b64 s[48:49], s[28:29]
	s_cbranch_execz .LBB4_1357
; %bb.1350:                             ;   in Loop: Header=BB4_1257 Depth=4
	v_bfe_u32 v34, v22, 23, 8
	v_cmp_gt_u32_e64 s[40:41], s80, v34
	v_sub_u32_e32 v1, 0x79, v34
	v_and_b32_e32 v2, 0x7fffff, v22
	v_cmp_eq_u32_e64 s[28:29], 0, v34
	v_cndmask_b32_e64 v1, 0, v1, s[40:41]
	v_mov_b32_e32 v23, 0x78
	v_or_b32_e32 v22, 0x800000, v2
	v_cndmask_b32_e64 v1, v1, v23, s[28:29]
	v_cndmask_b32_e64 v2, v22, v2, s[28:29]
	v_add_u32_e32 v22, 20, v1
	v_lshlrev_b64 v[22:23], v22, -1
	v_add_u32_e32 v24, 19, v1
	v_lshlrev_b64 v[35:36], v24, 1
	v_bfi_b32 v23, v23, 0, 0
	v_bfi_b32 v22, v22, 0, v2
	v_cmp_eq_u64_e64 s[40:41], v[22:23], v[35:36]
	v_lshrrev_b64 v[22:23], v1, v[2:3]
	v_mov_b32_e32 v24, v23
	v_mov_b32_e32 v23, v22
	s_and_saveexec_b64 s[50:51], s[40:41]
; %bb.1351:                             ;   in Loop: Header=BB4_1257 Depth=4
	v_bfe_u32 v2, v22, 20, 1
	v_add_co_u32_e64 v2, s[40:41], v22, v2
	v_add_co_u32_e64 v23, s[40:41], -1, v2
; %bb.1352:                             ;   in Loop: Header=BB4_1257 Depth=4
	s_or_b64 exec, exec, s[50:51]
	v_add_u32_e32 v2, 0xffffff81, v34
	v_mov_b32_e32 v24, 0xffffff82
	v_cndmask_b32_e64 v2, v2, v24, s[28:29]
	v_lshrrev_b32_e32 v24, 23, v22
	v_add3_u32 v34, v1, v2, v24
	v_add_u32_e32 v1, 6, v34
	v_and_b32_e32 v2, 0xfffff, v23
	v_add_u32_e32 v2, v2, v22
	v_cmp_ne_u32_e64 s[28:29], 0, v1
                                        ; implicit-def: $vgpr22_vgpr23
                                        ; implicit-def: $vgpr24
	s_and_saveexec_b64 s[40:41], s[28:29]
	s_xor_b64 s[40:41], exec, s[40:41]
; %bb.1353:                             ;   in Loop: Header=BB4_1257 Depth=4
	v_cmp_lt_u64_e64 s[28:29], s[88:89], v[2:3]
	v_add_u32_e32 v22, 7, v34
	v_cndmask_b32_e64 v24, v1, v22, s[28:29]
	v_cndmask_b32_e64 v1, 0, 1, s[28:29]
	v_lshrrev_b64 v[22:23], v1, v[2:3]
; %bb.1354:                             ;   in Loop: Header=BB4_1257 Depth=4
	s_andn2_saveexec_b64 s[28:29], s[40:41]
; %bb.1355:                             ;   in Loop: Header=BB4_1257 Depth=4
	v_mov_b32_e32 v23, v3
	v_bfe_u32 v24, v2, 23, 1
	v_mov_b32_e32 v22, v2
; %bb.1356:                             ;   in Loop: Header=BB4_1257 Depth=4
	s_or_b64 exec, exec, s[28:29]
	v_lshrrev_b64 v[1:2], 20, v[22:23]
	v_cmp_gt_i32_e64 s[28:29], 16, v24
	v_cndmask_b32_e64 v2, 0, v2, s[28:29]
	v_cndmask_b32_e64 v1, 7, v1, s[28:29]
	v_cmp_eq_u64_e64 s[40:41], 0, v[1:2]
	v_min_i32_e32 v2, 15, v24
	v_lshlrev_b32_e32 v2, 3, v2
	v_cmp_eq_u32_e64 s[28:29], 0, v24
	v_and_b32_e32 v2, 0xf8, v2
	v_and_or_b32 v1, v1, 7, v2
	s_and_b64 s[28:29], s[28:29], s[40:41]
	v_cndmask_b32_e64 v1, v1, 0, s[28:29]
	v_or_b32_e32 v34, v1, v25
.LBB4_1357:                             ;   in Loop: Header=BB4_1257 Depth=4
	s_or_b64 exec, exec, s[48:49]
                                        ; implicit-def: $vgpr25
.LBB4_1358:                             ;   in Loop: Header=BB4_1257 Depth=4
	s_andn2_saveexec_b64 s[28:29], s[38:39]
; %bb.1359:                             ;   in Loop: Header=BB4_1257 Depth=4
	v_or_b32_e32 v34, 0x7e, v25
; %bb.1360:                             ;   in Loop: Header=BB4_1257 Depth=4
	s_or_b64 exec, exec, s[28:29]
                                        ; implicit-def: $vgpr22
.LBB4_1361:                             ;   in Loop: Header=BB4_1257 Depth=4
	s_andn2_saveexec_b64 s[28:29], s[36:37]
; %bb.1362:                             ;   in Loop: Header=BB4_1257 Depth=4
	v_or_b32_sdwa v34, v22, s71 dst_sel:DWORD dst_unused:UNUSED_PAD src0_sel:BYTE_3 src1_sel:DWORD
; %bb.1363:                             ;   in Loop: Header=BB4_1257 Depth=4
	s_or_b64 exec, exec, s[28:29]
	v_mov_b32_e32 v2, v13
	v_cmp_ne_u16_sdwa s[28:29], v13, v3 src0_sel:BYTE_0 src1_sel:DWORD
	v_mov_b32_e32 v24, 0
	s_and_saveexec_b64 s[40:41], s[28:29]
	s_cbranch_execz .LBB4_1369
; %bb.1364:                             ;   in Loop: Header=BB4_1257 Depth=4
	v_cmp_ne_u16_sdwa s[28:29], v13, s70 src0_sel:BYTE_0 src1_sel:DWORD
	v_bfrev_b32_e32 v24, 1
	s_and_saveexec_b64 s[36:37], s[28:29]
	s_cbranch_execz .LBB4_1368
; %bb.1365:                             ;   in Loop: Header=BB4_1257 Depth=4
	v_and_b32_e32 v1, 0x7f, v13
	v_cmp_ne_u32_e64 s[28:29], s71, v1
	v_mov_b32_e32 v24, 0x7f800001
	s_and_saveexec_b64 s[38:39], s[28:29]
	s_cbranch_execz .LBB4_1367
; %bb.1366:                             ;   in Loop: Header=BB4_1257 Depth=4
	v_and_b32_e32 v22, 7, v13
	v_lshrrev_b32_e32 v23, 3, v1
	v_cmp_gt_u32_e64 s[28:29], 8, v1
	v_ffbh_u32_e32 v1, v22
	v_min_u32_e32 v1, 32, v1
	v_subrev_u32_e32 v22, 28, v1
	v_sub_u32_e32 v1, 29, v1
	v_cndmask_b32_e64 v22, 0, v22, s[28:29]
	v_cndmask_b32_e64 v1, v23, v1, s[28:29]
	v_lshlrev_b64 v[22:23], v22, v[2:3]
	v_lshlrev_b32_e32 v23, 24, v2
	v_lshlrev_b32_e32 v22, 20, v22
	v_and_b32_e32 v22, 0x700000, v22
	v_and_b32_e32 v23, 0x80000000, v23
	v_lshl_add_u32 v1, v1, 23, v0
	v_or3_b32 v24, v23, v1, v22
.LBB4_1367:                             ;   in Loop: Header=BB4_1257 Depth=4
	s_or_b64 exec, exec, s[38:39]
.LBB4_1368:                             ;   in Loop: Header=BB4_1257 Depth=4
	s_or_b64 exec, exec, s[36:37]
.LBB4_1369:                             ;   in Loop: Header=BB4_1257 Depth=4
	s_or_b64 exec, exec, s[40:41]
	v_cmp_gt_i16_sdwa s[40:41], v9, s71 src0_sel:BYTE_0 src1_sel:DWORD
	s_mov_b64 s[28:29], 0
	s_and_saveexec_b64 s[44:45], s[40:41]
	s_xor_b64 s[40:41], exec, s[44:45]
	s_cbranch_execz .LBB4_1373
; %bb.1370:                             ;   in Loop: Header=BB4_1257 Depth=4
	v_cmp_eq_u16_sdwa s[44:45], v9, s70 src0_sel:BYTE_0 src1_sel:DWORD
	s_mov_b64 s[28:29], -1
	s_and_saveexec_b64 s[36:37], s[44:45]
; %bb.1371:                             ;   in Loop: Header=BB4_1257 Depth=4
	s_xor_b64 s[28:29], exec, -1
; %bb.1372:                             ;   in Loop: Header=BB4_1257 Depth=4
	s_or_b64 exec, exec, s[36:37]
	s_and_b64 s[28:29], s[28:29], exec
.LBB4_1373:                             ;   in Loop: Header=BB4_1257 Depth=4
	s_or_saveexec_b64 s[40:41], s[40:41]
	v_bfrev_b32_e32 v1, 1
	s_xor_b64 exec, exec, s[40:41]
; %bb.1374:                             ;   in Loop: Header=BB4_1257 Depth=4
	v_cmp_ne_u16_sdwa s[44:45], v9, v3 src0_sel:BYTE_0 src1_sel:DWORD
	s_andn2_b64 s[28:29], s[28:29], exec
	s_and_b64 s[44:45], s[44:45], exec
	v_mov_b32_e32 v1, 0
	s_or_b64 s[28:29], s[28:29], s[44:45]
; %bb.1375:                             ;   in Loop: Header=BB4_1257 Depth=4
	s_or_b64 exec, exec, s[40:41]
	v_mov_b32_e32 v22, v9
	v_mov_b32_e32 v23, v3
	s_and_saveexec_b64 s[40:41], s[28:29]
	s_cbranch_execz .LBB4_1377
; %bb.1376:                             ;   in Loop: Header=BB4_1257 Depth=4
	v_and_b32_e32 v1, 7, v9
	v_ffbh_u32_e32 v1, v1
	v_and_b32_e32 v25, 0x7f, v9
	v_min_u32_e32 v1, 32, v1
	v_bfe_u32 v35, v9, 3, 4
	v_subrev_u32_e32 v36, 28, v1
	v_sub_u32_e32 v1, 29, v1
	v_cmp_gt_u32_e64 s[28:29], 8, v25
	v_cndmask_b32_e64 v1, v35, v1, s[28:29]
	v_cndmask_b32_e64 v35, 0, v36, s[28:29]
	v_lshlrev_b64 v[35:36], v35, v[22:23]
	v_lshl_add_u32 v1, v1, 23, v0
	v_lshlrev_b32_e32 v23, 20, v35
	v_lshlrev_b32_e32 v35, 24, v22
	v_and_b32_e32 v23, 0x700000, v23
	v_and_b32_e32 v35, 0x80000000, v35
	v_or3_b32 v1, v35, v1, v23
	v_cmp_ne_u32_e64 s[28:29], s71, v25
	v_mov_b32_e32 v23, 0x7f800001
	v_cndmask_b32_e64 v1, v23, v1, s[28:29]
.LBB4_1377:                             ;   in Loop: Header=BB4_1257 Depth=4
	s_or_b64 exec, exec, s[40:41]
	v_mul_f32_e32 v23, v24, v1
	v_and_b32_e32 v24, 0x7f800000, v23
	v_mov_b32_e32 v25, v3
	v_cmp_ne_u64_e64 s[28:29], s[62:63], v[24:25]
                                        ; implicit-def: $vgpr25
	s_and_saveexec_b64 s[40:41], s[28:29]
	s_xor_b64 s[36:37], exec, s[40:41]
	s_cbranch_execz .LBB4_1391
; %bb.1378:                             ;   in Loop: Header=BB4_1257 Depth=4
	v_and_b32_e32 v24, 0x7fffffff, v23
	v_mov_b32_e32 v25, v3
	v_cmp_gt_u64_e64 s[28:29], s[72:73], v[24:25]
	v_and_b32_sdwa v35, v23, s70 dst_sel:DWORD dst_unused:UNUSED_PAD src0_sel:BYTE_3 src1_sel:DWORD
                                        ; implicit-def: $vgpr25
	s_and_saveexec_b64 s[40:41], s[28:29]
	s_xor_b64 s[38:39], exec, s[40:41]
	s_cbranch_execz .LBB4_1388
; %bb.1379:                             ;   in Loop: Header=BB4_1257 Depth=4
	v_mov_b32_e32 v25, 0
	v_cmp_ne_u32_e64 s[28:29], 0, v23
	s_and_saveexec_b64 s[48:49], s[28:29]
	s_cbranch_execz .LBB4_1387
; %bb.1380:                             ;   in Loop: Header=BB4_1257 Depth=4
	v_bfe_u32 v36, v23, 23, 8
	v_cmp_gt_u32_e64 s[40:41], s80, v36
	v_sub_u32_e32 v1, 0x79, v36
	v_cmp_eq_u32_e64 s[28:29], 0, v36
	v_cndmask_b32_e64 v1, 0, v1, s[40:41]
	v_mov_b32_e32 v25, 0x78
	v_cndmask_b32_e64 v1, v1, v25, s[28:29]
	v_and_b32_e32 v24, 0x7fffff, v23
	v_add_u32_e32 v25, 20, v1
	v_or_b32_e32 v23, 0x800000, v24
	v_lshlrev_b64 v[50:51], v25, -1
	v_cndmask_b32_e64 v23, v23, v24, s[28:29]
	v_mov_b32_e32 v24, v3
	v_add_u32_e32 v25, 19, v1
	v_bfi_b32 v50, v50, 0, v23
	v_lshlrev_b64 v[52:53], v25, 1
	v_lshrrev_b64 v[23:24], v1, v[23:24]
	v_bfi_b32 v51, v51, 0, 0
	v_cmp_eq_u64_e64 s[40:41], v[50:51], v[52:53]
	v_mov_b32_e32 v25, v24
	v_mov_b32_e32 v24, v23
	s_and_saveexec_b64 s[50:51], s[40:41]
; %bb.1381:                             ;   in Loop: Header=BB4_1257 Depth=4
	v_bfe_u32 v24, v23, 20, 1
	v_add_co_u32_e64 v24, s[40:41], v23, v24
	v_add_co_u32_e64 v24, s[40:41], -1, v24
; %bb.1382:                             ;   in Loop: Header=BB4_1257 Depth=4
	s_or_b64 exec, exec, s[50:51]
	v_add_u32_e32 v25, 0xffffff81, v36
	v_mov_b32_e32 v36, 0xffffff82
	v_cndmask_b32_e64 v25, v25, v36, s[28:29]
	v_lshrrev_b32_e32 v36, 23, v23
	v_add3_u32 v36, v1, v25, v36
	v_add_u32_e32 v1, 6, v36
	v_and_b32_e32 v24, 0xfffff, v24
	v_add_u32_e32 v23, v24, v23
	v_mov_b32_e32 v24, v3
	v_cmp_ne_u32_e64 s[28:29], 0, v1
                                        ; implicit-def: $vgpr25
	s_and_saveexec_b64 s[40:41], s[28:29]
	s_xor_b64 s[40:41], exec, s[40:41]
; %bb.1383:                             ;   in Loop: Header=BB4_1257 Depth=4
	v_cmp_lt_u64_e64 s[28:29], s[88:89], v[23:24]
	v_add_u32_e32 v25, 7, v36
	v_cndmask_b32_e64 v25, v1, v25, s[28:29]
	v_cndmask_b32_e64 v1, 0, 1, s[28:29]
	v_lshrrev_b64 v[23:24], v1, v[23:24]
; %bb.1384:                             ;   in Loop: Header=BB4_1257 Depth=4
	s_andn2_saveexec_b64 s[28:29], s[40:41]
; %bb.1385:                             ;   in Loop: Header=BB4_1257 Depth=4
	v_bfe_u32 v25, v23, 23, 1
; %bb.1386:                             ;   in Loop: Header=BB4_1257 Depth=4
	s_or_b64 exec, exec, s[28:29]
	v_lshrrev_b64 v[23:24], 20, v[23:24]
	v_cmp_gt_i32_e64 s[28:29], 16, v25
	v_cndmask_b32_e64 v24, 0, v24, s[28:29]
	v_cndmask_b32_e64 v23, 7, v23, s[28:29]
	v_min_i32_e32 v1, 15, v25
	v_cmp_eq_u64_e64 s[40:41], 0, v[23:24]
	v_lshlrev_b32_e32 v1, 3, v1
	v_cmp_eq_u32_e64 s[28:29], 0, v25
	v_and_b32_e32 v1, 0xf8, v1
	v_and_or_b32 v1, v23, 7, v1
	s_and_b64 s[28:29], s[28:29], s[40:41]
	v_cndmask_b32_e64 v1, v1, 0, s[28:29]
	v_or_b32_e32 v25, v1, v35
.LBB4_1387:                             ;   in Loop: Header=BB4_1257 Depth=4
	s_or_b64 exec, exec, s[48:49]
                                        ; implicit-def: $vgpr35
.LBB4_1388:                             ;   in Loop: Header=BB4_1257 Depth=4
	s_andn2_saveexec_b64 s[28:29], s[38:39]
; %bb.1389:                             ;   in Loop: Header=BB4_1257 Depth=4
	v_or_b32_e32 v25, 0x7e, v35
; %bb.1390:                             ;   in Loop: Header=BB4_1257 Depth=4
	s_or_b64 exec, exec, s[28:29]
                                        ; implicit-def: $vgpr23
.LBB4_1391:                             ;   in Loop: Header=BB4_1257 Depth=4
	s_andn2_saveexec_b64 s[28:29], s[36:37]
; %bb.1392:                             ;   in Loop: Header=BB4_1257 Depth=4
	v_or_b32_sdwa v25, v23, s71 dst_sel:DWORD dst_unused:UNUSED_PAD src0_sel:BYTE_3 src1_sel:DWORD
; %bb.1393:                             ;   in Loop: Header=BB4_1257 Depth=4
	s_or_b64 exec, exec, s[28:29]
	v_lshrrev_b16_e32 v23, 8, v2
	v_cmp_ne_u16_e64 s[28:29], 0, v23
	v_mov_b32_e32 v24, 0
	s_and_saveexec_b64 s[40:41], s[28:29]
	s_cbranch_execz .LBB4_1399
; %bb.1394:                             ;   in Loop: Header=BB4_1257 Depth=4
	v_cmp_ne_u16_e64 s[28:29], s70, v23
	v_bfrev_b32_e32 v24, 1
	s_and_saveexec_b64 s[36:37], s[28:29]
	s_cbranch_execz .LBB4_1398
; %bb.1395:                             ;   in Loop: Header=BB4_1257 Depth=4
	v_and_b32_e32 v1, 0x7f, v23
	v_cmp_ne_u32_e64 s[28:29], s71, v1
	v_mov_b32_e32 v24, 0x7f800001
	s_and_saveexec_b64 s[38:39], s[28:29]
	s_cbranch_execz .LBB4_1397
; %bb.1396:                             ;   in Loop: Header=BB4_1257 Depth=4
	v_and_b32_e32 v35, 7, v23
	v_lshrrev_b32_e32 v36, 3, v1
	v_cmp_gt_u32_e64 s[28:29], 8, v1
	v_ffbh_u32_e32 v1, v35
	v_min_u32_e32 v1, 32, v1
	v_subrev_u32_e32 v24, 28, v1
	v_lshlrev_b64 v[23:24], v24, v[23:24]
	v_sub_u32_e32 v1, 29, v1
	v_and_b32_e32 v23, 7, v23
	v_cndmask_b32_e64 v1, v36, v1, s[28:29]
	v_cndmask_b32_e64 v23, v35, v23, s[28:29]
	v_lshlrev_b32_e32 v2, 16, v2
	v_lshlrev_b32_e32 v23, 20, v23
	v_and_b32_e32 v2, 0x80000000, v2
	v_lshl_add_u32 v1, v1, 23, v0
	v_or3_b32 v24, v2, v1, v23
.LBB4_1397:                             ;   in Loop: Header=BB4_1257 Depth=4
	s_or_b64 exec, exec, s[38:39]
.LBB4_1398:                             ;   in Loop: Header=BB4_1257 Depth=4
	s_or_b64 exec, exec, s[36:37]
.LBB4_1399:                             ;   in Loop: Header=BB4_1257 Depth=4
	s_or_b64 exec, exec, s[40:41]
	v_lshrrev_b16_e32 v2, 8, v22
	v_cmp_lt_i16_e64 s[28:29], s71, v2
	s_mov_b64 s[40:41], 0
	s_and_saveexec_b64 s[44:45], s[28:29]
	s_xor_b64 s[36:37], exec, s[44:45]
	s_cbranch_execz .LBB4_1691
; %bb.1400:                             ;   in Loop: Header=BB4_1257 Depth=4
	v_cmp_eq_u16_e64 s[28:29], s70, v2
	s_mov_b64 s[40:41], -1
	s_and_saveexec_b64 s[38:39], s[28:29]
; %bb.1401:                             ;   in Loop: Header=BB4_1257 Depth=4
	s_xor_b64 s[40:41], exec, -1
; %bb.1402:                             ;   in Loop: Header=BB4_1257 Depth=4
	s_or_b64 exec, exec, s[38:39]
	s_and_b64 s[40:41], s[40:41], exec
	s_or_saveexec_b64 s[36:37], s[36:37]
	v_bfrev_b32_e32 v1, 1
	s_xor_b64 exec, exec, s[36:37]
	s_cbranch_execnz .LBB4_1692
.LBB4_1403:                             ;   in Loop: Header=BB4_1257 Depth=4
	s_or_b64 exec, exec, s[36:37]
	s_and_saveexec_b64 s[36:37], s[40:41]
	s_cbranch_execz .LBB4_1405
.LBB4_1404:                             ;   in Loop: Header=BB4_1257 Depth=4
	v_and_b32_e32 v1, 7, v2
	v_ffbh_u32_e32 v22, v1
	v_min_u32_e32 v37, 32, v22
	v_subrev_u32_e32 v22, 28, v37
	v_lshlrev_b64 v[22:23], v22, v[2:3]
	v_and_b32_e32 v35, 0x7f, v2
	v_bfe_u32 v36, v2, 3, 4
	v_sub_u32_e32 v23, 29, v37
	v_and_b32_e32 v22, 7, v22
	v_cmp_gt_u32_e64 s[28:29], 8, v35
	v_cndmask_b32_e64 v23, v36, v23, s[28:29]
	v_cndmask_b32_e64 v1, v1, v22, s[28:29]
	v_lshlrev_b32_e32 v2, 24, v2
	v_lshlrev_b32_e32 v1, 20, v1
	v_and_b32_e32 v2, 0x80000000, v2
	v_lshl_add_u32 v22, v23, 23, v0
	v_or3_b32 v1, v2, v22, v1
	v_cmp_ne_u32_e64 s[28:29], s71, v35
	v_mov_b32_e32 v2, 0x7f800001
	v_cndmask_b32_e64 v1, v2, v1, s[28:29]
.LBB4_1405:                             ;   in Loop: Header=BB4_1257 Depth=4
	s_or_b64 exec, exec, s[36:37]
	v_mul_f32_e32 v22, v24, v1
	v_and_b32_e32 v2, 0x7f800000, v22
	v_cmp_ne_u64_e64 s[28:29], s[62:63], v[2:3]
                                        ; implicit-def: $vgpr35
	s_and_saveexec_b64 s[40:41], s[28:29]
	s_xor_b64 s[36:37], exec, s[40:41]
	s_cbranch_execz .LBB4_1419
; %bb.1406:                             ;   in Loop: Header=BB4_1257 Depth=4
	v_and_b32_e32 v2, 0x7fffffff, v22
	v_cmp_gt_u64_e64 s[28:29], s[72:73], v[2:3]
	v_and_b32_sdwa v36, v22, s70 dst_sel:DWORD dst_unused:UNUSED_PAD src0_sel:BYTE_3 src1_sel:DWORD
                                        ; implicit-def: $vgpr35
	s_and_saveexec_b64 s[40:41], s[28:29]
	s_xor_b64 s[38:39], exec, s[40:41]
	s_cbranch_execz .LBB4_1416
; %bb.1407:                             ;   in Loop: Header=BB4_1257 Depth=4
	v_mov_b32_e32 v35, 0
	v_cmp_ne_u32_e64 s[28:29], 0, v22
	s_and_saveexec_b64 s[48:49], s[28:29]
	s_cbranch_execz .LBB4_1415
; %bb.1408:                             ;   in Loop: Header=BB4_1257 Depth=4
	v_bfe_u32 v35, v22, 23, 8
	v_cmp_gt_u32_e64 s[40:41], s80, v35
	v_sub_u32_e32 v1, 0x79, v35
	v_and_b32_e32 v2, 0x7fffff, v22
	v_cmp_eq_u32_e64 s[28:29], 0, v35
	v_cndmask_b32_e64 v1, 0, v1, s[40:41]
	v_mov_b32_e32 v23, 0x78
	v_or_b32_e32 v22, 0x800000, v2
	v_cndmask_b32_e64 v1, v1, v23, s[28:29]
	v_cndmask_b32_e64 v2, v22, v2, s[28:29]
	v_add_u32_e32 v22, 20, v1
	v_lshlrev_b64 v[22:23], v22, -1
	v_add_u32_e32 v24, 19, v1
	v_lshlrev_b64 v[50:51], v24, 1
	v_bfi_b32 v23, v23, 0, 0
	v_bfi_b32 v22, v22, 0, v2
	v_cmp_eq_u64_e64 s[40:41], v[22:23], v[50:51]
	v_lshrrev_b64 v[22:23], v1, v[2:3]
	v_mov_b32_e32 v24, v23
	v_mov_b32_e32 v23, v22
	s_and_saveexec_b64 s[50:51], s[40:41]
; %bb.1409:                             ;   in Loop: Header=BB4_1257 Depth=4
	v_bfe_u32 v2, v22, 20, 1
	v_add_co_u32_e64 v2, s[40:41], v22, v2
	v_add_co_u32_e64 v23, s[40:41], -1, v2
; %bb.1410:                             ;   in Loop: Header=BB4_1257 Depth=4
	s_or_b64 exec, exec, s[50:51]
	v_add_u32_e32 v2, 0xffffff81, v35
	v_mov_b32_e32 v24, 0xffffff82
	v_cndmask_b32_e64 v2, v2, v24, s[28:29]
	v_lshrrev_b32_e32 v24, 23, v22
	v_add3_u32 v35, v1, v2, v24
	v_add_u32_e32 v1, 6, v35
	v_and_b32_e32 v2, 0xfffff, v23
	v_add_u32_e32 v2, v2, v22
	v_cmp_ne_u32_e64 s[28:29], 0, v1
                                        ; implicit-def: $vgpr22_vgpr23
                                        ; implicit-def: $vgpr24
	s_and_saveexec_b64 s[40:41], s[28:29]
	s_xor_b64 s[40:41], exec, s[40:41]
; %bb.1411:                             ;   in Loop: Header=BB4_1257 Depth=4
	v_cmp_lt_u64_e64 s[28:29], s[88:89], v[2:3]
	v_add_u32_e32 v22, 7, v35
	v_cndmask_b32_e64 v24, v1, v22, s[28:29]
	v_cndmask_b32_e64 v1, 0, 1, s[28:29]
	v_lshrrev_b64 v[22:23], v1, v[2:3]
; %bb.1412:                             ;   in Loop: Header=BB4_1257 Depth=4
	s_andn2_saveexec_b64 s[28:29], s[40:41]
; %bb.1413:                             ;   in Loop: Header=BB4_1257 Depth=4
	v_mov_b32_e32 v23, v3
	v_bfe_u32 v24, v2, 23, 1
	v_mov_b32_e32 v22, v2
; %bb.1414:                             ;   in Loop: Header=BB4_1257 Depth=4
	s_or_b64 exec, exec, s[28:29]
	v_lshrrev_b64 v[1:2], 20, v[22:23]
	v_cmp_gt_i32_e64 s[28:29], 16, v24
	v_cndmask_b32_e64 v2, 0, v2, s[28:29]
	v_cndmask_b32_e64 v1, 7, v1, s[28:29]
	v_cmp_eq_u64_e64 s[40:41], 0, v[1:2]
	v_min_i32_e32 v2, 15, v24
	v_lshlrev_b32_e32 v2, 3, v2
	v_cmp_eq_u32_e64 s[28:29], 0, v24
	v_and_b32_e32 v2, 0xf8, v2
	v_and_or_b32 v1, v1, 7, v2
	s_and_b64 s[28:29], s[28:29], s[40:41]
	v_cndmask_b32_e64 v1, v1, 0, s[28:29]
	v_or_b32_e32 v35, v1, v36
.LBB4_1415:                             ;   in Loop: Header=BB4_1257 Depth=4
	s_or_b64 exec, exec, s[48:49]
                                        ; implicit-def: $vgpr36
.LBB4_1416:                             ;   in Loop: Header=BB4_1257 Depth=4
	s_andn2_saveexec_b64 s[28:29], s[38:39]
; %bb.1417:                             ;   in Loop: Header=BB4_1257 Depth=4
	v_or_b32_e32 v35, 0x7e, v36
; %bb.1418:                             ;   in Loop: Header=BB4_1257 Depth=4
	s_or_b64 exec, exec, s[28:29]
                                        ; implicit-def: $vgpr22
.LBB4_1419:                             ;   in Loop: Header=BB4_1257 Depth=4
	s_andn2_saveexec_b64 s[28:29], s[36:37]
; %bb.1420:                             ;   in Loop: Header=BB4_1257 Depth=4
	v_or_b32_sdwa v35, v22, s71 dst_sel:DWORD dst_unused:UNUSED_PAD src0_sel:BYTE_3 src1_sel:DWORD
; %bb.1421:                             ;   in Loop: Header=BB4_1257 Depth=4
	s_or_b64 exec, exec, s[28:29]
	v_lshrrev_b32_e32 v2, 16, v13
	v_cmp_ne_u16_sdwa s[28:29], v2, v3 src0_sel:BYTE_0 src1_sel:DWORD
	v_mov_b32_e32 v22, 0
	s_and_saveexec_b64 s[40:41], s[28:29]
	s_cbranch_execz .LBB4_1427
; %bb.1422:                             ;   in Loop: Header=BB4_1257 Depth=4
	v_cmp_ne_u16_sdwa s[28:29], v2, s70 src0_sel:BYTE_0 src1_sel:DWORD
	v_bfrev_b32_e32 v22, 1
	s_and_saveexec_b64 s[36:37], s[28:29]
	s_cbranch_execz .LBB4_1426
; %bb.1423:                             ;   in Loop: Header=BB4_1257 Depth=4
	v_bfe_u32 v1, v13, 16, 7
	v_cmp_ne_u32_e64 s[28:29], s71, v1
	v_mov_b32_e32 v22, 0x7f800001
	s_and_saveexec_b64 s[38:39], s[28:29]
	s_cbranch_execz .LBB4_1425
; %bb.1424:                             ;   in Loop: Header=BB4_1257 Depth=4
	v_and_b32_e32 v24, 7, v2
	v_lshrrev_b32_e32 v36, 3, v1
	v_cmp_gt_u32_e64 s[28:29], 8, v1
	v_ffbh_u32_e32 v1, v24
	v_min_u32_e32 v1, 32, v1
	v_subrev_u32_e32 v22, 28, v1
	v_lshlrev_b64 v[22:23], v22, v[2:3]
	v_sub_u32_e32 v1, 29, v1
	v_and_b32_e32 v22, 7, v22
	v_cndmask_b32_e64 v1, v36, v1, s[28:29]
	v_cndmask_b32_e64 v22, v24, v22, s[28:29]
	v_lshlrev_b32_e32 v2, 24, v2
	v_lshlrev_b32_e32 v22, 20, v22
	v_and_b32_e32 v2, 0x80000000, v2
	v_lshl_add_u32 v1, v1, 23, v0
	v_or3_b32 v22, v2, v1, v22
.LBB4_1425:                             ;   in Loop: Header=BB4_1257 Depth=4
	s_or_b64 exec, exec, s[38:39]
.LBB4_1426:                             ;   in Loop: Header=BB4_1257 Depth=4
	s_or_b64 exec, exec, s[36:37]
.LBB4_1427:                             ;   in Loop: Header=BB4_1257 Depth=4
	s_or_b64 exec, exec, s[40:41]
	v_lshrrev_b32_e32 v2, 16, v9
	v_cmp_gt_i16_sdwa s[40:41], v2, s71 src0_sel:BYTE_0 src1_sel:DWORD
	s_mov_b64 s[28:29], 0
	s_and_saveexec_b64 s[44:45], s[40:41]
	s_xor_b64 s[40:41], exec, s[44:45]
	s_cbranch_execz .LBB4_1693
; %bb.1428:                             ;   in Loop: Header=BB4_1257 Depth=4
	v_cmp_eq_u16_sdwa s[44:45], v2, s70 src0_sel:BYTE_0 src1_sel:DWORD
	s_mov_b64 s[28:29], -1
	s_and_saveexec_b64 s[36:37], s[44:45]
; %bb.1429:                             ;   in Loop: Header=BB4_1257 Depth=4
	s_xor_b64 s[28:29], exec, -1
; %bb.1430:                             ;   in Loop: Header=BB4_1257 Depth=4
	s_or_b64 exec, exec, s[36:37]
	s_and_b64 s[28:29], s[28:29], exec
	s_or_saveexec_b64 s[40:41], s[40:41]
	v_bfrev_b32_e32 v1, 1
	s_xor_b64 exec, exec, s[40:41]
	s_cbranch_execnz .LBB4_1694
.LBB4_1431:                             ;   in Loop: Header=BB4_1257 Depth=4
	s_or_b64 exec, exec, s[40:41]
	s_and_saveexec_b64 s[40:41], s[28:29]
	s_cbranch_execz .LBB4_1433
.LBB4_1432:                             ;   in Loop: Header=BB4_1257 Depth=4
	v_and_b32_e32 v1, 7, v2
	v_ffbh_u32_e32 v23, v1
	v_min_u32_e32 v50, 32, v23
	v_subrev_u32_e32 v23, 28, v50
	v_lshlrev_b64 v[23:24], v23, v[2:3]
	v_and_b32_e32 v36, 0x7f, v2
	v_bfe_u32 v37, v2, 3, 4
	v_sub_u32_e32 v24, 29, v50
	v_and_b32_e32 v23, 7, v23
	v_cmp_gt_u32_e64 s[28:29], 8, v36
	v_cndmask_b32_e64 v24, v37, v24, s[28:29]
	v_cndmask_b32_e64 v1, v1, v23, s[28:29]
	v_lshlrev_b32_e32 v2, 24, v2
	v_lshlrev_b32_e32 v1, 20, v1
	v_and_b32_e32 v2, 0x80000000, v2
	v_lshl_add_u32 v23, v24, 23, v0
	v_or3_b32 v1, v2, v23, v1
	v_cmp_ne_u32_e64 s[28:29], s71, v36
	v_mov_b32_e32 v2, 0x7f800001
	v_cndmask_b32_e64 v1, v2, v1, s[28:29]
.LBB4_1433:                             ;   in Loop: Header=BB4_1257 Depth=4
	s_or_b64 exec, exec, s[40:41]
	v_mul_f32_e32 v22, v22, v1
	v_and_b32_e32 v2, 0x7f800000, v22
	v_cmp_ne_u64_e64 s[28:29], s[62:63], v[2:3]
                                        ; implicit-def: $vgpr24
	s_and_saveexec_b64 s[40:41], s[28:29]
	s_xor_b64 s[36:37], exec, s[40:41]
	s_cbranch_execz .LBB4_1447
; %bb.1434:                             ;   in Loop: Header=BB4_1257 Depth=4
	v_and_b32_e32 v2, 0x7fffffff, v22
	v_cmp_gt_u64_e64 s[28:29], s[72:73], v[2:3]
	v_and_b32_sdwa v36, v22, s70 dst_sel:DWORD dst_unused:UNUSED_PAD src0_sel:BYTE_3 src1_sel:DWORD
                                        ; implicit-def: $vgpr24
	s_and_saveexec_b64 s[40:41], s[28:29]
	s_xor_b64 s[38:39], exec, s[40:41]
	s_cbranch_execz .LBB4_1444
; %bb.1435:                             ;   in Loop: Header=BB4_1257 Depth=4
	v_mov_b32_e32 v24, 0
	v_cmp_ne_u32_e64 s[28:29], 0, v22
	s_and_saveexec_b64 s[48:49], s[28:29]
	s_cbranch_execz .LBB4_1443
; %bb.1436:                             ;   in Loop: Header=BB4_1257 Depth=4
	v_bfe_u32 v37, v22, 23, 8
	v_cmp_gt_u32_e64 s[40:41], s80, v37
	v_sub_u32_e32 v1, 0x79, v37
	v_and_b32_e32 v2, 0x7fffff, v22
	v_cmp_eq_u32_e64 s[28:29], 0, v37
	v_cndmask_b32_e64 v1, 0, v1, s[40:41]
	v_mov_b32_e32 v23, 0x78
	v_or_b32_e32 v22, 0x800000, v2
	v_cndmask_b32_e64 v1, v1, v23, s[28:29]
	v_cndmask_b32_e64 v2, v22, v2, s[28:29]
	v_add_u32_e32 v22, 20, v1
	v_lshlrev_b64 v[22:23], v22, -1
	v_add_u32_e32 v24, 19, v1
	v_lshlrev_b64 v[50:51], v24, 1
	v_bfi_b32 v23, v23, 0, 0
	v_bfi_b32 v22, v22, 0, v2
	v_cmp_eq_u64_e64 s[40:41], v[22:23], v[50:51]
	v_lshrrev_b64 v[22:23], v1, v[2:3]
	v_mov_b32_e32 v24, v23
	v_mov_b32_e32 v23, v22
	s_and_saveexec_b64 s[50:51], s[40:41]
; %bb.1437:                             ;   in Loop: Header=BB4_1257 Depth=4
	v_bfe_u32 v2, v22, 20, 1
	v_add_co_u32_e64 v2, s[40:41], v22, v2
	v_add_co_u32_e64 v23, s[40:41], -1, v2
; %bb.1438:                             ;   in Loop: Header=BB4_1257 Depth=4
	s_or_b64 exec, exec, s[50:51]
	v_add_u32_e32 v2, 0xffffff81, v37
	v_mov_b32_e32 v24, 0xffffff82
	v_cndmask_b32_e64 v2, v2, v24, s[28:29]
	v_lshrrev_b32_e32 v24, 23, v22
	v_add3_u32 v37, v1, v2, v24
	v_add_u32_e32 v1, 6, v37
	v_and_b32_e32 v2, 0xfffff, v23
	v_add_u32_e32 v2, v2, v22
	v_cmp_ne_u32_e64 s[28:29], 0, v1
                                        ; implicit-def: $vgpr22_vgpr23
                                        ; implicit-def: $vgpr24
	s_and_saveexec_b64 s[40:41], s[28:29]
	s_xor_b64 s[40:41], exec, s[40:41]
; %bb.1439:                             ;   in Loop: Header=BB4_1257 Depth=4
	v_cmp_lt_u64_e64 s[28:29], s[88:89], v[2:3]
	v_add_u32_e32 v22, 7, v37
	v_cndmask_b32_e64 v24, v1, v22, s[28:29]
	v_cndmask_b32_e64 v1, 0, 1, s[28:29]
	v_lshrrev_b64 v[22:23], v1, v[2:3]
; %bb.1440:                             ;   in Loop: Header=BB4_1257 Depth=4
	s_andn2_saveexec_b64 s[28:29], s[40:41]
; %bb.1441:                             ;   in Loop: Header=BB4_1257 Depth=4
	v_mov_b32_e32 v23, v3
	v_bfe_u32 v24, v2, 23, 1
	v_mov_b32_e32 v22, v2
; %bb.1442:                             ;   in Loop: Header=BB4_1257 Depth=4
	s_or_b64 exec, exec, s[28:29]
	v_lshrrev_b64 v[1:2], 20, v[22:23]
	v_cmp_gt_i32_e64 s[28:29], 16, v24
	v_cndmask_b32_e64 v2, 0, v2, s[28:29]
	v_cndmask_b32_e64 v1, 7, v1, s[28:29]
	v_cmp_eq_u64_e64 s[40:41], 0, v[1:2]
	v_min_i32_e32 v2, 15, v24
	v_lshlrev_b32_e32 v2, 3, v2
	v_cmp_eq_u32_e64 s[28:29], 0, v24
	v_and_b32_e32 v2, 0xf8, v2
	v_and_or_b32 v1, v1, 7, v2
	s_and_b64 s[28:29], s[28:29], s[40:41]
	v_cndmask_b32_e64 v1, v1, 0, s[28:29]
	v_or_b32_e32 v24, v1, v36
.LBB4_1443:                             ;   in Loop: Header=BB4_1257 Depth=4
	s_or_b64 exec, exec, s[48:49]
                                        ; implicit-def: $vgpr36
.LBB4_1444:                             ;   in Loop: Header=BB4_1257 Depth=4
	s_andn2_saveexec_b64 s[28:29], s[38:39]
; %bb.1445:                             ;   in Loop: Header=BB4_1257 Depth=4
	v_or_b32_e32 v24, 0x7e, v36
; %bb.1446:                             ;   in Loop: Header=BB4_1257 Depth=4
	s_or_b64 exec, exec, s[28:29]
                                        ; implicit-def: $vgpr22
.LBB4_1447:                             ;   in Loop: Header=BB4_1257 Depth=4
	s_andn2_saveexec_b64 s[28:29], s[36:37]
; %bb.1448:                             ;   in Loop: Header=BB4_1257 Depth=4
	v_or_b32_sdwa v24, v22, s71 dst_sel:DWORD dst_unused:UNUSED_PAD src0_sel:BYTE_3 src1_sel:DWORD
; %bb.1449:                             ;   in Loop: Header=BB4_1257 Depth=4
	s_or_b64 exec, exec, s[28:29]
	v_cmp_lt_u64_e64 s[28:29], s[56:57], v[12:13]
	v_mov_b32_e32 v12, 0
	s_and_saveexec_b64 s[40:41], s[28:29]
	s_cbranch_execz .LBB4_1455
; %bb.1450:                             ;   in Loop: Header=BB4_1257 Depth=4
	v_lshrrev_b32_e32 v2, 24, v13
	v_cmp_ne_u32_e64 s[28:29], s70, v2
	v_bfrev_b32_e32 v12, 1
	s_and_saveexec_b64 s[36:37], s[28:29]
	s_cbranch_execz .LBB4_1454
; %bb.1451:                             ;   in Loop: Header=BB4_1257 Depth=4
	v_bfe_u32 v1, v13, 24, 7
	v_cmp_ne_u32_e64 s[28:29], s71, v1
	v_mov_b32_e32 v12, 0x7f800001
	s_and_saveexec_b64 s[38:39], s[28:29]
	s_cbranch_execz .LBB4_1453
; %bb.1452:                             ;   in Loop: Header=BB4_1257 Depth=4
	v_and_b32_e32 v22, 7, v2
	v_lshrrev_b32_e32 v23, 3, v1
	v_cmp_gt_u32_e64 s[28:29], 8, v1
	v_ffbh_u32_e32 v1, v22
	v_min_u32_e32 v1, 32, v1
	v_subrev_u32_e32 v12, 28, v1
	v_lshlrev_b64 v[12:13], v12, v[2:3]
	v_sub_u32_e32 v1, 29, v1
	v_and_b32_e32 v12, 7, v12
	v_cndmask_b32_e64 v1, v23, v1, s[28:29]
	v_cndmask_b32_e64 v12, v22, v12, s[28:29]
	v_lshlrev_b32_e32 v2, 24, v2
	v_lshlrev_b32_e32 v12, 20, v12
	v_and_b32_e32 v2, 0x80000000, v2
	v_lshl_add_u32 v1, v1, 23, v0
	v_or3_b32 v12, v2, v1, v12
.LBB4_1453:                             ;   in Loop: Header=BB4_1257 Depth=4
	s_or_b64 exec, exec, s[38:39]
.LBB4_1454:                             ;   in Loop: Header=BB4_1257 Depth=4
	s_or_b64 exec, exec, s[36:37]
.LBB4_1455:                             ;   in Loop: Header=BB4_1257 Depth=4
	s_or_b64 exec, exec, s[40:41]
	v_bfe_u32 v2, v9, 24, 3
	v_ffbh_u32_e32 v22, v2
	v_min_u32_e32 v37, 32, v22
	v_lshrrev_b32_e32 v1, 24, v9
	v_subrev_u32_e32 v22, 28, v37
	v_lshlrev_b64 v[22:23], v22, v[1:2]
	v_bfe_u32 v13, v9, 24, 7
	v_bfe_u32 v36, v1, 3, 4
	v_sub_u32_e32 v23, 29, v37
	v_and_b32_e32 v22, 7, v22
	v_cmp_gt_u32_e64 s[28:29], 8, v13
	v_cndmask_b32_e64 v23, v36, v23, s[28:29]
	v_cndmask_b32_e64 v2, v2, v22, s[28:29]
	v_lshlrev_b32_e32 v2, 20, v2
	v_and_b32_e32 v22, 0x80000000, v9
	v_lshl_add_u32 v23, v23, 23, v0
	v_or3_b32 v2, v22, v23, v2
	v_cmp_ne_u32_e64 s[28:29], s71, v13
	v_mov_b32_e32 v13, 0x7f800001
	v_cndmask_b32_e64 v2, v13, v2, s[28:29]
	v_cmp_ne_u32_e64 s[28:29], s70, v1
	v_bfrev_b32_e32 v1, 1
	v_cndmask_b32_e64 v1, v1, v2, s[28:29]
	v_cmp_lt_u64_e64 s[28:29], s[56:57], v[8:9]
                                        ; implicit-def: $vgpr36
	v_cndmask_b32_e64 v1, 0, v1, s[28:29]
	v_mul_f32_e32 v8, v1, v12
	v_and_b32_e32 v2, 0x7f800000, v8
	v_cmp_ne_u64_e64 s[28:29], s[62:63], v[2:3]
	s_and_saveexec_b64 s[40:41], s[28:29]
	s_xor_b64 s[36:37], exec, s[40:41]
	s_cbranch_execz .LBB4_1469
; %bb.1456:                             ;   in Loop: Header=BB4_1257 Depth=4
	v_and_b32_e32 v2, 0x7fffffff, v8
	v_cmp_gt_u64_e64 s[28:29], s[72:73], v[2:3]
	v_and_b32_sdwa v22, v8, s70 dst_sel:DWORD dst_unused:UNUSED_PAD src0_sel:BYTE_3 src1_sel:DWORD
                                        ; implicit-def: $vgpr36
	s_and_saveexec_b64 s[40:41], s[28:29]
	s_xor_b64 s[38:39], exec, s[40:41]
	s_cbranch_execz .LBB4_1466
; %bb.1457:                             ;   in Loop: Header=BB4_1257 Depth=4
	v_mov_b32_e32 v36, 0
	v_cmp_ne_u32_e64 s[28:29], 0, v8
	s_and_saveexec_b64 s[48:49], s[28:29]
	s_cbranch_execz .LBB4_1465
; %bb.1458:                             ;   in Loop: Header=BB4_1257 Depth=4
	v_bfe_u32 v23, v8, 23, 8
	v_cmp_gt_u32_e64 s[40:41], s80, v23
	v_sub_u32_e32 v1, 0x79, v23
	v_and_b32_e32 v2, 0x7fffff, v8
	v_cmp_eq_u32_e64 s[28:29], 0, v23
	v_cndmask_b32_e64 v1, 0, v1, s[40:41]
	v_mov_b32_e32 v9, 0x78
	v_or_b32_e32 v8, 0x800000, v2
	v_cndmask_b32_e64 v1, v1, v9, s[28:29]
	v_cndmask_b32_e64 v2, v8, v2, s[28:29]
	v_add_u32_e32 v8, 20, v1
	v_lshlrev_b64 v[8:9], v8, -1
	v_add_u32_e32 v12, 19, v1
	v_lshlrev_b64 v[12:13], v12, 1
	v_bfi_b32 v9, v9, 0, 0
	v_bfi_b32 v8, v8, 0, v2
	v_cmp_eq_u64_e64 s[40:41], v[8:9], v[12:13]
	v_lshrrev_b64 v[8:9], v1, v[2:3]
	v_mov_b32_e32 v13, v9
	v_mov_b32_e32 v12, v8
	s_and_saveexec_b64 s[50:51], s[40:41]
; %bb.1459:                             ;   in Loop: Header=BB4_1257 Depth=4
	v_bfe_u32 v2, v8, 20, 1
	v_add_co_u32_e64 v2, s[40:41], v8, v2
	v_add_co_u32_e64 v12, s[40:41], -1, v2
; %bb.1460:                             ;   in Loop: Header=BB4_1257 Depth=4
	s_or_b64 exec, exec, s[50:51]
	v_add_u32_e32 v2, 0xffffff81, v23
	v_mov_b32_e32 v9, 0xffffff82
	v_cndmask_b32_e64 v2, v2, v9, s[28:29]
	v_lshrrev_b32_e32 v9, 23, v8
	v_add3_u32 v13, v1, v2, v9
	v_add_u32_e32 v1, 6, v13
	v_and_b32_e32 v2, 0xfffff, v12
	v_add_u32_e32 v2, v2, v8
	v_cmp_ne_u32_e64 s[28:29], 0, v1
                                        ; implicit-def: $vgpr8_vgpr9
                                        ; implicit-def: $vgpr12
	s_and_saveexec_b64 s[40:41], s[28:29]
	s_xor_b64 s[40:41], exec, s[40:41]
; %bb.1461:                             ;   in Loop: Header=BB4_1257 Depth=4
	v_cmp_lt_u64_e64 s[28:29], s[88:89], v[2:3]
	v_add_u32_e32 v8, 7, v13
	v_cndmask_b32_e64 v12, v1, v8, s[28:29]
	v_cndmask_b32_e64 v1, 0, 1, s[28:29]
	v_lshrrev_b64 v[8:9], v1, v[2:3]
; %bb.1462:                             ;   in Loop: Header=BB4_1257 Depth=4
	s_andn2_saveexec_b64 s[28:29], s[40:41]
; %bb.1463:                             ;   in Loop: Header=BB4_1257 Depth=4
	v_mov_b32_e32 v9, v3
	v_bfe_u32 v12, v2, 23, 1
	v_mov_b32_e32 v8, v2
; %bb.1464:                             ;   in Loop: Header=BB4_1257 Depth=4
	s_or_b64 exec, exec, s[28:29]
	v_lshrrev_b64 v[1:2], 20, v[8:9]
	v_cmp_gt_i32_e64 s[28:29], 16, v12
	v_cndmask_b32_e64 v2, 0, v2, s[28:29]
	v_cndmask_b32_e64 v1, 7, v1, s[28:29]
	v_cmp_eq_u64_e64 s[40:41], 0, v[1:2]
	v_min_i32_e32 v2, 15, v12
	v_lshlrev_b32_e32 v2, 3, v2
	v_cmp_eq_u32_e64 s[28:29], 0, v12
	v_and_b32_e32 v2, 0xf8, v2
	v_and_or_b32 v1, v1, 7, v2
	s_and_b64 s[28:29], s[28:29], s[40:41]
	v_cndmask_b32_e64 v1, v1, 0, s[28:29]
	v_or_b32_e32 v36, v1, v22
.LBB4_1465:                             ;   in Loop: Header=BB4_1257 Depth=4
	s_or_b64 exec, exec, s[48:49]
                                        ; implicit-def: $vgpr22
.LBB4_1466:                             ;   in Loop: Header=BB4_1257 Depth=4
	s_andn2_saveexec_b64 s[28:29], s[38:39]
; %bb.1467:                             ;   in Loop: Header=BB4_1257 Depth=4
	v_or_b32_e32 v36, 0x7e, v22
; %bb.1468:                             ;   in Loop: Header=BB4_1257 Depth=4
	s_or_b64 exec, exec, s[28:29]
                                        ; implicit-def: $vgpr8
.LBB4_1469:                             ;   in Loop: Header=BB4_1257 Depth=4
	s_andn2_saveexec_b64 s[28:29], s[36:37]
; %bb.1470:                             ;   in Loop: Header=BB4_1257 Depth=4
	v_or_b32_sdwa v36, v8, s71 dst_sel:DWORD dst_unused:UNUSED_PAD src0_sel:BYTE_3 src1_sel:DWORD
; %bb.1471:                             ;   in Loop: Header=BB4_1257 Depth=4
	s_or_b64 exec, exec, s[28:29]
	v_cmp_ne_u16_sdwa s[28:29], v14, v3 src0_sel:BYTE_0 src1_sel:DWORD
	v_mov_b32_e32 v2, 0
	s_and_saveexec_b64 s[40:41], s[28:29]
	s_cbranch_execz .LBB4_1477
; %bb.1472:                             ;   in Loop: Header=BB4_1257 Depth=4
	v_cmp_ne_u16_sdwa s[28:29], v14, s70 src0_sel:BYTE_0 src1_sel:DWORD
	v_bfrev_b32_e32 v2, 1
	s_and_saveexec_b64 s[36:37], s[28:29]
	s_cbranch_execz .LBB4_1476
; %bb.1473:                             ;   in Loop: Header=BB4_1257 Depth=4
	v_and_b32_e32 v1, 0x7f, v14
	v_cmp_ne_u32_e64 s[28:29], s71, v1
	v_mov_b32_e32 v2, 0x7f800001
	s_and_saveexec_b64 s[38:39], s[28:29]
	s_cbranch_execz .LBB4_1475
; %bb.1474:                             ;   in Loop: Header=BB4_1257 Depth=4
	v_and_b32_e32 v2, 7, v14
	v_lshrrev_b32_e32 v8, 3, v1
	v_cmp_gt_u32_e64 s[28:29], 8, v1
	v_ffbh_u32_e32 v1, v2
	v_min_u32_e32 v1, 32, v1
	v_subrev_u32_e32 v2, 28, v1
	v_sub_u32_e32 v1, 29, v1
	v_cndmask_b32_e64 v8, v8, v1, s[28:29]
	v_cndmask_b32_e64 v1, 0, v2, s[28:29]
	v_lshlrev_b64 v[1:2], v1, v[14:15]
	v_lshlrev_b32_e32 v2, 24, v14
	v_lshlrev_b32_e32 v1, 20, v1
	v_and_b32_e32 v1, 0x700000, v1
	v_and_b32_e32 v2, 0x80000000, v2
	v_lshl_add_u32 v8, v8, 23, v0
	v_or3_b32 v2, v2, v8, v1
.LBB4_1475:                             ;   in Loop: Header=BB4_1257 Depth=4
	s_or_b64 exec, exec, s[38:39]
.LBB4_1476:                             ;   in Loop: Header=BB4_1257 Depth=4
	s_or_b64 exec, exec, s[36:37]
.LBB4_1477:                             ;   in Loop: Header=BB4_1257 Depth=4
	s_or_b64 exec, exec, s[40:41]
	v_cmp_gt_i16_sdwa s[40:41], v10, s71 src0_sel:BYTE_0 src1_sel:DWORD
	s_mov_b64 s[28:29], 0
	s_and_saveexec_b64 s[44:45], s[40:41]
	s_xor_b64 s[40:41], exec, s[44:45]
	s_cbranch_execz .LBB4_1695
; %bb.1478:                             ;   in Loop: Header=BB4_1257 Depth=4
	v_cmp_eq_u16_sdwa s[44:45], v10, s70 src0_sel:BYTE_0 src1_sel:DWORD
	s_mov_b64 s[28:29], -1
	s_and_saveexec_b64 s[36:37], s[44:45]
; %bb.1479:                             ;   in Loop: Header=BB4_1257 Depth=4
	s_xor_b64 s[28:29], exec, -1
; %bb.1480:                             ;   in Loop: Header=BB4_1257 Depth=4
	s_or_b64 exec, exec, s[36:37]
	s_and_b64 s[28:29], s[28:29], exec
	s_or_saveexec_b64 s[40:41], s[40:41]
	v_bfrev_b32_e32 v1, 1
	s_xor_b64 exec, exec, s[40:41]
	s_cbranch_execnz .LBB4_1696
.LBB4_1481:                             ;   in Loop: Header=BB4_1257 Depth=4
	s_or_b64 exec, exec, s[40:41]
	s_and_saveexec_b64 s[40:41], s[28:29]
	s_cbranch_execz .LBB4_1483
.LBB4_1482:                             ;   in Loop: Header=BB4_1257 Depth=4
	v_and_b32_e32 v1, 7, v10
	v_ffbh_u32_e32 v1, v1
	v_and_b32_e32 v12, 0x7f, v10
	v_min_u32_e32 v1, 32, v1
	v_bfe_u32 v8, v10, 3, 4
	v_subrev_u32_e32 v9, 28, v1
	v_sub_u32_e32 v1, 29, v1
	v_cmp_gt_u32_e64 s[28:29], 8, v12
	v_cndmask_b32_e64 v1, v8, v1, s[28:29]
	v_cndmask_b32_e64 v8, 0, v9, s[28:29]
	v_lshlrev_b64 v[8:9], v8, v[10:11]
	v_lshlrev_b32_e32 v9, 24, v10
	v_lshlrev_b32_e32 v8, 20, v8
	v_and_b32_e32 v8, 0x700000, v8
	v_and_b32_e32 v9, 0x80000000, v9
	v_lshl_add_u32 v1, v1, 23, v0
	v_or3_b32 v1, v9, v1, v8
	v_cmp_ne_u32_e64 s[28:29], s71, v12
	v_mov_b32_e32 v8, 0x7f800001
	v_cndmask_b32_e64 v1, v8, v1, s[28:29]
.LBB4_1483:                             ;   in Loop: Header=BB4_1257 Depth=4
	s_or_b64 exec, exec, s[40:41]
	v_mul_f32_e32 v8, v2, v1
	v_and_b32_e32 v2, 0x7f800000, v8
	v_cmp_ne_u64_e64 s[28:29], s[62:63], v[2:3]
                                        ; implicit-def: $vgpr37
	s_and_saveexec_b64 s[40:41], s[28:29]
	s_xor_b64 s[36:37], exec, s[40:41]
	s_cbranch_execz .LBB4_1497
; %bb.1484:                             ;   in Loop: Header=BB4_1257 Depth=4
	v_and_b32_e32 v2, 0x7fffffff, v8
	v_cmp_gt_u64_e64 s[28:29], s[72:73], v[2:3]
	v_and_b32_sdwa v22, v8, s70 dst_sel:DWORD dst_unused:UNUSED_PAD src0_sel:BYTE_3 src1_sel:DWORD
                                        ; implicit-def: $vgpr37
	s_and_saveexec_b64 s[40:41], s[28:29]
	s_xor_b64 s[38:39], exec, s[40:41]
	s_cbranch_execz .LBB4_1494
; %bb.1485:                             ;   in Loop: Header=BB4_1257 Depth=4
	v_mov_b32_e32 v37, 0
	v_cmp_ne_u32_e64 s[28:29], 0, v8
	s_and_saveexec_b64 s[48:49], s[28:29]
	s_cbranch_execz .LBB4_1493
; %bb.1486:                             ;   in Loop: Header=BB4_1257 Depth=4
	v_bfe_u32 v23, v8, 23, 8
	v_cmp_gt_u32_e64 s[40:41], s80, v23
	v_sub_u32_e32 v1, 0x79, v23
	v_and_b32_e32 v2, 0x7fffff, v8
	v_cmp_eq_u32_e64 s[28:29], 0, v23
	v_cndmask_b32_e64 v1, 0, v1, s[40:41]
	v_mov_b32_e32 v9, 0x78
	v_or_b32_e32 v8, 0x800000, v2
	v_cndmask_b32_e64 v1, v1, v9, s[28:29]
	v_cndmask_b32_e64 v2, v8, v2, s[28:29]
	v_add_u32_e32 v8, 20, v1
	v_lshlrev_b64 v[8:9], v8, -1
	v_add_u32_e32 v12, 19, v1
	v_lshlrev_b64 v[12:13], v12, 1
	v_bfi_b32 v9, v9, 0, 0
	v_bfi_b32 v8, v8, 0, v2
	v_cmp_eq_u64_e64 s[40:41], v[8:9], v[12:13]
	v_lshrrev_b64 v[8:9], v1, v[2:3]
	v_mov_b32_e32 v13, v9
	v_mov_b32_e32 v12, v8
	s_and_saveexec_b64 s[50:51], s[40:41]
; %bb.1487:                             ;   in Loop: Header=BB4_1257 Depth=4
	v_bfe_u32 v2, v8, 20, 1
	v_add_co_u32_e64 v2, s[40:41], v8, v2
	v_add_co_u32_e64 v12, s[40:41], -1, v2
; %bb.1488:                             ;   in Loop: Header=BB4_1257 Depth=4
	s_or_b64 exec, exec, s[50:51]
	v_add_u32_e32 v2, 0xffffff81, v23
	v_mov_b32_e32 v9, 0xffffff82
	v_cndmask_b32_e64 v2, v2, v9, s[28:29]
	v_lshrrev_b32_e32 v9, 23, v8
	v_add3_u32 v13, v1, v2, v9
	v_add_u32_e32 v1, 6, v13
	v_and_b32_e32 v2, 0xfffff, v12
	v_add_u32_e32 v2, v2, v8
	v_cmp_ne_u32_e64 s[28:29], 0, v1
                                        ; implicit-def: $vgpr8_vgpr9
                                        ; implicit-def: $vgpr12
	s_and_saveexec_b64 s[40:41], s[28:29]
	s_xor_b64 s[40:41], exec, s[40:41]
; %bb.1489:                             ;   in Loop: Header=BB4_1257 Depth=4
	v_cmp_lt_u64_e64 s[28:29], s[88:89], v[2:3]
	v_add_u32_e32 v8, 7, v13
	v_cndmask_b32_e64 v12, v1, v8, s[28:29]
	v_cndmask_b32_e64 v1, 0, 1, s[28:29]
	v_lshrrev_b64 v[8:9], v1, v[2:3]
; %bb.1490:                             ;   in Loop: Header=BB4_1257 Depth=4
	s_andn2_saveexec_b64 s[28:29], s[40:41]
; %bb.1491:                             ;   in Loop: Header=BB4_1257 Depth=4
	v_mov_b32_e32 v9, v3
	v_bfe_u32 v12, v2, 23, 1
	v_mov_b32_e32 v8, v2
; %bb.1492:                             ;   in Loop: Header=BB4_1257 Depth=4
	s_or_b64 exec, exec, s[28:29]
	v_lshrrev_b64 v[1:2], 20, v[8:9]
	v_cmp_gt_i32_e64 s[28:29], 16, v12
	v_cndmask_b32_e64 v2, 0, v2, s[28:29]
	v_cndmask_b32_e64 v1, 7, v1, s[28:29]
	v_cmp_eq_u64_e64 s[40:41], 0, v[1:2]
	v_min_i32_e32 v2, 15, v12
	v_lshlrev_b32_e32 v2, 3, v2
	v_cmp_eq_u32_e64 s[28:29], 0, v12
	v_and_b32_e32 v2, 0xf8, v2
	v_and_or_b32 v1, v1, 7, v2
	s_and_b64 s[28:29], s[28:29], s[40:41]
	v_cndmask_b32_e64 v1, v1, 0, s[28:29]
	v_or_b32_e32 v37, v1, v22
.LBB4_1493:                             ;   in Loop: Header=BB4_1257 Depth=4
	s_or_b64 exec, exec, s[48:49]
                                        ; implicit-def: $vgpr22
.LBB4_1494:                             ;   in Loop: Header=BB4_1257 Depth=4
	s_andn2_saveexec_b64 s[28:29], s[38:39]
; %bb.1495:                             ;   in Loop: Header=BB4_1257 Depth=4
	v_or_b32_e32 v37, 0x7e, v22
; %bb.1496:                             ;   in Loop: Header=BB4_1257 Depth=4
	s_or_b64 exec, exec, s[28:29]
                                        ; implicit-def: $vgpr8
.LBB4_1497:                             ;   in Loop: Header=BB4_1257 Depth=4
	s_andn2_saveexec_b64 s[28:29], s[36:37]
; %bb.1498:                             ;   in Loop: Header=BB4_1257 Depth=4
	v_or_b32_sdwa v37, v8, s71 dst_sel:DWORD dst_unused:UNUSED_PAD src0_sel:BYTE_3 src1_sel:DWORD
; %bb.1499:                             ;   in Loop: Header=BB4_1257 Depth=4
	s_or_b64 exec, exec, s[28:29]
	v_lshrrev_b16_e32 v2, 8, v14
	v_cmp_ne_u16_e64 s[28:29], 0, v2
	v_mov_b32_e32 v8, 0
	s_and_saveexec_b64 s[40:41], s[28:29]
	s_cbranch_execz .LBB4_1505
; %bb.1500:                             ;   in Loop: Header=BB4_1257 Depth=4
	v_cmp_ne_u16_e64 s[28:29], s70, v2
	v_bfrev_b32_e32 v8, 1
	s_and_saveexec_b64 s[36:37], s[28:29]
	s_cbranch_execz .LBB4_1504
; %bb.1501:                             ;   in Loop: Header=BB4_1257 Depth=4
	v_and_b32_e32 v1, 0x7f, v2
	v_cmp_ne_u32_e64 s[28:29], s71, v1
	v_mov_b32_e32 v8, 0x7f800001
	s_and_saveexec_b64 s[38:39], s[28:29]
	s_cbranch_execz .LBB4_1503
; %bb.1502:                             ;   in Loop: Header=BB4_1257 Depth=4
	v_and_b32_e32 v8, 7, v2
	v_lshrrev_b32_e32 v9, 3, v1
	v_cmp_gt_u32_e64 s[28:29], 8, v1
	v_ffbh_u32_e32 v1, v8
	v_min_u32_e32 v12, 32, v1
	v_subrev_u32_e32 v1, 28, v12
	v_lshlrev_b64 v[1:2], v1, v[2:3]
	v_sub_u32_e32 v2, 29, v12
	v_and_b32_e32 v1, 7, v1
	v_cndmask_b32_e64 v2, v9, v2, s[28:29]
	v_cndmask_b32_e64 v1, v8, v1, s[28:29]
	v_lshlrev_b32_e32 v8, 16, v14
	v_lshlrev_b32_e32 v1, 20, v1
	v_and_b32_e32 v8, 0x80000000, v8
	v_lshl_add_u32 v2, v2, 23, v0
	v_or3_b32 v8, v8, v2, v1
.LBB4_1503:                             ;   in Loop: Header=BB4_1257 Depth=4
	s_or_b64 exec, exec, s[38:39]
.LBB4_1504:                             ;   in Loop: Header=BB4_1257 Depth=4
	s_or_b64 exec, exec, s[36:37]
.LBB4_1505:                             ;   in Loop: Header=BB4_1257 Depth=4
	s_or_b64 exec, exec, s[40:41]
	v_lshrrev_b16_e32 v2, 8, v10
	v_cmp_lt_i16_e64 s[28:29], s71, v2
	s_mov_b64 s[40:41], 0
	s_and_saveexec_b64 s[44:45], s[28:29]
	s_xor_b64 s[36:37], exec, s[44:45]
	s_cbranch_execz .LBB4_1697
; %bb.1506:                             ;   in Loop: Header=BB4_1257 Depth=4
	v_cmp_eq_u16_e64 s[28:29], s70, v2
	s_mov_b64 s[40:41], -1
	s_and_saveexec_b64 s[38:39], s[28:29]
; %bb.1507:                             ;   in Loop: Header=BB4_1257 Depth=4
	s_xor_b64 s[40:41], exec, -1
; %bb.1508:                             ;   in Loop: Header=BB4_1257 Depth=4
	s_or_b64 exec, exec, s[38:39]
	s_and_b64 s[40:41], s[40:41], exec
	s_or_saveexec_b64 s[36:37], s[36:37]
	v_bfrev_b32_e32 v1, 1
	s_xor_b64 exec, exec, s[36:37]
	s_cbranch_execnz .LBB4_1698
.LBB4_1509:                             ;   in Loop: Header=BB4_1257 Depth=4
	s_or_b64 exec, exec, s[36:37]
	s_and_saveexec_b64 s[36:37], s[40:41]
	s_cbranch_execz .LBB4_1511
.LBB4_1510:                             ;   in Loop: Header=BB4_1257 Depth=4
	v_and_b32_e32 v1, 7, v2
	v_ffbh_u32_e32 v12, v1
	v_min_u32_e32 v23, 32, v12
	v_subrev_u32_e32 v12, 28, v23
	v_lshlrev_b64 v[12:13], v12, v[2:3]
	v_and_b32_e32 v9, 0x7f, v2
	v_bfe_u32 v22, v2, 3, 4
	v_sub_u32_e32 v13, 29, v23
	v_and_b32_e32 v12, 7, v12
	v_cmp_gt_u32_e64 s[28:29], 8, v9
	v_cndmask_b32_e64 v13, v22, v13, s[28:29]
	v_cndmask_b32_e64 v1, v1, v12, s[28:29]
	v_lshlrev_b32_e32 v2, 24, v2
	v_lshlrev_b32_e32 v1, 20, v1
	v_and_b32_e32 v2, 0x80000000, v2
	v_lshl_add_u32 v12, v13, 23, v0
	v_or3_b32 v1, v2, v12, v1
	v_cmp_ne_u32_e64 s[28:29], s71, v9
	v_mov_b32_e32 v2, 0x7f800001
	v_cndmask_b32_e64 v1, v2, v1, s[28:29]
.LBB4_1511:                             ;   in Loop: Header=BB4_1257 Depth=4
	s_or_b64 exec, exec, s[36:37]
	v_mul_f32_e32 v8, v8, v1
	v_and_b32_e32 v2, 0x7f800000, v8
	v_cmp_ne_u64_e64 s[28:29], s[62:63], v[2:3]
                                        ; implicit-def: $vgpr52
	s_and_saveexec_b64 s[40:41], s[28:29]
	s_xor_b64 s[36:37], exec, s[40:41]
	s_cbranch_execz .LBB4_1525
; %bb.1512:                             ;   in Loop: Header=BB4_1257 Depth=4
	v_and_b32_e32 v2, 0x7fffffff, v8
	v_cmp_gt_u64_e64 s[28:29], s[72:73], v[2:3]
	v_and_b32_sdwa v22, v8, s70 dst_sel:DWORD dst_unused:UNUSED_PAD src0_sel:BYTE_3 src1_sel:DWORD
                                        ; implicit-def: $vgpr52
	s_and_saveexec_b64 s[40:41], s[28:29]
	s_xor_b64 s[38:39], exec, s[40:41]
	s_cbranch_execz .LBB4_1522
; %bb.1513:                             ;   in Loop: Header=BB4_1257 Depth=4
	v_mov_b32_e32 v52, 0
	v_cmp_ne_u32_e64 s[28:29], 0, v8
	s_and_saveexec_b64 s[48:49], s[28:29]
	s_cbranch_execz .LBB4_1521
; %bb.1514:                             ;   in Loop: Header=BB4_1257 Depth=4
	v_bfe_u32 v23, v8, 23, 8
	v_cmp_gt_u32_e64 s[40:41], s80, v23
	v_sub_u32_e32 v1, 0x79, v23
	v_and_b32_e32 v2, 0x7fffff, v8
	v_cmp_eq_u32_e64 s[28:29], 0, v23
	v_cndmask_b32_e64 v1, 0, v1, s[40:41]
	v_mov_b32_e32 v9, 0x78
	v_or_b32_e32 v8, 0x800000, v2
	v_cndmask_b32_e64 v1, v1, v9, s[28:29]
	v_cndmask_b32_e64 v2, v8, v2, s[28:29]
	v_add_u32_e32 v8, 20, v1
	v_lshlrev_b64 v[8:9], v8, -1
	v_add_u32_e32 v12, 19, v1
	v_lshlrev_b64 v[12:13], v12, 1
	v_bfi_b32 v9, v9, 0, 0
	v_bfi_b32 v8, v8, 0, v2
	v_cmp_eq_u64_e64 s[40:41], v[8:9], v[12:13]
	v_lshrrev_b64 v[8:9], v1, v[2:3]
	v_mov_b32_e32 v13, v9
	v_mov_b32_e32 v12, v8
	s_and_saveexec_b64 s[50:51], s[40:41]
; %bb.1515:                             ;   in Loop: Header=BB4_1257 Depth=4
	v_bfe_u32 v2, v8, 20, 1
	v_add_co_u32_e64 v2, s[40:41], v8, v2
	v_add_co_u32_e64 v12, s[40:41], -1, v2
; %bb.1516:                             ;   in Loop: Header=BB4_1257 Depth=4
	s_or_b64 exec, exec, s[50:51]
	v_add_u32_e32 v2, 0xffffff81, v23
	v_mov_b32_e32 v9, 0xffffff82
	v_cndmask_b32_e64 v2, v2, v9, s[28:29]
	v_lshrrev_b32_e32 v9, 23, v8
	v_add3_u32 v13, v1, v2, v9
	v_add_u32_e32 v1, 6, v13
	v_and_b32_e32 v2, 0xfffff, v12
	v_add_u32_e32 v2, v2, v8
	v_cmp_ne_u32_e64 s[28:29], 0, v1
                                        ; implicit-def: $vgpr8_vgpr9
                                        ; implicit-def: $vgpr12
	s_and_saveexec_b64 s[40:41], s[28:29]
	s_xor_b64 s[40:41], exec, s[40:41]
; %bb.1517:                             ;   in Loop: Header=BB4_1257 Depth=4
	v_cmp_lt_u64_e64 s[28:29], s[88:89], v[2:3]
	v_add_u32_e32 v8, 7, v13
	v_cndmask_b32_e64 v12, v1, v8, s[28:29]
	v_cndmask_b32_e64 v1, 0, 1, s[28:29]
	v_lshrrev_b64 v[8:9], v1, v[2:3]
; %bb.1518:                             ;   in Loop: Header=BB4_1257 Depth=4
	s_andn2_saveexec_b64 s[28:29], s[40:41]
; %bb.1519:                             ;   in Loop: Header=BB4_1257 Depth=4
	v_mov_b32_e32 v9, v3
	v_bfe_u32 v12, v2, 23, 1
	v_mov_b32_e32 v8, v2
; %bb.1520:                             ;   in Loop: Header=BB4_1257 Depth=4
	s_or_b64 exec, exec, s[28:29]
	v_lshrrev_b64 v[1:2], 20, v[8:9]
	v_cmp_gt_i32_e64 s[28:29], 16, v12
	v_cndmask_b32_e64 v2, 0, v2, s[28:29]
	v_cndmask_b32_e64 v1, 7, v1, s[28:29]
	v_cmp_eq_u64_e64 s[40:41], 0, v[1:2]
	v_min_i32_e32 v2, 15, v12
	v_lshlrev_b32_e32 v2, 3, v2
	v_cmp_eq_u32_e64 s[28:29], 0, v12
	v_and_b32_e32 v2, 0xf8, v2
	v_and_or_b32 v1, v1, 7, v2
	s_and_b64 s[28:29], s[28:29], s[40:41]
	v_cndmask_b32_e64 v1, v1, 0, s[28:29]
	v_or_b32_e32 v52, v1, v22
.LBB4_1521:                             ;   in Loop: Header=BB4_1257 Depth=4
	s_or_b64 exec, exec, s[48:49]
                                        ; implicit-def: $vgpr22
.LBB4_1522:                             ;   in Loop: Header=BB4_1257 Depth=4
	s_andn2_saveexec_b64 s[28:29], s[38:39]
; %bb.1523:                             ;   in Loop: Header=BB4_1257 Depth=4
	v_or_b32_e32 v52, 0x7e, v22
; %bb.1524:                             ;   in Loop: Header=BB4_1257 Depth=4
	s_or_b64 exec, exec, s[28:29]
                                        ; implicit-def: $vgpr8
.LBB4_1525:                             ;   in Loop: Header=BB4_1257 Depth=4
	s_andn2_saveexec_b64 s[28:29], s[36:37]
; %bb.1526:                             ;   in Loop: Header=BB4_1257 Depth=4
	v_or_b32_sdwa v52, v8, s71 dst_sel:DWORD dst_unused:UNUSED_PAD src0_sel:BYTE_3 src1_sel:DWORD
; %bb.1527:                             ;   in Loop: Header=BB4_1257 Depth=4
	s_or_b64 exec, exec, s[28:29]
	v_lshrrev_b32_e32 v2, 16, v14
	v_cmp_ne_u16_sdwa s[28:29], v2, v3 src0_sel:BYTE_0 src1_sel:DWORD
	v_mov_b32_e32 v8, 0
	s_and_saveexec_b64 s[40:41], s[28:29]
	s_cbranch_execz .LBB4_1533
; %bb.1528:                             ;   in Loop: Header=BB4_1257 Depth=4
	v_cmp_ne_u16_sdwa s[28:29], v2, s70 src0_sel:BYTE_0 src1_sel:DWORD
	v_bfrev_b32_e32 v8, 1
	s_and_saveexec_b64 s[36:37], s[28:29]
	s_cbranch_execz .LBB4_1532
; %bb.1529:                             ;   in Loop: Header=BB4_1257 Depth=4
	v_bfe_u32 v1, v14, 16, 7
	v_cmp_ne_u32_e64 s[28:29], s71, v1
	v_mov_b32_e32 v8, 0x7f800001
	s_and_saveexec_b64 s[38:39], s[28:29]
	s_cbranch_execz .LBB4_1531
; %bb.1530:                             ;   in Loop: Header=BB4_1257 Depth=4
	v_and_b32_e32 v12, 7, v2
	v_lshrrev_b32_e32 v13, 3, v1
	v_cmp_gt_u32_e64 s[28:29], 8, v1
	v_ffbh_u32_e32 v1, v12
	v_min_u32_e32 v1, 32, v1
	v_subrev_u32_e32 v8, 28, v1
	v_lshlrev_b64 v[8:9], v8, v[2:3]
	v_sub_u32_e32 v1, 29, v1
	v_and_b32_e32 v8, 7, v8
	v_cndmask_b32_e64 v1, v13, v1, s[28:29]
	v_cndmask_b32_e64 v8, v12, v8, s[28:29]
	v_lshlrev_b32_e32 v2, 24, v2
	v_lshlrev_b32_e32 v8, 20, v8
	v_and_b32_e32 v2, 0x80000000, v2
	v_lshl_add_u32 v1, v1, 23, v0
	v_or3_b32 v8, v2, v1, v8
.LBB4_1531:                             ;   in Loop: Header=BB4_1257 Depth=4
	s_or_b64 exec, exec, s[38:39]
.LBB4_1532:                             ;   in Loop: Header=BB4_1257 Depth=4
	s_or_b64 exec, exec, s[36:37]
.LBB4_1533:                             ;   in Loop: Header=BB4_1257 Depth=4
	s_or_b64 exec, exec, s[40:41]
	v_lshrrev_b32_e32 v2, 16, v10
	v_cmp_gt_i16_sdwa s[40:41], v2, s71 src0_sel:BYTE_0 src1_sel:DWORD
	s_mov_b64 s[28:29], 0
	s_and_saveexec_b64 s[44:45], s[40:41]
	s_xor_b64 s[40:41], exec, s[44:45]
	s_cbranch_execz .LBB4_1699
; %bb.1534:                             ;   in Loop: Header=BB4_1257 Depth=4
	v_cmp_eq_u16_sdwa s[44:45], v2, s70 src0_sel:BYTE_0 src1_sel:DWORD
	s_mov_b64 s[28:29], -1
	s_and_saveexec_b64 s[36:37], s[44:45]
; %bb.1535:                             ;   in Loop: Header=BB4_1257 Depth=4
	s_xor_b64 s[28:29], exec, -1
; %bb.1536:                             ;   in Loop: Header=BB4_1257 Depth=4
	s_or_b64 exec, exec, s[36:37]
	s_and_b64 s[28:29], s[28:29], exec
	s_or_saveexec_b64 s[40:41], s[40:41]
	v_bfrev_b32_e32 v1, 1
	s_xor_b64 exec, exec, s[40:41]
	s_cbranch_execnz .LBB4_1700
.LBB4_1537:                             ;   in Loop: Header=BB4_1257 Depth=4
	s_or_b64 exec, exec, s[40:41]
	s_and_saveexec_b64 s[40:41], s[28:29]
	s_cbranch_execz .LBB4_1539
.LBB4_1538:                             ;   in Loop: Header=BB4_1257 Depth=4
	v_and_b32_e32 v1, 7, v2
	v_ffbh_u32_e32 v12, v1
	v_min_u32_e32 v23, 32, v12
	v_subrev_u32_e32 v12, 28, v23
	v_lshlrev_b64 v[12:13], v12, v[2:3]
	v_and_b32_e32 v9, 0x7f, v2
	v_bfe_u32 v22, v2, 3, 4
	v_sub_u32_e32 v13, 29, v23
	v_and_b32_e32 v12, 7, v12
	v_cmp_gt_u32_e64 s[28:29], 8, v9
	v_cndmask_b32_e64 v13, v22, v13, s[28:29]
	v_cndmask_b32_e64 v1, v1, v12, s[28:29]
	v_lshlrev_b32_e32 v2, 24, v2
	v_lshlrev_b32_e32 v1, 20, v1
	v_and_b32_e32 v2, 0x80000000, v2
	v_lshl_add_u32 v12, v13, 23, v0
	v_or3_b32 v1, v2, v12, v1
	v_cmp_ne_u32_e64 s[28:29], s71, v9
	v_mov_b32_e32 v2, 0x7f800001
	v_cndmask_b32_e64 v1, v2, v1, s[28:29]
.LBB4_1539:                             ;   in Loop: Header=BB4_1257 Depth=4
	s_or_b64 exec, exec, s[40:41]
	v_mul_f32_e32 v8, v8, v1
	v_and_b32_e32 v2, 0x7f800000, v8
	v_cmp_ne_u64_e64 s[28:29], s[62:63], v[2:3]
                                        ; implicit-def: $vgpr53
	s_and_saveexec_b64 s[40:41], s[28:29]
	s_xor_b64 s[36:37], exec, s[40:41]
	s_cbranch_execz .LBB4_1553
; %bb.1540:                             ;   in Loop: Header=BB4_1257 Depth=4
	v_and_b32_e32 v2, 0x7fffffff, v8
	v_cmp_gt_u64_e64 s[28:29], s[72:73], v[2:3]
	v_and_b32_sdwa v22, v8, s70 dst_sel:DWORD dst_unused:UNUSED_PAD src0_sel:BYTE_3 src1_sel:DWORD
                                        ; implicit-def: $vgpr53
	s_and_saveexec_b64 s[40:41], s[28:29]
	s_xor_b64 s[38:39], exec, s[40:41]
	s_cbranch_execz .LBB4_1550
; %bb.1541:                             ;   in Loop: Header=BB4_1257 Depth=4
	v_mov_b32_e32 v53, 0
	v_cmp_ne_u32_e64 s[28:29], 0, v8
	s_and_saveexec_b64 s[48:49], s[28:29]
	s_cbranch_execz .LBB4_1549
; %bb.1542:                             ;   in Loop: Header=BB4_1257 Depth=4
	v_bfe_u32 v23, v8, 23, 8
	v_cmp_gt_u32_e64 s[40:41], s80, v23
	v_sub_u32_e32 v1, 0x79, v23
	v_and_b32_e32 v2, 0x7fffff, v8
	v_cmp_eq_u32_e64 s[28:29], 0, v23
	v_cndmask_b32_e64 v1, 0, v1, s[40:41]
	v_mov_b32_e32 v9, 0x78
	v_or_b32_e32 v8, 0x800000, v2
	v_cndmask_b32_e64 v1, v1, v9, s[28:29]
	v_cndmask_b32_e64 v2, v8, v2, s[28:29]
	v_add_u32_e32 v8, 20, v1
	v_lshlrev_b64 v[8:9], v8, -1
	v_add_u32_e32 v12, 19, v1
	v_lshlrev_b64 v[12:13], v12, 1
	v_bfi_b32 v9, v9, 0, 0
	v_bfi_b32 v8, v8, 0, v2
	v_cmp_eq_u64_e64 s[40:41], v[8:9], v[12:13]
	v_lshrrev_b64 v[8:9], v1, v[2:3]
	v_mov_b32_e32 v13, v9
	v_mov_b32_e32 v12, v8
	s_and_saveexec_b64 s[50:51], s[40:41]
; %bb.1543:                             ;   in Loop: Header=BB4_1257 Depth=4
	v_bfe_u32 v2, v8, 20, 1
	v_add_co_u32_e64 v2, s[40:41], v8, v2
	v_add_co_u32_e64 v12, s[40:41], -1, v2
; %bb.1544:                             ;   in Loop: Header=BB4_1257 Depth=4
	s_or_b64 exec, exec, s[50:51]
	v_add_u32_e32 v2, 0xffffff81, v23
	v_mov_b32_e32 v9, 0xffffff82
	v_cndmask_b32_e64 v2, v2, v9, s[28:29]
	v_lshrrev_b32_e32 v9, 23, v8
	v_add3_u32 v13, v1, v2, v9
	v_add_u32_e32 v1, 6, v13
	v_and_b32_e32 v2, 0xfffff, v12
	v_add_u32_e32 v2, v2, v8
	v_cmp_ne_u32_e64 s[28:29], 0, v1
                                        ; implicit-def: $vgpr8_vgpr9
                                        ; implicit-def: $vgpr12
	s_and_saveexec_b64 s[40:41], s[28:29]
	s_xor_b64 s[40:41], exec, s[40:41]
; %bb.1545:                             ;   in Loop: Header=BB4_1257 Depth=4
	v_cmp_lt_u64_e64 s[28:29], s[88:89], v[2:3]
	v_add_u32_e32 v8, 7, v13
	v_cndmask_b32_e64 v12, v1, v8, s[28:29]
	v_cndmask_b32_e64 v1, 0, 1, s[28:29]
	v_lshrrev_b64 v[8:9], v1, v[2:3]
; %bb.1546:                             ;   in Loop: Header=BB4_1257 Depth=4
	s_andn2_saveexec_b64 s[28:29], s[40:41]
; %bb.1547:                             ;   in Loop: Header=BB4_1257 Depth=4
	v_mov_b32_e32 v9, v3
	v_bfe_u32 v12, v2, 23, 1
	v_mov_b32_e32 v8, v2
; %bb.1548:                             ;   in Loop: Header=BB4_1257 Depth=4
	s_or_b64 exec, exec, s[28:29]
	v_lshrrev_b64 v[1:2], 20, v[8:9]
	v_cmp_gt_i32_e64 s[28:29], 16, v12
	v_cndmask_b32_e64 v2, 0, v2, s[28:29]
	v_cndmask_b32_e64 v1, 7, v1, s[28:29]
	v_cmp_eq_u64_e64 s[40:41], 0, v[1:2]
	v_min_i32_e32 v2, 15, v12
	v_lshlrev_b32_e32 v2, 3, v2
	v_cmp_eq_u32_e64 s[28:29], 0, v12
	v_and_b32_e32 v2, 0xf8, v2
	v_and_or_b32 v1, v1, 7, v2
	s_and_b64 s[28:29], s[28:29], s[40:41]
	v_cndmask_b32_e64 v1, v1, 0, s[28:29]
	v_or_b32_e32 v53, v1, v22
.LBB4_1549:                             ;   in Loop: Header=BB4_1257 Depth=4
	s_or_b64 exec, exec, s[48:49]
                                        ; implicit-def: $vgpr22
.LBB4_1550:                             ;   in Loop: Header=BB4_1257 Depth=4
	s_andn2_saveexec_b64 s[28:29], s[38:39]
; %bb.1551:                             ;   in Loop: Header=BB4_1257 Depth=4
	v_or_b32_e32 v53, 0x7e, v22
; %bb.1552:                             ;   in Loop: Header=BB4_1257 Depth=4
	s_or_b64 exec, exec, s[28:29]
                                        ; implicit-def: $vgpr8
.LBB4_1553:                             ;   in Loop: Header=BB4_1257 Depth=4
	s_andn2_saveexec_b64 s[28:29], s[36:37]
; %bb.1554:                             ;   in Loop: Header=BB4_1257 Depth=4
	v_or_b32_sdwa v53, v8, s71 dst_sel:DWORD dst_unused:UNUSED_PAD src0_sel:BYTE_3 src1_sel:DWORD
; %bb.1555:                             ;   in Loop: Header=BB4_1257 Depth=4
	s_or_b64 exec, exec, s[28:29]
	v_cmp_lt_u32_e64 s[28:29], s57, v14
	v_mov_b32_e32 v8, 0
	s_and_saveexec_b64 s[40:41], s[28:29]
	s_cbranch_execz .LBB4_1561
; %bb.1556:                             ;   in Loop: Header=BB4_1257 Depth=4
	v_lshrrev_b32_e32 v2, 24, v14
	v_cmp_ne_u32_e64 s[28:29], s70, v2
	v_bfrev_b32_e32 v8, 1
	s_and_saveexec_b64 s[36:37], s[28:29]
	s_cbranch_execz .LBB4_1560
; %bb.1557:                             ;   in Loop: Header=BB4_1257 Depth=4
	v_bfe_u32 v1, v14, 24, 7
	v_cmp_ne_u32_e64 s[28:29], s71, v1
	v_mov_b32_e32 v8, 0x7f800001
	s_and_saveexec_b64 s[38:39], s[28:29]
	s_cbranch_execz .LBB4_1559
; %bb.1558:                             ;   in Loop: Header=BB4_1257 Depth=4
	v_and_b32_e32 v12, 7, v2
	v_lshrrev_b32_e32 v13, 3, v1
	v_cmp_gt_u32_e64 s[28:29], 8, v1
	v_ffbh_u32_e32 v1, v12
	v_min_u32_e32 v1, 32, v1
	v_subrev_u32_e32 v8, 28, v1
	v_lshlrev_b64 v[8:9], v8, v[2:3]
	v_sub_u32_e32 v1, 29, v1
	v_and_b32_e32 v8, 7, v8
	v_cndmask_b32_e64 v1, v13, v1, s[28:29]
	v_cndmask_b32_e64 v8, v12, v8, s[28:29]
	v_lshlrev_b32_e32 v2, 24, v2
	v_lshlrev_b32_e32 v8, 20, v8
	v_and_b32_e32 v2, 0x80000000, v2
	v_lshl_add_u32 v1, v1, 23, v0
	v_or3_b32 v8, v2, v1, v8
.LBB4_1559:                             ;   in Loop: Header=BB4_1257 Depth=4
	s_or_b64 exec, exec, s[38:39]
.LBB4_1560:                             ;   in Loop: Header=BB4_1257 Depth=4
	s_or_b64 exec, exec, s[36:37]
.LBB4_1561:                             ;   in Loop: Header=BB4_1257 Depth=4
	s_or_b64 exec, exec, s[40:41]
	v_bfe_u32 v2, v10, 24, 3
	v_ffbh_u32_e32 v12, v2
	v_min_u32_e32 v23, 32, v12
	v_lshrrev_b32_e32 v1, 24, v10
	v_subrev_u32_e32 v12, 28, v23
	v_lshlrev_b64 v[12:13], v12, v[1:2]
	v_bfe_u32 v9, v10, 24, 7
	v_bfe_u32 v22, v1, 3, 4
	v_sub_u32_e32 v13, 29, v23
	v_and_b32_e32 v12, 7, v12
	v_cmp_gt_u32_e64 s[28:29], 8, v9
	v_cndmask_b32_e64 v13, v22, v13, s[28:29]
	v_cndmask_b32_e64 v2, v2, v12, s[28:29]
	v_lshlrev_b32_e32 v2, 20, v2
	v_and_b32_e32 v12, 0x80000000, v10
	v_lshl_add_u32 v13, v13, 23, v0
	v_or3_b32 v2, v12, v13, v2
	v_cmp_ne_u32_e64 s[28:29], s71, v9
	v_mov_b32_e32 v9, 0x7f800001
	v_cndmask_b32_e64 v2, v9, v2, s[28:29]
	v_cmp_ne_u32_e64 s[28:29], s70, v1
	v_bfrev_b32_e32 v1, 1
	v_cndmask_b32_e64 v1, v1, v2, s[28:29]
	v_cmp_lt_u32_e64 s[28:29], s57, v10
	v_cndmask_b32_e64 v1, 0, v1, s[28:29]
	v_mul_f32_e32 v8, v1, v8
	v_and_b32_e32 v2, 0x7f800000, v8
	v_cmp_ne_u64_e64 s[28:29], s[62:63], v[2:3]
                                        ; implicit-def: $vgpr51
	s_and_saveexec_b64 s[40:41], s[28:29]
	s_xor_b64 s[36:37], exec, s[40:41]
	s_cbranch_execz .LBB4_1575
; %bb.1562:                             ;   in Loop: Header=BB4_1257 Depth=4
	v_and_b32_e32 v2, 0x7fffffff, v8
	v_cmp_gt_u64_e64 s[28:29], s[72:73], v[2:3]
	v_and_b32_sdwa v22, v8, s70 dst_sel:DWORD dst_unused:UNUSED_PAD src0_sel:BYTE_3 src1_sel:DWORD
                                        ; implicit-def: $vgpr51
	s_and_saveexec_b64 s[40:41], s[28:29]
	s_xor_b64 s[38:39], exec, s[40:41]
	s_cbranch_execz .LBB4_1572
; %bb.1563:                             ;   in Loop: Header=BB4_1257 Depth=4
	v_mov_b32_e32 v51, 0
	v_cmp_ne_u32_e64 s[28:29], 0, v8
	s_and_saveexec_b64 s[48:49], s[28:29]
	s_cbranch_execz .LBB4_1571
; %bb.1564:                             ;   in Loop: Header=BB4_1257 Depth=4
	v_bfe_u32 v23, v8, 23, 8
	v_cmp_gt_u32_e64 s[40:41], s80, v23
	v_sub_u32_e32 v1, 0x79, v23
	v_and_b32_e32 v2, 0x7fffff, v8
	v_cmp_eq_u32_e64 s[28:29], 0, v23
	v_cndmask_b32_e64 v1, 0, v1, s[40:41]
	v_mov_b32_e32 v9, 0x78
	v_or_b32_e32 v8, 0x800000, v2
	v_cndmask_b32_e64 v1, v1, v9, s[28:29]
	v_cndmask_b32_e64 v2, v8, v2, s[28:29]
	v_add_u32_e32 v8, 20, v1
	v_lshlrev_b64 v[8:9], v8, -1
	v_add_u32_e32 v12, 19, v1
	v_lshlrev_b64 v[12:13], v12, 1
	v_bfi_b32 v9, v9, 0, 0
	v_bfi_b32 v8, v8, 0, v2
	v_cmp_eq_u64_e64 s[40:41], v[8:9], v[12:13]
	v_lshrrev_b64 v[8:9], v1, v[2:3]
	v_mov_b32_e32 v13, v9
	v_mov_b32_e32 v12, v8
	s_and_saveexec_b64 s[50:51], s[40:41]
; %bb.1565:                             ;   in Loop: Header=BB4_1257 Depth=4
	v_bfe_u32 v2, v8, 20, 1
	v_add_co_u32_e64 v2, s[40:41], v8, v2
	v_add_co_u32_e64 v12, s[40:41], -1, v2
; %bb.1566:                             ;   in Loop: Header=BB4_1257 Depth=4
	s_or_b64 exec, exec, s[50:51]
	v_add_u32_e32 v2, 0xffffff81, v23
	v_mov_b32_e32 v9, 0xffffff82
	v_cndmask_b32_e64 v2, v2, v9, s[28:29]
	v_lshrrev_b32_e32 v9, 23, v8
	v_add3_u32 v13, v1, v2, v9
	v_add_u32_e32 v1, 6, v13
	v_and_b32_e32 v2, 0xfffff, v12
	v_add_u32_e32 v2, v2, v8
	v_cmp_ne_u32_e64 s[28:29], 0, v1
                                        ; implicit-def: $vgpr8_vgpr9
                                        ; implicit-def: $vgpr12
	s_and_saveexec_b64 s[40:41], s[28:29]
	s_xor_b64 s[40:41], exec, s[40:41]
; %bb.1567:                             ;   in Loop: Header=BB4_1257 Depth=4
	v_cmp_lt_u64_e64 s[28:29], s[88:89], v[2:3]
	v_add_u32_e32 v8, 7, v13
	v_cndmask_b32_e64 v12, v1, v8, s[28:29]
	v_cndmask_b32_e64 v1, 0, 1, s[28:29]
	v_lshrrev_b64 v[8:9], v1, v[2:3]
; %bb.1568:                             ;   in Loop: Header=BB4_1257 Depth=4
	s_andn2_saveexec_b64 s[28:29], s[40:41]
; %bb.1569:                             ;   in Loop: Header=BB4_1257 Depth=4
	v_mov_b32_e32 v9, v3
	v_bfe_u32 v12, v2, 23, 1
	v_mov_b32_e32 v8, v2
; %bb.1570:                             ;   in Loop: Header=BB4_1257 Depth=4
	s_or_b64 exec, exec, s[28:29]
	v_lshrrev_b64 v[1:2], 20, v[8:9]
	v_cmp_gt_i32_e64 s[28:29], 16, v12
	v_cndmask_b32_e64 v2, 0, v2, s[28:29]
	v_cndmask_b32_e64 v1, 7, v1, s[28:29]
	v_cmp_eq_u64_e64 s[40:41], 0, v[1:2]
	v_min_i32_e32 v2, 15, v12
	v_lshlrev_b32_e32 v2, 3, v2
	v_cmp_eq_u32_e64 s[28:29], 0, v12
	v_and_b32_e32 v2, 0xf8, v2
	v_and_or_b32 v1, v1, 7, v2
	s_and_b64 s[28:29], s[28:29], s[40:41]
	v_cndmask_b32_e64 v1, v1, 0, s[28:29]
	v_or_b32_e32 v51, v1, v22
.LBB4_1571:                             ;   in Loop: Header=BB4_1257 Depth=4
	s_or_b64 exec, exec, s[48:49]
                                        ; implicit-def: $vgpr22
.LBB4_1572:                             ;   in Loop: Header=BB4_1257 Depth=4
	s_andn2_saveexec_b64 s[28:29], s[38:39]
; %bb.1573:                             ;   in Loop: Header=BB4_1257 Depth=4
	v_or_b32_e32 v51, 0x7e, v22
; %bb.1574:                             ;   in Loop: Header=BB4_1257 Depth=4
	s_or_b64 exec, exec, s[28:29]
                                        ; implicit-def: $vgpr8
.LBB4_1575:                             ;   in Loop: Header=BB4_1257 Depth=4
	s_andn2_saveexec_b64 s[28:29], s[36:37]
; %bb.1576:                             ;   in Loop: Header=BB4_1257 Depth=4
	v_or_b32_sdwa v51, v8, s71 dst_sel:DWORD dst_unused:UNUSED_PAD src0_sel:BYTE_3 src1_sel:DWORD
; %bb.1577:                             ;   in Loop: Header=BB4_1257 Depth=4
	s_or_b64 exec, exec, s[28:29]
	v_mov_b32_e32 v2, v15
	v_cmp_ne_u16_sdwa s[28:29], v15, v3 src0_sel:BYTE_0 src1_sel:DWORD
	v_mov_b32_e32 v12, 0
	s_and_saveexec_b64 s[40:41], s[28:29]
	s_cbranch_execz .LBB4_1583
; %bb.1578:                             ;   in Loop: Header=BB4_1257 Depth=4
	v_cmp_ne_u16_sdwa s[28:29], v15, s70 src0_sel:BYTE_0 src1_sel:DWORD
	v_bfrev_b32_e32 v12, 1
	s_and_saveexec_b64 s[36:37], s[28:29]
	s_cbranch_execz .LBB4_1582
; %bb.1579:                             ;   in Loop: Header=BB4_1257 Depth=4
	v_and_b32_e32 v1, 0x7f, v15
	v_cmp_ne_u32_e64 s[28:29], s71, v1
	v_mov_b32_e32 v12, 0x7f800001
	s_and_saveexec_b64 s[38:39], s[28:29]
	s_cbranch_execz .LBB4_1581
; %bb.1580:                             ;   in Loop: Header=BB4_1257 Depth=4
	v_and_b32_e32 v8, 7, v15
	v_lshrrev_b32_e32 v9, 3, v1
	v_cmp_gt_u32_e64 s[28:29], 8, v1
	v_ffbh_u32_e32 v1, v8
	v_min_u32_e32 v1, 32, v1
	v_subrev_u32_e32 v8, 28, v1
	v_sub_u32_e32 v1, 29, v1
	v_cndmask_b32_e64 v8, 0, v8, s[28:29]
	v_cndmask_b32_e64 v1, v9, v1, s[28:29]
	v_lshlrev_b64 v[8:9], v8, v[2:3]
	v_lshlrev_b32_e32 v9, 24, v2
	v_lshlrev_b32_e32 v8, 20, v8
	v_and_b32_e32 v8, 0x700000, v8
	v_and_b32_e32 v9, 0x80000000, v9
	v_lshl_add_u32 v1, v1, 23, v0
	v_or3_b32 v12, v9, v1, v8
.LBB4_1581:                             ;   in Loop: Header=BB4_1257 Depth=4
	s_or_b64 exec, exec, s[38:39]
.LBB4_1582:                             ;   in Loop: Header=BB4_1257 Depth=4
	s_or_b64 exec, exec, s[36:37]
.LBB4_1583:                             ;   in Loop: Header=BB4_1257 Depth=4
	s_or_b64 exec, exec, s[40:41]
	v_cmp_gt_i16_sdwa s[40:41], v11, s71 src0_sel:BYTE_0 src1_sel:DWORD
	s_mov_b64 s[28:29], 0
	s_and_saveexec_b64 s[44:45], s[40:41]
	s_xor_b64 s[40:41], exec, s[44:45]
	s_cbranch_execz .LBB4_1587
; %bb.1584:                             ;   in Loop: Header=BB4_1257 Depth=4
	v_cmp_eq_u16_sdwa s[44:45], v11, s70 src0_sel:BYTE_0 src1_sel:DWORD
	s_mov_b64 s[28:29], -1
	s_and_saveexec_b64 s[36:37], s[44:45]
; %bb.1585:                             ;   in Loop: Header=BB4_1257 Depth=4
	s_xor_b64 s[28:29], exec, -1
; %bb.1586:                             ;   in Loop: Header=BB4_1257 Depth=4
	s_or_b64 exec, exec, s[36:37]
	s_and_b64 s[28:29], s[28:29], exec
.LBB4_1587:                             ;   in Loop: Header=BB4_1257 Depth=4
	s_or_saveexec_b64 s[40:41], s[40:41]
	v_bfrev_b32_e32 v1, 1
	s_xor_b64 exec, exec, s[40:41]
; %bb.1588:                             ;   in Loop: Header=BB4_1257 Depth=4
	v_cmp_ne_u16_sdwa s[44:45], v11, v3 src0_sel:BYTE_0 src1_sel:DWORD
	s_andn2_b64 s[28:29], s[28:29], exec
	s_and_b64 s[44:45], s[44:45], exec
	v_mov_b32_e32 v1, 0
	s_or_b64 s[28:29], s[28:29], s[44:45]
; %bb.1589:                             ;   in Loop: Header=BB4_1257 Depth=4
	s_or_b64 exec, exec, s[40:41]
	v_mov_b32_e32 v8, v11
	v_mov_b32_e32 v9, v3
	s_and_saveexec_b64 s[40:41], s[28:29]
	s_cbranch_execz .LBB4_1591
; %bb.1590:                             ;   in Loop: Header=BB4_1257 Depth=4
	v_and_b32_e32 v1, 7, v11
	v_ffbh_u32_e32 v1, v1
	v_and_b32_e32 v13, 0x7f, v11
	v_min_u32_e32 v1, 32, v1
	v_bfe_u32 v22, v11, 3, 4
	v_subrev_u32_e32 v23, 28, v1
	v_sub_u32_e32 v1, 29, v1
	v_cmp_gt_u32_e64 s[28:29], 8, v13
	v_cndmask_b32_e64 v1, v22, v1, s[28:29]
	v_cndmask_b32_e64 v22, 0, v23, s[28:29]
	v_lshlrev_b64 v[22:23], v22, v[8:9]
	v_lshl_add_u32 v1, v1, 23, v0
	v_lshlrev_b32_e32 v9, 20, v22
	v_lshlrev_b32_e32 v22, 24, v8
	v_and_b32_e32 v9, 0x700000, v9
	v_and_b32_e32 v22, 0x80000000, v22
	v_or3_b32 v1, v22, v1, v9
	v_cmp_ne_u32_e64 s[28:29], s71, v13
	v_mov_b32_e32 v9, 0x7f800001
	v_cndmask_b32_e64 v1, v9, v1, s[28:29]
.LBB4_1591:                             ;   in Loop: Header=BB4_1257 Depth=4
	s_or_b64 exec, exec, s[40:41]
	v_mul_f32_e32 v12, v12, v1
	v_and_b32_e32 v22, 0x7f800000, v12
	v_mov_b32_e32 v23, v3
	v_cmp_ne_u64_e64 s[28:29], s[62:63], v[22:23]
                                        ; implicit-def: $vgpr22
	s_and_saveexec_b64 s[40:41], s[28:29]
	s_xor_b64 s[36:37], exec, s[40:41]
	s_cbranch_execz .LBB4_1605
; %bb.1592:                             ;   in Loop: Header=BB4_1257 Depth=4
	v_and_b32_e32 v22, 0x7fffffff, v12
	v_mov_b32_e32 v23, v3
	v_cmp_gt_u64_e64 s[28:29], s[72:73], v[22:23]
	v_and_b32_sdwa v9, v12, s70 dst_sel:DWORD dst_unused:UNUSED_PAD src0_sel:BYTE_3 src1_sel:DWORD
                                        ; implicit-def: $vgpr22
	s_and_saveexec_b64 s[40:41], s[28:29]
	s_xor_b64 s[38:39], exec, s[40:41]
	s_cbranch_execz .LBB4_1602
; %bb.1593:                             ;   in Loop: Header=BB4_1257 Depth=4
	v_mov_b32_e32 v22, 0
	v_cmp_ne_u32_e64 s[28:29], 0, v12
	s_and_saveexec_b64 s[48:49], s[28:29]
	s_cbranch_execz .LBB4_1601
; %bb.1594:                             ;   in Loop: Header=BB4_1257 Depth=4
	v_bfe_u32 v50, v12, 23, 8
	v_cmp_gt_u32_e64 s[40:41], s80, v50
	v_sub_u32_e32 v1, 0x79, v50
	v_cmp_eq_u32_e64 s[28:29], 0, v50
	v_cndmask_b32_e64 v1, 0, v1, s[40:41]
	v_mov_b32_e32 v22, 0x78
	v_cndmask_b32_e64 v1, v1, v22, s[28:29]
	v_and_b32_e32 v13, 0x7fffff, v12
	v_add_u32_e32 v22, 20, v1
	v_or_b32_e32 v12, 0x800000, v13
	v_lshlrev_b64 v[22:23], v22, -1
	v_cndmask_b32_e64 v12, v12, v13, s[28:29]
	v_mov_b32_e32 v13, v3
	v_add_u32_e32 v54, 19, v1
	v_bfi_b32 v22, v22, 0, v12
	v_lshlrev_b64 v[54:55], v54, 1
	v_lshrrev_b64 v[12:13], v1, v[12:13]
	v_bfi_b32 v23, v23, 0, 0
	v_cmp_eq_u64_e64 s[40:41], v[22:23], v[54:55]
	v_mov_b32_e32 v23, v13
	v_mov_b32_e32 v22, v12
	s_and_saveexec_b64 s[50:51], s[40:41]
; %bb.1595:                             ;   in Loop: Header=BB4_1257 Depth=4
	v_bfe_u32 v13, v12, 20, 1
	v_add_co_u32_e64 v13, s[40:41], v12, v13
	v_add_co_u32_e64 v22, s[40:41], -1, v13
; %bb.1596:                             ;   in Loop: Header=BB4_1257 Depth=4
	s_or_b64 exec, exec, s[50:51]
	v_add_u32_e32 v13, 0xffffff81, v50
	v_mov_b32_e32 v23, 0xffffff82
	v_cndmask_b32_e64 v13, v13, v23, s[28:29]
	v_lshrrev_b32_e32 v23, 23, v12
	v_add3_u32 v23, v1, v13, v23
	v_add_u32_e32 v1, 6, v23
	v_and_b32_e32 v13, 0xfffff, v22
	v_add_u32_e32 v12, v13, v12
	v_mov_b32_e32 v13, v3
	v_cmp_ne_u32_e64 s[28:29], 0, v1
                                        ; implicit-def: $vgpr22
	s_and_saveexec_b64 s[40:41], s[28:29]
	s_xor_b64 s[40:41], exec, s[40:41]
; %bb.1597:                             ;   in Loop: Header=BB4_1257 Depth=4
	v_cmp_lt_u64_e64 s[28:29], s[88:89], v[12:13]
	v_add_u32_e32 v22, 7, v23
	v_cndmask_b32_e64 v22, v1, v22, s[28:29]
	v_cndmask_b32_e64 v1, 0, 1, s[28:29]
	v_lshrrev_b64 v[12:13], v1, v[12:13]
; %bb.1598:                             ;   in Loop: Header=BB4_1257 Depth=4
	s_andn2_saveexec_b64 s[28:29], s[40:41]
; %bb.1599:                             ;   in Loop: Header=BB4_1257 Depth=4
	v_bfe_u32 v22, v12, 23, 1
; %bb.1600:                             ;   in Loop: Header=BB4_1257 Depth=4
	s_or_b64 exec, exec, s[28:29]
	v_lshrrev_b64 v[12:13], 20, v[12:13]
	v_cmp_gt_i32_e64 s[28:29], 16, v22
	v_cndmask_b32_e64 v13, 0, v13, s[28:29]
	v_cndmask_b32_e64 v12, 7, v12, s[28:29]
	v_min_i32_e32 v1, 15, v22
	v_cmp_eq_u64_e64 s[40:41], 0, v[12:13]
	v_lshlrev_b32_e32 v1, 3, v1
	v_cmp_eq_u32_e64 s[28:29], 0, v22
	v_and_b32_e32 v1, 0xf8, v1
	v_and_or_b32 v1, v12, 7, v1
	s_and_b64 s[28:29], s[28:29], s[40:41]
	v_cndmask_b32_e64 v1, v1, 0, s[28:29]
	v_or_b32_e32 v22, v1, v9
.LBB4_1601:                             ;   in Loop: Header=BB4_1257 Depth=4
	s_or_b64 exec, exec, s[48:49]
                                        ; implicit-def: $vgpr9
.LBB4_1602:                             ;   in Loop: Header=BB4_1257 Depth=4
	s_andn2_saveexec_b64 s[28:29], s[38:39]
; %bb.1603:                             ;   in Loop: Header=BB4_1257 Depth=4
	v_or_b32_e32 v22, 0x7e, v9
; %bb.1604:                             ;   in Loop: Header=BB4_1257 Depth=4
	s_or_b64 exec, exec, s[28:29]
                                        ; implicit-def: $vgpr12
.LBB4_1605:                             ;   in Loop: Header=BB4_1257 Depth=4
	s_andn2_saveexec_b64 s[28:29], s[36:37]
; %bb.1606:                             ;   in Loop: Header=BB4_1257 Depth=4
	v_or_b32_sdwa v22, v12, s71 dst_sel:DWORD dst_unused:UNUSED_PAD src0_sel:BYTE_3 src1_sel:DWORD
; %bb.1607:                             ;   in Loop: Header=BB4_1257 Depth=4
	s_or_b64 exec, exec, s[28:29]
	v_lshrrev_b16_e32 v9, 8, v2
	v_cmp_ne_u16_e64 s[28:29], 0, v9
	v_mov_b32_e32 v12, 0
	s_and_saveexec_b64 s[40:41], s[28:29]
	s_cbranch_execz .LBB4_1613
; %bb.1608:                             ;   in Loop: Header=BB4_1257 Depth=4
	v_cmp_ne_u16_e64 s[28:29], s70, v9
	v_bfrev_b32_e32 v12, 1
	s_and_saveexec_b64 s[36:37], s[28:29]
	s_cbranch_execz .LBB4_1612
; %bb.1609:                             ;   in Loop: Header=BB4_1257 Depth=4
	v_and_b32_e32 v1, 0x7f, v9
	v_cmp_ne_u32_e64 s[28:29], s71, v1
	v_mov_b32_e32 v12, 0x7f800001
	s_and_saveexec_b64 s[38:39], s[28:29]
	s_cbranch_execz .LBB4_1611
; %bb.1610:                             ;   in Loop: Header=BB4_1257 Depth=4
	v_and_b32_e32 v23, 7, v9
	v_lshrrev_b32_e32 v50, 3, v1
	v_cmp_gt_u32_e64 s[28:29], 8, v1
	v_ffbh_u32_e32 v1, v23
	v_min_u32_e32 v1, 32, v1
	v_subrev_u32_e32 v12, 28, v1
	v_lshlrev_b64 v[12:13], v12, v[9:10]
	v_sub_u32_e32 v1, 29, v1
	v_and_b32_e32 v9, 7, v12
	v_cndmask_b32_e64 v1, v50, v1, s[28:29]
	v_cndmask_b32_e64 v9, v23, v9, s[28:29]
	v_lshlrev_b32_e32 v2, 16, v2
	v_lshlrev_b32_e32 v9, 20, v9
	v_and_b32_e32 v2, 0x80000000, v2
	v_lshl_add_u32 v1, v1, 23, v0
	v_or3_b32 v12, v2, v1, v9
.LBB4_1611:                             ;   in Loop: Header=BB4_1257 Depth=4
	s_or_b64 exec, exec, s[38:39]
.LBB4_1612:                             ;   in Loop: Header=BB4_1257 Depth=4
	s_or_b64 exec, exec, s[36:37]
.LBB4_1613:                             ;   in Loop: Header=BB4_1257 Depth=4
	s_or_b64 exec, exec, s[40:41]
	v_lshrrev_b16_e32 v2, 8, v8
	v_cmp_lt_i16_e64 s[28:29], s71, v2
	s_mov_b64 s[40:41], 0
	s_and_saveexec_b64 s[44:45], s[28:29]
	s_xor_b64 s[36:37], exec, s[44:45]
	s_cbranch_execz .LBB4_1701
; %bb.1614:                             ;   in Loop: Header=BB4_1257 Depth=4
	v_cmp_eq_u16_e64 s[28:29], s70, v2
	s_mov_b64 s[40:41], -1
	s_and_saveexec_b64 s[38:39], s[28:29]
; %bb.1615:                             ;   in Loop: Header=BB4_1257 Depth=4
	s_xor_b64 s[40:41], exec, -1
; %bb.1616:                             ;   in Loop: Header=BB4_1257 Depth=4
	s_or_b64 exec, exec, s[38:39]
	s_and_b64 s[40:41], s[40:41], exec
	s_or_saveexec_b64 s[36:37], s[36:37]
	v_bfrev_b32_e32 v1, 1
	s_xor_b64 exec, exec, s[36:37]
	s_cbranch_execnz .LBB4_1702
.LBB4_1617:                             ;   in Loop: Header=BB4_1257 Depth=4
	s_or_b64 exec, exec, s[36:37]
	s_and_saveexec_b64 s[36:37], s[40:41]
	s_cbranch_execz .LBB4_1619
.LBB4_1618:                             ;   in Loop: Header=BB4_1257 Depth=4
	v_and_b32_e32 v1, 7, v2
	v_ffbh_u32_e32 v8, v1
	v_min_u32_e32 v50, 32, v8
	v_subrev_u32_e32 v8, 28, v50
	v_lshlrev_b64 v[8:9], v8, v[2:3]
	v_and_b32_e32 v13, 0x7f, v2
	v_bfe_u32 v23, v2, 3, 4
	v_sub_u32_e32 v9, 29, v50
	v_and_b32_e32 v8, 7, v8
	v_cmp_gt_u32_e64 s[28:29], 8, v13
	v_cndmask_b32_e64 v9, v23, v9, s[28:29]
	v_cndmask_b32_e64 v1, v1, v8, s[28:29]
	v_lshlrev_b32_e32 v2, 24, v2
	v_lshlrev_b32_e32 v1, 20, v1
	v_and_b32_e32 v2, 0x80000000, v2
	v_lshl_add_u32 v8, v9, 23, v0
	v_or3_b32 v1, v2, v8, v1
	v_cmp_ne_u32_e64 s[28:29], s71, v13
	v_mov_b32_e32 v2, 0x7f800001
	v_cndmask_b32_e64 v1, v2, v1, s[28:29]
.LBB4_1619:                             ;   in Loop: Header=BB4_1257 Depth=4
	s_or_b64 exec, exec, s[36:37]
	v_mul_f32_e32 v8, v12, v1
	v_and_b32_e32 v2, 0x7f800000, v8
	v_cmp_ne_u64_e64 s[28:29], s[62:63], v[2:3]
                                        ; implicit-def: $vgpr23
	s_and_saveexec_b64 s[40:41], s[28:29]
	s_xor_b64 s[36:37], exec, s[40:41]
	s_cbranch_execz .LBB4_1633
; %bb.1620:                             ;   in Loop: Header=BB4_1257 Depth=4
	v_and_b32_e32 v2, 0x7fffffff, v8
	v_cmp_gt_u64_e64 s[28:29], s[72:73], v[2:3]
	v_and_b32_sdwa v50, v8, s70 dst_sel:DWORD dst_unused:UNUSED_PAD src0_sel:BYTE_3 src1_sel:DWORD
                                        ; implicit-def: $vgpr23
	s_and_saveexec_b64 s[40:41], s[28:29]
	s_xor_b64 s[38:39], exec, s[40:41]
	s_cbranch_execz .LBB4_1630
; %bb.1621:                             ;   in Loop: Header=BB4_1257 Depth=4
	v_mov_b32_e32 v23, 0
	v_cmp_ne_u32_e64 s[28:29], 0, v8
	s_and_saveexec_b64 s[48:49], s[28:29]
	s_cbranch_execz .LBB4_1629
; %bb.1622:                             ;   in Loop: Header=BB4_1257 Depth=4
	v_bfe_u32 v23, v8, 23, 8
	v_cmp_gt_u32_e64 s[40:41], s80, v23
	v_sub_u32_e32 v1, 0x79, v23
	v_and_b32_e32 v2, 0x7fffff, v8
	v_cmp_eq_u32_e64 s[28:29], 0, v23
	v_cndmask_b32_e64 v1, 0, v1, s[40:41]
	v_mov_b32_e32 v9, 0x78
	v_or_b32_e32 v8, 0x800000, v2
	v_cndmask_b32_e64 v1, v1, v9, s[28:29]
	v_cndmask_b32_e64 v2, v8, v2, s[28:29]
	v_add_u32_e32 v8, 20, v1
	v_lshlrev_b64 v[8:9], v8, -1
	v_add_u32_e32 v12, 19, v1
	v_lshlrev_b64 v[12:13], v12, 1
	v_bfi_b32 v9, v9, 0, 0
	v_bfi_b32 v8, v8, 0, v2
	v_cmp_eq_u64_e64 s[40:41], v[8:9], v[12:13]
	v_lshrrev_b64 v[8:9], v1, v[2:3]
	v_mov_b32_e32 v13, v9
	v_mov_b32_e32 v12, v8
	s_and_saveexec_b64 s[50:51], s[40:41]
; %bb.1623:                             ;   in Loop: Header=BB4_1257 Depth=4
	v_bfe_u32 v2, v8, 20, 1
	v_add_co_u32_e64 v2, s[40:41], v8, v2
	v_add_co_u32_e64 v12, s[40:41], -1, v2
; %bb.1624:                             ;   in Loop: Header=BB4_1257 Depth=4
	s_or_b64 exec, exec, s[50:51]
	v_add_u32_e32 v2, 0xffffff81, v23
	v_mov_b32_e32 v9, 0xffffff82
	v_cndmask_b32_e64 v2, v2, v9, s[28:29]
	v_lshrrev_b32_e32 v9, 23, v8
	v_add3_u32 v13, v1, v2, v9
	v_add_u32_e32 v1, 6, v13
	v_and_b32_e32 v2, 0xfffff, v12
	v_add_u32_e32 v2, v2, v8
	v_cmp_ne_u32_e64 s[28:29], 0, v1
                                        ; implicit-def: $vgpr8_vgpr9
                                        ; implicit-def: $vgpr12
	s_and_saveexec_b64 s[40:41], s[28:29]
	s_xor_b64 s[40:41], exec, s[40:41]
; %bb.1625:                             ;   in Loop: Header=BB4_1257 Depth=4
	v_cmp_lt_u64_e64 s[28:29], s[88:89], v[2:3]
	v_add_u32_e32 v8, 7, v13
	v_cndmask_b32_e64 v12, v1, v8, s[28:29]
	v_cndmask_b32_e64 v1, 0, 1, s[28:29]
	v_lshrrev_b64 v[8:9], v1, v[2:3]
; %bb.1626:                             ;   in Loop: Header=BB4_1257 Depth=4
	s_andn2_saveexec_b64 s[28:29], s[40:41]
; %bb.1627:                             ;   in Loop: Header=BB4_1257 Depth=4
	v_mov_b32_e32 v9, v3
	v_bfe_u32 v12, v2, 23, 1
	v_mov_b32_e32 v8, v2
; %bb.1628:                             ;   in Loop: Header=BB4_1257 Depth=4
	s_or_b64 exec, exec, s[28:29]
	v_lshrrev_b64 v[1:2], 20, v[8:9]
	v_cmp_gt_i32_e64 s[28:29], 16, v12
	v_cndmask_b32_e64 v2, 0, v2, s[28:29]
	v_cndmask_b32_e64 v1, 7, v1, s[28:29]
	v_cmp_eq_u64_e64 s[40:41], 0, v[1:2]
	v_min_i32_e32 v2, 15, v12
	v_lshlrev_b32_e32 v2, 3, v2
	v_cmp_eq_u32_e64 s[28:29], 0, v12
	v_and_b32_e32 v2, 0xf8, v2
	v_and_or_b32 v1, v1, 7, v2
	s_and_b64 s[28:29], s[28:29], s[40:41]
	v_cndmask_b32_e64 v1, v1, 0, s[28:29]
	v_or_b32_e32 v23, v1, v50
.LBB4_1629:                             ;   in Loop: Header=BB4_1257 Depth=4
	s_or_b64 exec, exec, s[48:49]
                                        ; implicit-def: $vgpr50
.LBB4_1630:                             ;   in Loop: Header=BB4_1257 Depth=4
	s_andn2_saveexec_b64 s[28:29], s[38:39]
; %bb.1631:                             ;   in Loop: Header=BB4_1257 Depth=4
	v_or_b32_e32 v23, 0x7e, v50
; %bb.1632:                             ;   in Loop: Header=BB4_1257 Depth=4
	s_or_b64 exec, exec, s[28:29]
                                        ; implicit-def: $vgpr8
.LBB4_1633:                             ;   in Loop: Header=BB4_1257 Depth=4
	s_andn2_saveexec_b64 s[28:29], s[36:37]
; %bb.1634:                             ;   in Loop: Header=BB4_1257 Depth=4
	v_or_b32_sdwa v23, v8, s71 dst_sel:DWORD dst_unused:UNUSED_PAD src0_sel:BYTE_3 src1_sel:DWORD
; %bb.1635:                             ;   in Loop: Header=BB4_1257 Depth=4
	s_or_b64 exec, exec, s[28:29]
	v_lshrrev_b32_e32 v2, 16, v15
	v_cmp_ne_u16_sdwa s[28:29], v2, v3 src0_sel:BYTE_0 src1_sel:DWORD
	v_mov_b32_e32 v8, 0
	s_and_saveexec_b64 s[40:41], s[28:29]
	s_cbranch_execz .LBB4_1641
; %bb.1636:                             ;   in Loop: Header=BB4_1257 Depth=4
	v_cmp_ne_u16_sdwa s[28:29], v2, s70 src0_sel:BYTE_0 src1_sel:DWORD
	v_bfrev_b32_e32 v8, 1
	s_and_saveexec_b64 s[36:37], s[28:29]
	s_cbranch_execz .LBB4_1640
; %bb.1637:                             ;   in Loop: Header=BB4_1257 Depth=4
	v_bfe_u32 v1, v15, 16, 7
	v_cmp_ne_u32_e64 s[28:29], s71, v1
	v_mov_b32_e32 v8, 0x7f800001
	s_and_saveexec_b64 s[38:39], s[28:29]
	s_cbranch_execz .LBB4_1639
; %bb.1638:                             ;   in Loop: Header=BB4_1257 Depth=4
	v_and_b32_e32 v12, 7, v2
	v_lshrrev_b32_e32 v13, 3, v1
	v_cmp_gt_u32_e64 s[28:29], 8, v1
	v_ffbh_u32_e32 v1, v12
	v_min_u32_e32 v1, 32, v1
	v_subrev_u32_e32 v8, 28, v1
	v_lshlrev_b64 v[8:9], v8, v[2:3]
	v_sub_u32_e32 v1, 29, v1
	v_and_b32_e32 v8, 7, v8
	v_cndmask_b32_e64 v1, v13, v1, s[28:29]
	v_cndmask_b32_e64 v8, v12, v8, s[28:29]
	v_lshlrev_b32_e32 v2, 24, v2
	v_lshlrev_b32_e32 v8, 20, v8
	v_and_b32_e32 v2, 0x80000000, v2
	v_lshl_add_u32 v1, v1, 23, v0
	v_or3_b32 v8, v2, v1, v8
.LBB4_1639:                             ;   in Loop: Header=BB4_1257 Depth=4
	s_or_b64 exec, exec, s[38:39]
.LBB4_1640:                             ;   in Loop: Header=BB4_1257 Depth=4
	s_or_b64 exec, exec, s[36:37]
.LBB4_1641:                             ;   in Loop: Header=BB4_1257 Depth=4
	s_or_b64 exec, exec, s[40:41]
	v_lshrrev_b32_e32 v2, 16, v11
	v_cmp_gt_i16_sdwa s[40:41], v2, s71 src0_sel:BYTE_0 src1_sel:DWORD
	s_mov_b64 s[28:29], 0
	s_and_saveexec_b64 s[44:45], s[40:41]
	s_xor_b64 s[40:41], exec, s[44:45]
	s_cbranch_execz .LBB4_1703
; %bb.1642:                             ;   in Loop: Header=BB4_1257 Depth=4
	v_cmp_eq_u16_sdwa s[44:45], v2, s70 src0_sel:BYTE_0 src1_sel:DWORD
	s_mov_b64 s[28:29], -1
	s_and_saveexec_b64 s[36:37], s[44:45]
; %bb.1643:                             ;   in Loop: Header=BB4_1257 Depth=4
	s_xor_b64 s[28:29], exec, -1
; %bb.1644:                             ;   in Loop: Header=BB4_1257 Depth=4
	s_or_b64 exec, exec, s[36:37]
	s_and_b64 s[28:29], s[28:29], exec
	s_or_saveexec_b64 s[40:41], s[40:41]
	v_bfrev_b32_e32 v1, 1
	s_xor_b64 exec, exec, s[40:41]
	s_cbranch_execnz .LBB4_1704
.LBB4_1645:                             ;   in Loop: Header=BB4_1257 Depth=4
	s_or_b64 exec, exec, s[40:41]
	s_and_saveexec_b64 s[40:41], s[28:29]
	s_cbranch_execz .LBB4_1647
.LBB4_1646:                             ;   in Loop: Header=BB4_1257 Depth=4
	v_and_b32_e32 v1, 7, v2
	v_ffbh_u32_e32 v12, v1
	v_min_u32_e32 v54, 32, v12
	v_subrev_u32_e32 v12, 28, v54
	v_lshlrev_b64 v[12:13], v12, v[2:3]
	v_and_b32_e32 v9, 0x7f, v2
	v_bfe_u32 v50, v2, 3, 4
	v_sub_u32_e32 v13, 29, v54
	v_and_b32_e32 v12, 7, v12
	v_cmp_gt_u32_e64 s[28:29], 8, v9
	v_cndmask_b32_e64 v13, v50, v13, s[28:29]
	v_cndmask_b32_e64 v1, v1, v12, s[28:29]
	v_lshlrev_b32_e32 v2, 24, v2
	v_lshlrev_b32_e32 v1, 20, v1
	v_and_b32_e32 v2, 0x80000000, v2
	v_lshl_add_u32 v12, v13, 23, v0
	v_or3_b32 v1, v2, v12, v1
	v_cmp_ne_u32_e64 s[28:29], s71, v9
	v_mov_b32_e32 v2, 0x7f800001
	v_cndmask_b32_e64 v1, v2, v1, s[28:29]
.LBB4_1647:                             ;   in Loop: Header=BB4_1257 Depth=4
	s_or_b64 exec, exec, s[40:41]
	v_mul_f32_e32 v8, v8, v1
	v_and_b32_e32 v2, 0x7f800000, v8
	v_cmp_ne_u64_e64 s[28:29], s[62:63], v[2:3]
                                        ; implicit-def: $vgpr12
	s_and_saveexec_b64 s[40:41], s[28:29]
	s_xor_b64 s[36:37], exec, s[40:41]
	s_cbranch_execz .LBB4_1661
; %bb.1648:                             ;   in Loop: Header=BB4_1257 Depth=4
	v_and_b32_e32 v2, 0x7fffffff, v8
	v_cmp_gt_u64_e64 s[28:29], s[72:73], v[2:3]
	v_and_b32_sdwa v50, v8, s70 dst_sel:DWORD dst_unused:UNUSED_PAD src0_sel:BYTE_3 src1_sel:DWORD
                                        ; implicit-def: $vgpr12
	s_and_saveexec_b64 s[40:41], s[28:29]
	s_xor_b64 s[38:39], exec, s[40:41]
	s_cbranch_execz .LBB4_1658
; %bb.1649:                             ;   in Loop: Header=BB4_1257 Depth=4
	v_mov_b32_e32 v12, 0
	v_cmp_ne_u32_e64 s[28:29], 0, v8
	s_and_saveexec_b64 s[48:49], s[28:29]
	s_cbranch_execz .LBB4_1657
; %bb.1650:                             ;   in Loop: Header=BB4_1257 Depth=4
	v_bfe_u32 v54, v8, 23, 8
	v_cmp_gt_u32_e64 s[40:41], s80, v54
	v_sub_u32_e32 v1, 0x79, v54
	v_and_b32_e32 v2, 0x7fffff, v8
	v_cmp_eq_u32_e64 s[28:29], 0, v54
	v_cndmask_b32_e64 v1, 0, v1, s[40:41]
	v_mov_b32_e32 v9, 0x78
	v_or_b32_e32 v8, 0x800000, v2
	v_cndmask_b32_e64 v1, v1, v9, s[28:29]
	v_cndmask_b32_e64 v2, v8, v2, s[28:29]
	v_add_u32_e32 v8, 20, v1
	v_lshlrev_b64 v[8:9], v8, -1
	v_add_u32_e32 v12, 19, v1
	v_lshlrev_b64 v[12:13], v12, 1
	v_bfi_b32 v9, v9, 0, 0
	v_bfi_b32 v8, v8, 0, v2
	v_cmp_eq_u64_e64 s[40:41], v[8:9], v[12:13]
	v_lshrrev_b64 v[8:9], v1, v[2:3]
	v_mov_b32_e32 v13, v9
	v_mov_b32_e32 v12, v8
	s_and_saveexec_b64 s[50:51], s[40:41]
; %bb.1651:                             ;   in Loop: Header=BB4_1257 Depth=4
	v_bfe_u32 v2, v8, 20, 1
	v_add_co_u32_e64 v2, s[40:41], v8, v2
	v_add_co_u32_e64 v12, s[40:41], -1, v2
; %bb.1652:                             ;   in Loop: Header=BB4_1257 Depth=4
	s_or_b64 exec, exec, s[50:51]
	v_add_u32_e32 v2, 0xffffff81, v54
	v_mov_b32_e32 v9, 0xffffff82
	v_cndmask_b32_e64 v2, v2, v9, s[28:29]
	v_lshrrev_b32_e32 v9, 23, v8
	v_add3_u32 v13, v1, v2, v9
	v_add_u32_e32 v1, 6, v13
	v_and_b32_e32 v2, 0xfffff, v12
	v_add_u32_e32 v2, v2, v8
	v_cmp_ne_u32_e64 s[28:29], 0, v1
                                        ; implicit-def: $vgpr8_vgpr9
                                        ; implicit-def: $vgpr12
	s_and_saveexec_b64 s[40:41], s[28:29]
	s_xor_b64 s[40:41], exec, s[40:41]
; %bb.1653:                             ;   in Loop: Header=BB4_1257 Depth=4
	v_cmp_lt_u64_e64 s[28:29], s[88:89], v[2:3]
	v_add_u32_e32 v8, 7, v13
	v_cndmask_b32_e64 v12, v1, v8, s[28:29]
	v_cndmask_b32_e64 v1, 0, 1, s[28:29]
	v_lshrrev_b64 v[8:9], v1, v[2:3]
; %bb.1654:                             ;   in Loop: Header=BB4_1257 Depth=4
	s_andn2_saveexec_b64 s[28:29], s[40:41]
; %bb.1655:                             ;   in Loop: Header=BB4_1257 Depth=4
	v_mov_b32_e32 v9, v3
	v_bfe_u32 v12, v2, 23, 1
	v_mov_b32_e32 v8, v2
; %bb.1656:                             ;   in Loop: Header=BB4_1257 Depth=4
	s_or_b64 exec, exec, s[28:29]
	v_lshrrev_b64 v[1:2], 20, v[8:9]
	v_cmp_gt_i32_e64 s[28:29], 16, v12
	v_cndmask_b32_e64 v2, 0, v2, s[28:29]
	v_cndmask_b32_e64 v1, 7, v1, s[28:29]
	v_cmp_eq_u64_e64 s[40:41], 0, v[1:2]
	v_min_i32_e32 v2, 15, v12
	v_lshlrev_b32_e32 v2, 3, v2
	v_cmp_eq_u32_e64 s[28:29], 0, v12
	v_and_b32_e32 v2, 0xf8, v2
	v_and_or_b32 v1, v1, 7, v2
	s_and_b64 s[28:29], s[28:29], s[40:41]
	v_cndmask_b32_e64 v1, v1, 0, s[28:29]
	v_or_b32_e32 v12, v1, v50
.LBB4_1657:                             ;   in Loop: Header=BB4_1257 Depth=4
	s_or_b64 exec, exec, s[48:49]
                                        ; implicit-def: $vgpr50
.LBB4_1658:                             ;   in Loop: Header=BB4_1257 Depth=4
	s_andn2_saveexec_b64 s[28:29], s[38:39]
; %bb.1659:                             ;   in Loop: Header=BB4_1257 Depth=4
	v_or_b32_e32 v12, 0x7e, v50
; %bb.1660:                             ;   in Loop: Header=BB4_1257 Depth=4
	s_or_b64 exec, exec, s[28:29]
                                        ; implicit-def: $vgpr8
.LBB4_1661:                             ;   in Loop: Header=BB4_1257 Depth=4
	s_andn2_saveexec_b64 s[28:29], s[36:37]
; %bb.1662:                             ;   in Loop: Header=BB4_1257 Depth=4
	v_or_b32_sdwa v12, v8, s71 dst_sel:DWORD dst_unused:UNUSED_PAD src0_sel:BYTE_3 src1_sel:DWORD
; %bb.1663:                             ;   in Loop: Header=BB4_1257 Depth=4
	s_or_b64 exec, exec, s[28:29]
	v_cmp_lt_u64_e64 s[28:29], s[56:57], v[14:15]
	v_mov_b32_e32 v8, 0
	s_and_saveexec_b64 s[40:41], s[28:29]
	s_cbranch_execz .LBB4_1669
; %bb.1664:                             ;   in Loop: Header=BB4_1257 Depth=4
	v_lshrrev_b32_e32 v2, 24, v15
	v_cmp_ne_u32_e64 s[28:29], s70, v2
	v_bfrev_b32_e32 v8, 1
	s_and_saveexec_b64 s[36:37], s[28:29]
	s_cbranch_execz .LBB4_1668
; %bb.1665:                             ;   in Loop: Header=BB4_1257 Depth=4
	v_bfe_u32 v1, v15, 24, 7
	v_cmp_ne_u32_e64 s[28:29], s71, v1
	v_mov_b32_e32 v8, 0x7f800001
	s_and_saveexec_b64 s[38:39], s[28:29]
	s_cbranch_execz .LBB4_1667
; %bb.1666:                             ;   in Loop: Header=BB4_1257 Depth=4
	v_and_b32_e32 v13, 7, v2
	v_lshrrev_b32_e32 v14, 3, v1
	v_cmp_gt_u32_e64 s[28:29], 8, v1
	v_ffbh_u32_e32 v1, v13
	v_min_u32_e32 v1, 32, v1
	v_subrev_u32_e32 v8, 28, v1
	v_lshlrev_b64 v[8:9], v8, v[2:3]
	v_sub_u32_e32 v1, 29, v1
	v_and_b32_e32 v8, 7, v8
	v_cndmask_b32_e64 v1, v14, v1, s[28:29]
	v_cndmask_b32_e64 v8, v13, v8, s[28:29]
	v_lshlrev_b32_e32 v2, 24, v2
	v_lshlrev_b32_e32 v8, 20, v8
	v_and_b32_e32 v2, 0x80000000, v2
	v_lshl_add_u32 v1, v1, 23, v0
	v_or3_b32 v8, v2, v1, v8
.LBB4_1667:                             ;   in Loop: Header=BB4_1257 Depth=4
	s_or_b64 exec, exec, s[38:39]
.LBB4_1668:                             ;   in Loop: Header=BB4_1257 Depth=4
	s_or_b64 exec, exec, s[36:37]
.LBB4_1669:                             ;   in Loop: Header=BB4_1257 Depth=4
	s_or_b64 exec, exec, s[40:41]
	v_bfe_u32 v2, v11, 24, 3
	v_ffbh_u32_e32 v13, v2
	v_min_u32_e32 v50, 32, v13
	v_lshrrev_b32_e32 v1, 24, v11
	v_subrev_u32_e32 v13, 28, v50
	v_lshlrev_b64 v[13:14], v13, v[1:2]
	v_bfe_u32 v9, v11, 24, 7
	v_bfe_u32 v15, v1, 3, 4
	v_sub_u32_e32 v14, 29, v50
	v_and_b32_e32 v13, 7, v13
	v_cmp_gt_u32_e64 s[28:29], 8, v9
	v_cndmask_b32_e64 v14, v15, v14, s[28:29]
	v_cndmask_b32_e64 v2, v2, v13, s[28:29]
	v_lshlrev_b32_e32 v2, 20, v2
	v_and_b32_e32 v13, 0x80000000, v11
	v_lshl_add_u32 v14, v14, 23, v0
	v_or3_b32 v2, v13, v14, v2
	v_cmp_ne_u32_e64 s[28:29], s71, v9
	v_mov_b32_e32 v9, 0x7f800001
	v_cndmask_b32_e64 v2, v9, v2, s[28:29]
	v_cmp_ne_u32_e64 s[28:29], s70, v1
	v_bfrev_b32_e32 v1, 1
	v_cndmask_b32_e64 v1, v1, v2, s[28:29]
	v_cmp_lt_u64_e64 s[28:29], s[56:57], v[10:11]
	v_cndmask_b32_e64 v1, 0, v1, s[28:29]
	v_mul_f32_e32 v8, v1, v8
	v_and_b32_e32 v2, 0x7f800000, v8
	v_cmp_ne_u64_e64 s[28:29], s[62:63], v[2:3]
                                        ; implicit-def: $vgpr2
	s_and_saveexec_b64 s[40:41], s[28:29]
	s_xor_b64 s[36:37], exec, s[40:41]
	s_cbranch_execz .LBB4_1683
; %bb.1670:                             ;   in Loop: Header=BB4_1257 Depth=4
	v_and_b32_e32 v2, 0x7fffffff, v8
	v_cmp_gt_u64_e64 s[28:29], s[72:73], v[2:3]
	v_and_b32_sdwa v11, v8, s70 dst_sel:DWORD dst_unused:UNUSED_PAD src0_sel:BYTE_3 src1_sel:DWORD
                                        ; implicit-def: $vgpr2
	s_and_saveexec_b64 s[40:41], s[28:29]
	s_xor_b64 s[38:39], exec, s[40:41]
	s_cbranch_execz .LBB4_1680
; %bb.1671:                             ;   in Loop: Header=BB4_1257 Depth=4
	v_mov_b32_e32 v2, 0
	v_cmp_ne_u32_e64 s[28:29], 0, v8
	s_and_saveexec_b64 s[48:49], s[28:29]
	s_cbranch_execz .LBB4_1679
; %bb.1672:                             ;   in Loop: Header=BB4_1257 Depth=4
	v_bfe_u32 v13, v8, 23, 8
	v_cmp_gt_u32_e64 s[40:41], s80, v13
	v_sub_u32_e32 v1, 0x79, v13
	v_and_b32_e32 v2, 0x7fffff, v8
	v_cmp_eq_u32_e64 s[28:29], 0, v13
	v_cndmask_b32_e64 v1, 0, v1, s[40:41]
	v_mov_b32_e32 v9, 0x78
	v_or_b32_e32 v8, 0x800000, v2
	v_cndmask_b32_e64 v1, v1, v9, s[28:29]
	v_cndmask_b32_e64 v2, v8, v2, s[28:29]
	v_add_u32_e32 v8, 20, v1
	v_lshlrev_b64 v[8:9], v8, -1
	v_add_u32_e32 v10, 19, v1
	v_lshlrev_b64 v[14:15], v10, 1
	v_bfi_b32 v9, v9, 0, 0
	v_bfi_b32 v8, v8, 0, v2
	v_cmp_eq_u64_e64 s[40:41], v[8:9], v[14:15]
	v_lshrrev_b64 v[8:9], v1, v[2:3]
	v_mov_b32_e32 v10, v9
	v_mov_b32_e32 v9, v8
	s_and_saveexec_b64 s[50:51], s[40:41]
; %bb.1673:                             ;   in Loop: Header=BB4_1257 Depth=4
	v_bfe_u32 v2, v8, 20, 1
	v_add_co_u32_e64 v2, s[40:41], v8, v2
	v_add_co_u32_e64 v9, s[40:41], -1, v2
; %bb.1674:                             ;   in Loop: Header=BB4_1257 Depth=4
	s_or_b64 exec, exec, s[50:51]
	v_add_u32_e32 v2, 0xffffff81, v13
	v_mov_b32_e32 v10, 0xffffff82
	v_cndmask_b32_e64 v2, v2, v10, s[28:29]
	v_lshrrev_b32_e32 v10, 23, v8
	v_add3_u32 v13, v1, v2, v10
	v_add_u32_e32 v1, 6, v13
	v_and_b32_e32 v2, 0xfffff, v9
	v_add_u32_e32 v2, v2, v8
	v_cmp_ne_u32_e64 s[28:29], 0, v1
                                        ; implicit-def: $vgpr8_vgpr9
                                        ; implicit-def: $vgpr10
	s_and_saveexec_b64 s[40:41], s[28:29]
	s_xor_b64 s[40:41], exec, s[40:41]
; %bb.1675:                             ;   in Loop: Header=BB4_1257 Depth=4
	v_cmp_lt_u64_e64 s[28:29], s[88:89], v[2:3]
	v_add_u32_e32 v8, 7, v13
	v_cndmask_b32_e64 v10, v1, v8, s[28:29]
	v_cndmask_b32_e64 v1, 0, 1, s[28:29]
	v_lshrrev_b64 v[8:9], v1, v[2:3]
; %bb.1676:                             ;   in Loop: Header=BB4_1257 Depth=4
	s_andn2_saveexec_b64 s[28:29], s[40:41]
; %bb.1677:                             ;   in Loop: Header=BB4_1257 Depth=4
	v_mov_b32_e32 v9, v3
	v_bfe_u32 v10, v2, 23, 1
	v_mov_b32_e32 v8, v2
; %bb.1678:                             ;   in Loop: Header=BB4_1257 Depth=4
	s_or_b64 exec, exec, s[28:29]
	v_lshrrev_b64 v[1:2], 20, v[8:9]
	v_cmp_gt_i32_e64 s[28:29], 16, v10
	v_cndmask_b32_e64 v2, 0, v2, s[28:29]
	v_cndmask_b32_e64 v1, 7, v1, s[28:29]
	v_cmp_eq_u64_e64 s[40:41], 0, v[1:2]
	v_min_i32_e32 v2, 15, v10
	v_lshlrev_b32_e32 v2, 3, v2
	v_cmp_eq_u32_e64 s[28:29], 0, v10
	v_and_b32_e32 v2, 0xf8, v2
	v_and_or_b32 v1, v1, 7, v2
	s_and_b64 s[28:29], s[28:29], s[40:41]
	v_cndmask_b32_e64 v1, v1, 0, s[28:29]
	v_or_b32_e32 v2, v1, v11
.LBB4_1679:                             ;   in Loop: Header=BB4_1257 Depth=4
	s_or_b64 exec, exec, s[48:49]
                                        ; implicit-def: $vgpr11
.LBB4_1680:                             ;   in Loop: Header=BB4_1257 Depth=4
	s_andn2_saveexec_b64 s[28:29], s[38:39]
; %bb.1681:                             ;   in Loop: Header=BB4_1257 Depth=4
	v_or_b32_e32 v2, 0x7e, v11
; %bb.1682:                             ;   in Loop: Header=BB4_1257 Depth=4
	s_or_b64 exec, exec, s[28:29]
                                        ; implicit-def: $vgpr8
.LBB4_1683:                             ;   in Loop: Header=BB4_1257 Depth=4
	s_andn2_saveexec_b64 s[28:29], s[36:37]
	s_cbranch_execz .LBB4_1256
; %bb.1684:                             ;   in Loop: Header=BB4_1257 Depth=4
	v_or_b32_sdwa v2, v8, s71 dst_sel:DWORD dst_unused:UNUSED_PAD src0_sel:BYTE_3 src1_sel:DWORD
	s_branch .LBB4_1256
.LBB4_1685:                             ;   in Loop: Header=BB4_1257 Depth=4
	s_or_saveexec_b64 s[40:41], s[40:41]
	v_bfrev_b32_e32 v1, 1
	s_xor_b64 exec, exec, s[40:41]
	s_cbranch_execz .LBB4_1267
.LBB4_1686:                             ;   in Loop: Header=BB4_1257 Depth=4
	v_cmp_ne_u16_sdwa s[44:45], v8, v3 src0_sel:BYTE_0 src1_sel:DWORD
	s_andn2_b64 s[28:29], s[28:29], exec
	s_and_b64 s[44:45], s[44:45], exec
	v_mov_b32_e32 v1, 0
	s_or_b64 s[28:29], s[28:29], s[44:45]
	s_or_b64 exec, exec, s[40:41]
	s_and_saveexec_b64 s[40:41], s[28:29]
	s_cbranch_execnz .LBB4_1268
	s_branch .LBB4_1269
.LBB4_1687:                             ;   in Loop: Header=BB4_1257 Depth=4
	s_or_saveexec_b64 s[36:37], s[36:37]
	v_bfrev_b32_e32 v1, 1
	s_xor_b64 exec, exec, s[36:37]
	s_cbranch_execz .LBB4_1295
.LBB4_1688:                             ;   in Loop: Header=BB4_1257 Depth=4
	v_cmp_ne_u16_e64 s[28:29], 0, v2
	s_andn2_b64 s[40:41], s[40:41], exec
	s_and_b64 s[28:29], s[28:29], exec
	v_mov_b32_e32 v1, 0
	s_or_b64 s[40:41], s[40:41], s[28:29]
	s_or_b64 exec, exec, s[36:37]
	s_and_saveexec_b64 s[36:37], s[40:41]
	s_cbranch_execnz .LBB4_1296
	s_branch .LBB4_1297
.LBB4_1689:                             ;   in Loop: Header=BB4_1257 Depth=4
	s_or_saveexec_b64 s[40:41], s[40:41]
	v_bfrev_b32_e32 v1, 1
	s_xor_b64 exec, exec, s[40:41]
	s_cbranch_execz .LBB4_1323
.LBB4_1690:                             ;   in Loop: Header=BB4_1257 Depth=4
	v_cmp_ne_u16_sdwa s[44:45], v2, v3 src0_sel:BYTE_0 src1_sel:DWORD
	s_andn2_b64 s[28:29], s[28:29], exec
	s_and_b64 s[44:45], s[44:45], exec
	v_mov_b32_e32 v1, 0
	s_or_b64 s[28:29], s[28:29], s[44:45]
	s_or_b64 exec, exec, s[40:41]
	s_and_saveexec_b64 s[40:41], s[28:29]
	s_cbranch_execnz .LBB4_1324
	s_branch .LBB4_1325
.LBB4_1691:                             ;   in Loop: Header=BB4_1257 Depth=4
	s_or_saveexec_b64 s[36:37], s[36:37]
	v_bfrev_b32_e32 v1, 1
	s_xor_b64 exec, exec, s[36:37]
	s_cbranch_execz .LBB4_1403
.LBB4_1692:                             ;   in Loop: Header=BB4_1257 Depth=4
	v_cmp_ne_u16_e64 s[28:29], 0, v2
	s_andn2_b64 s[40:41], s[40:41], exec
	s_and_b64 s[28:29], s[28:29], exec
	v_mov_b32_e32 v1, 0
	s_or_b64 s[40:41], s[40:41], s[28:29]
	s_or_b64 exec, exec, s[36:37]
	s_and_saveexec_b64 s[36:37], s[40:41]
	s_cbranch_execnz .LBB4_1404
	s_branch .LBB4_1405
.LBB4_1693:                             ;   in Loop: Header=BB4_1257 Depth=4
	s_or_saveexec_b64 s[40:41], s[40:41]
	v_bfrev_b32_e32 v1, 1
	s_xor_b64 exec, exec, s[40:41]
	s_cbranch_execz .LBB4_1431
.LBB4_1694:                             ;   in Loop: Header=BB4_1257 Depth=4
	v_cmp_ne_u16_sdwa s[44:45], v2, v3 src0_sel:BYTE_0 src1_sel:DWORD
	s_andn2_b64 s[28:29], s[28:29], exec
	s_and_b64 s[44:45], s[44:45], exec
	v_mov_b32_e32 v1, 0
	s_or_b64 s[28:29], s[28:29], s[44:45]
	s_or_b64 exec, exec, s[40:41]
	s_and_saveexec_b64 s[40:41], s[28:29]
	s_cbranch_execnz .LBB4_1432
	s_branch .LBB4_1433
.LBB4_1695:                             ;   in Loop: Header=BB4_1257 Depth=4
	s_or_saveexec_b64 s[40:41], s[40:41]
	v_bfrev_b32_e32 v1, 1
	s_xor_b64 exec, exec, s[40:41]
	s_cbranch_execz .LBB4_1481
.LBB4_1696:                             ;   in Loop: Header=BB4_1257 Depth=4
	v_cmp_ne_u16_sdwa s[44:45], v10, v3 src0_sel:BYTE_0 src1_sel:DWORD
	s_andn2_b64 s[28:29], s[28:29], exec
	s_and_b64 s[44:45], s[44:45], exec
	v_mov_b32_e32 v1, 0
	s_or_b64 s[28:29], s[28:29], s[44:45]
	s_or_b64 exec, exec, s[40:41]
	s_and_saveexec_b64 s[40:41], s[28:29]
	s_cbranch_execnz .LBB4_1482
	s_branch .LBB4_1483
.LBB4_1697:                             ;   in Loop: Header=BB4_1257 Depth=4
	s_or_saveexec_b64 s[36:37], s[36:37]
	v_bfrev_b32_e32 v1, 1
	s_xor_b64 exec, exec, s[36:37]
	s_cbranch_execz .LBB4_1509
.LBB4_1698:                             ;   in Loop: Header=BB4_1257 Depth=4
	v_cmp_ne_u16_e64 s[28:29], 0, v2
	s_andn2_b64 s[40:41], s[40:41], exec
	s_and_b64 s[28:29], s[28:29], exec
	v_mov_b32_e32 v1, 0
	s_or_b64 s[40:41], s[40:41], s[28:29]
	s_or_b64 exec, exec, s[36:37]
	s_and_saveexec_b64 s[36:37], s[40:41]
	s_cbranch_execnz .LBB4_1510
	s_branch .LBB4_1511
.LBB4_1699:                             ;   in Loop: Header=BB4_1257 Depth=4
	s_or_saveexec_b64 s[40:41], s[40:41]
	v_bfrev_b32_e32 v1, 1
	s_xor_b64 exec, exec, s[40:41]
	s_cbranch_execz .LBB4_1537
.LBB4_1700:                             ;   in Loop: Header=BB4_1257 Depth=4
	v_cmp_ne_u16_sdwa s[44:45], v2, v3 src0_sel:BYTE_0 src1_sel:DWORD
	s_andn2_b64 s[28:29], s[28:29], exec
	s_and_b64 s[44:45], s[44:45], exec
	v_mov_b32_e32 v1, 0
	s_or_b64 s[28:29], s[28:29], s[44:45]
	s_or_b64 exec, exec, s[40:41]
	s_and_saveexec_b64 s[40:41], s[28:29]
	s_cbranch_execnz .LBB4_1538
	s_branch .LBB4_1539
.LBB4_1701:                             ;   in Loop: Header=BB4_1257 Depth=4
	s_or_saveexec_b64 s[36:37], s[36:37]
	v_bfrev_b32_e32 v1, 1
	s_xor_b64 exec, exec, s[36:37]
	s_cbranch_execz .LBB4_1617
.LBB4_1702:                             ;   in Loop: Header=BB4_1257 Depth=4
	v_cmp_ne_u16_e64 s[28:29], 0, v2
	s_andn2_b64 s[40:41], s[40:41], exec
	s_and_b64 s[28:29], s[28:29], exec
	v_mov_b32_e32 v1, 0
	s_or_b64 s[40:41], s[40:41], s[28:29]
	s_or_b64 exec, exec, s[36:37]
	s_and_saveexec_b64 s[36:37], s[40:41]
	s_cbranch_execnz .LBB4_1618
	s_branch .LBB4_1619
.LBB4_1703:                             ;   in Loop: Header=BB4_1257 Depth=4
	s_or_saveexec_b64 s[40:41], s[40:41]
	v_bfrev_b32_e32 v1, 1
	s_xor_b64 exec, exec, s[40:41]
	s_cbranch_execz .LBB4_1645
.LBB4_1704:                             ;   in Loop: Header=BB4_1257 Depth=4
	v_cmp_ne_u16_sdwa s[44:45], v2, v3 src0_sel:BYTE_0 src1_sel:DWORD
	s_andn2_b64 s[28:29], s[28:29], exec
	s_and_b64 s[44:45], s[44:45], exec
	v_mov_b32_e32 v1, 0
	s_or_b64 s[28:29], s[28:29], s[44:45]
	s_or_b64 exec, exec, s[40:41]
	s_and_saveexec_b64 s[40:41], s[28:29]
	s_cbranch_execnz .LBB4_1646
	s_branch .LBB4_1647
.LBB4_1705:                             ;   in Loop: Header=BB4_274 Depth=3
	s_or_b64 exec, exec, s[34:35]
.LBB4_1706:                             ;   in Loop: Header=BB4_274 Depth=3
	s_or_b64 exec, exec, s[30:31]
	v_and_b32_e32 v1, 15, v40
	v_cndmask_b32_e32 v7, v29, v1, vcc
	v_mov_b32_e32 v5, 0
	v_cmp_ne_u32_e64 s[28:29], 0, v7
	s_mov_b64 s[30:31], 0
                                        ; implicit-def: $vgpr17
                                        ; implicit-def: $vgpr2
	s_and_saveexec_b64 s[40:41], s[28:29]
	s_cbranch_execz .LBB4_1708
; %bb.1707:                             ;   in Loop: Header=BB4_274 Depth=3
	v_sub_u32_e32 v1, v29, v1
	v_cndmask_b32_e32 v1, 0, v1, vcc
	v_add3_u32 v5, v27, v26, v1
	buffer_load_dword v1, off, s[0:3], s33 offset:64 ; 4-byte Folded Reload
	v_cmp_lt_i32_e32 vcc, 0, v28
	s_mov_b64 s[30:31], exec
	s_waitcnt vmcnt(0)
	v_cndmask_b32_e32 v1, 0, v1, vcc
	v_sub_u32_e32 v1, v1, v28
	v_lshl_add_u32 v17, v1, 6, v6
	v_ashrrev_i32_e32 v1, 31, v17
	v_lshrrev_b32_e32 v1, 26, v1
	v_add_u32_e32 v1, v17, v1
	v_ashrrev_i32_e32 v2, 6, v1
.LBB4_1708:                             ;   in Loop: Header=BB4_274 Depth=3
	s_or_b64 exec, exec, s[40:41]
	buffer_load_dword v20, off, s[0:3], s33 offset:188 ; 4-byte Folded Reload
	s_and_b64 s[28:29], s[30:31], exec
	v_mov_b32_e32 v21, v40
.LBB4_1709:                             ;   in Loop: Header=BB4_274 Depth=3
	s_or_b64 exec, exec, s[94:95]
	buffer_load_dword v29, off, s[0:3], s33 offset:64 ; 4-byte Folded Reload
	buffer_load_dword v14, off, s[0:3], s33 offset:176 ; 4-byte Folded Reload
	;; [unrolled: 1-line block ×3, first 2 shown]
	s_and_saveexec_b64 s[40:41], s[28:29]
	s_cbranch_execz .LBB4_2262
.LBB4_1710:                             ;   in Loop: Header=BB4_274 Depth=3
	v_ashrrev_i32_e32 v1, 31, v7
	v_lshrrev_b32_e32 v1, 22, v1
	v_add_u32_e32 v1, v7, v1
	v_ashrrev_i32_e32 v19, 10, v1
	s_waitcnt vmcnt(0)
	v_sub_u32_e32 v6, v19, v2
	v_ashrrev_i32_e32 v1, 31, v17
	v_cmp_lt_i32_e32 vcc, 0, v6
	v_lshrrev_b32_e32 v18, 26, v1
	s_and_saveexec_b64 s[94:95], vcc
	s_cbranch_execz .LBB4_2226
; %bb.1711:                             ;   in Loop: Header=BB4_274 Depth=3
	v_add_u32_e32 v1, v17, v18
	v_and_b32_e32 v1, 0xffffffc0, v1
	v_sub_u32_e32 v1, v17, v1
	v_lshlrev_b32_e32 v2, 10, v2
	buffer_store_dword v21, off, s[0:3], s33 offset:184 ; 4-byte Folded Spill
	v_add3_u32 v12, v5, v1, v2
	s_trap 2
	ds_read_b64 v[1:2], v0
	v_ashrrev_i32_e32 v13, 31, v12
	v_add_co_u32_e32 v8, vcc, v12, v41
	v_addc_co_u32_e32 v9, vcc, v13, v42, vcc
	s_waitcnt lgkmcnt(0)
	v_add_co_u32_e32 v10, vcc, v1, v12
	v_addc_co_u32_e32 v11, vcc, v2, v13, vcc
	v_add_co_u32_e32 v1, vcc, 0x3c0, v14
	v_addc_co_u32_e32 v2, vcc, 0, v15, vcc
	v_add_co_u32_e32 v12, vcc, v1, v12
	v_addc_co_u32_e32 v13, vcc, v2, v13, vcc
	s_mov_b64 s[30:31], 0
	s_branch .LBB4_1713
.LBB4_1712:                             ;   in Loop: Header=BB4_1713 Depth=4
	s_or_b64 exec, exec, s[28:29]
	v_add_co_u32_e32 v14, vcc, 0xfffffc40, v12
	v_addc_co_u32_e32 v15, vcc, -1, v13, vcc
	flat_store_byte v[14:15], v21 glc slc
	v_add_co_u32_e32 v14, vcc, 0xfffffc80, v12
	v_addc_co_u32_e32 v15, vcc, -1, v13, vcc
	flat_store_byte v[14:15], v24 glc slc
	v_add_co_u32_e32 v14, vcc, 0xfffffcc0, v12
	v_addc_co_u32_e32 v15, vcc, -1, v13, vcc
	flat_store_byte v[14:15], v27 glc slc
	v_add_co_u32_e32 v14, vcc, 0xfffffd00, v12
	v_addc_co_u32_e32 v15, vcc, -1, v13, vcc
	flat_store_byte v[14:15], v29 glc slc
	v_add_co_u32_e32 v14, vcc, 0xfffffd40, v12
	v_addc_co_u32_e32 v15, vcc, -1, v13, vcc
	flat_store_byte v[14:15], v34 glc slc
	v_add_co_u32_e32 v14, vcc, 0xfffffd80, v12
	v_addc_co_u32_e32 v15, vcc, -1, v13, vcc
	flat_store_byte v[14:15], v37 glc slc
	v_add_co_u32_e32 v14, vcc, 0xfffffdc0, v12
	v_addc_co_u32_e32 v15, vcc, -1, v13, vcc
	flat_store_byte v[14:15], v54 glc slc
	v_add_co_u32_e32 v14, vcc, 0xfffffe00, v12
	v_addc_co_u32_e32 v15, vcc, -1, v13, vcc
	flat_store_byte v[14:15], v45 glc slc
	v_add_co_u32_e32 v14, vcc, 0xfffffe40, v12
	v_addc_co_u32_e32 v15, vcc, -1, v13, vcc
	flat_store_byte v[14:15], v46 glc slc
	v_add_co_u32_e32 v14, vcc, 0xfffffe80, v12
	v_addc_co_u32_e32 v15, vcc, -1, v13, vcc
	flat_store_byte v[14:15], v55 glc slc
	v_add_co_u32_e32 v14, vcc, 0xfffffec0, v12
	v_addc_co_u32_e32 v15, vcc, -1, v13, vcc
	flat_store_byte v[14:15], v52 glc slc
	v_add_co_u32_e32 v14, vcc, 0xffffff00, v12
	v_addc_co_u32_e32 v15, vcc, -1, v13, vcc
	flat_store_byte v[14:15], v35 glc slc
	v_add_co_u32_e32 v14, vcc, 0xffffff40, v12
	v_addc_co_u32_e32 v15, vcc, -1, v13, vcc
	flat_store_byte v[14:15], v30 glc slc
	v_add_co_u32_e32 v14, vcc, 0xffffff80, v12
	v_addc_co_u32_e32 v15, vcc, -1, v13, vcc
	flat_store_byte v[14:15], v26 glc slc
	v_add_co_u32_e32 v14, vcc, s68, v12
	v_addc_co_u32_e32 v15, vcc, -1, v13, vcc
	flat_store_byte v[14:15], v23 glc slc
	flat_store_byte v[12:13], v2 glc slc
	buffer_load_dword v1, off, s[0:3], s33 offset:68 ; 4-byte Folded Reload
	buffer_load_dword v29, off, s[0:3], s33 offset:64 ; 4-byte Folded Reload
	s_waitcnt vmcnt(0)
	v_add_co_u32_e32 v8, vcc, v8, v1
	v_addc_co_u32_e32 v9, vcc, 0, v9, vcc
	v_add_co_u32_e32 v10, vcc, v10, v1
	v_addc_co_u32_e32 v11, vcc, 0, v11, vcc
	v_sub_u32_e32 v6, v6, v29
	v_cmp_gt_i32_e32 vcc, 1, v6
	s_or_b64 s[30:31], vcc, s[30:31]
	v_add_co_u32_e32 v12, vcc, v12, v1
	v_addc_co_u32_e32 v13, vcc, 0, v13, vcc
	s_andn2_b64 exec, exec, s[30:31]
	s_cbranch_execz .LBB4_2225
.LBB4_1713:                             ;   Parent Loop BB4_47 Depth=1
                                        ;     Parent Loop BB4_271 Depth=2
                                        ;       Parent Loop BB4_274 Depth=3
                                        ; =>      This Inner Loop Header: Depth=4
	flat_load_ubyte v21, v[8:9] glc slc
	flat_load_ubyte v59, v[8:9] offset:64 glc slc
	flat_load_ubyte v43, v[8:9] offset:128 glc slc
	;; [unrolled: 1-line block ×15, first 2 shown]
	flat_load_ubyte v14, v[10:11] glc slc
	flat_load_ubyte v24, v[10:11] offset:64 glc slc
	flat_load_ubyte v27, v[10:11] offset:128 glc slc
	;; [unrolled: 1-line block ×15, first 2 shown]
	v_mov_b32_e32 v15, 0
	v_mov_b32_e32 v16, 0
	s_waitcnt vmcnt(0) lgkmcnt(0)
	v_cmp_ne_u16_e32 vcc, 0, v21
	s_and_saveexec_b64 s[28:29], vcc
	s_cbranch_execz .LBB4_1719
; %bb.1714:                             ;   in Loop: Header=BB4_1713 Depth=4
	v_cmp_ne_u16_e32 vcc, s70, v21
	v_bfrev_b32_e32 v16, 1
	s_and_saveexec_b64 s[34:35], vcc
	s_cbranch_execz .LBB4_1718
; %bb.1715:                             ;   in Loop: Header=BB4_1713 Depth=4
	v_and_b32_e32 v2, 0xffff, v21
	v_and_b32_e32 v1, 0x7f, v2
	v_cmp_ne_u32_e32 vcc, s71, v1
	v_mov_b32_e32 v16, 0x7f800001
	s_and_saveexec_b64 s[36:37], vcc
	s_cbranch_execz .LBB4_1717
; %bb.1716:                             ;   in Loop: Header=BB4_1713 Depth=4
	v_and_b32_e32 v16, 7, v2
	v_lshrrev_b32_e32 v40, 3, v1
	v_cmp_gt_u32_e32 vcc, 8, v1
	v_ffbh_u32_e32 v1, v16
	v_min_u32_e32 v41, 32, v1
	v_subrev_u32_e32 v1, 28, v41
	v_lshlrev_b64 v[1:2], v1, v[2:3]
	v_sub_u32_e32 v2, 29, v41
	v_and_b32_e32 v1, 7, v1
	v_cndmask_b32_e32 v2, v40, v2, vcc
	v_cndmask_b32_e32 v1, v16, v1, vcc
	v_lshlrev_b32_e32 v16, 24, v21
	v_lshlrev_b32_e32 v1, 20, v1
	v_and_b32_e32 v16, 0x80000000, v16
	v_lshl_add_u32 v2, v2, 23, v0
	v_or3_b32 v16, v16, v2, v1
.LBB4_1717:                             ;   in Loop: Header=BB4_1713 Depth=4
	s_or_b64 exec, exec, s[36:37]
.LBB4_1718:                             ;   in Loop: Header=BB4_1713 Depth=4
	s_or_b64 exec, exec, s[34:35]
.LBB4_1719:                             ;   in Loop: Header=BB4_1713 Depth=4
	s_or_b64 exec, exec, s[28:29]
	v_and_b32_e32 v2, 0xff, v14
	v_cmp_ne_u16_e32 vcc, 0, v2
	s_and_saveexec_b64 s[28:29], vcc
	s_cbranch_execz .LBB4_1725
; %bb.1720:                             ;   in Loop: Header=BB4_1713 Depth=4
	v_cmp_ne_u16_e32 vcc, s70, v2
	v_bfrev_b32_e32 v15, 1
	s_and_saveexec_b64 s[34:35], vcc
	s_cbranch_execz .LBB4_1724
; %bb.1721:                             ;   in Loop: Header=BB4_1713 Depth=4
	v_and_b32_e32 v1, 0x7f, v14
	v_cmp_ne_u32_e32 vcc, s71, v1
	v_mov_b32_e32 v15, 0x7f800001
	s_and_saveexec_b64 s[36:37], vcc
	s_cbranch_execz .LBB4_1723
; %bb.1722:                             ;   in Loop: Header=BB4_1713 Depth=4
	v_and_b32_e32 v15, 7, v2
	v_lshrrev_b32_e32 v21, 3, v1
	v_cmp_gt_u32_e32 vcc, 8, v1
	v_ffbh_u32_e32 v1, v15
	v_min_u32_e32 v40, 32, v1
	v_subrev_u32_e32 v1, 28, v40
	v_lshlrev_b64 v[1:2], v1, v[2:3]
	v_sub_u32_e32 v2, 29, v40
	v_and_b32_e32 v1, 7, v1
	v_cndmask_b32_e32 v2, v21, v2, vcc
	v_cndmask_b32_e32 v1, v15, v1, vcc
	v_lshlrev_b32_e32 v14, 24, v14
	v_lshlrev_b32_e32 v1, 20, v1
	v_and_b32_e32 v14, 0x80000000, v14
	v_lshl_add_u32 v2, v2, 23, v0
	v_or3_b32 v15, v14, v2, v1
.LBB4_1723:                             ;   in Loop: Header=BB4_1713 Depth=4
	s_or_b64 exec, exec, s[36:37]
.LBB4_1724:                             ;   in Loop: Header=BB4_1713 Depth=4
	s_or_b64 exec, exec, s[34:35]
.LBB4_1725:                             ;   in Loop: Header=BB4_1713 Depth=4
	s_or_b64 exec, exec, s[28:29]
	v_mul_f32_e32 v14, v16, v15
	v_and_b32_e32 v2, 0x7f800000, v14
	v_cmp_ne_u64_e32 vcc, s[62:63], v[2:3]
                                        ; implicit-def: $vgpr21
	s_and_saveexec_b64 s[28:29], vcc
	s_xor_b64 s[34:35], exec, s[28:29]
	s_cbranch_execz .LBB4_1743
; %bb.1726:                             ;   in Loop: Header=BB4_1713 Depth=4
	v_and_b32_e32 v2, 0x7fffffff, v14
	v_cmp_gt_u64_e32 vcc, s[72:73], v[2:3]
	v_and_b32_sdwa v60, v14, s70 dst_sel:DWORD dst_unused:UNUSED_PAD src0_sel:BYTE_3 src1_sel:DWORD
                                        ; implicit-def: $vgpr21
	s_and_saveexec_b64 s[28:29], vcc
	s_xor_b64 s[36:37], exec, s[28:29]
	s_cbranch_execz .LBB4_1740
; %bb.1727:                             ;   in Loop: Header=BB4_1713 Depth=4
	v_cmp_ne_u32_e32 vcc, 0, v14
	v_mov_b32_e32 v21, 0
	s_and_saveexec_b64 s[38:39], vcc
	s_cbranch_execz .LBB4_1739
; %bb.1728:                             ;   in Loop: Header=BB4_1713 Depth=4
	v_bfe_u32 v21, v14, 23, 8
	v_cmp_gt_u32_e64 s[28:29], s80, v21
	v_sub_u32_e32 v1, 0x79, v21
	v_and_b32_e32 v2, 0x7fffff, v14
	v_cmp_eq_u32_e32 vcc, 0, v21
	v_cndmask_b32_e64 v1, 0, v1, s[28:29]
	v_mov_b32_e32 v15, 0x78
	v_or_b32_e32 v14, 0x800000, v2
	v_cndmask_b32_e32 v1, v1, v15, vcc
	v_cndmask_b32_e32 v2, v14, v2, vcc
	v_add_u32_e32 v14, 20, v1
	v_lshlrev_b64 v[14:15], v14, -1
	v_add_u32_e32 v16, 19, v1
	v_lshlrev_b64 v[40:41], v16, 1
	v_bfi_b32 v15, v15, 0, 0
	v_bfi_b32 v14, v14, 0, v2
	v_cmp_eq_u64_e64 s[28:29], v[14:15], v[40:41]
	v_lshrrev_b64 v[14:15], v1, v[2:3]
	v_mov_b32_e32 v16, v15
	v_mov_b32_e32 v15, v14
	s_and_saveexec_b64 s[48:49], s[28:29]
; %bb.1729:                             ;   in Loop: Header=BB4_1713 Depth=4
	v_bfe_u32 v2, v14, 20, 1
	v_add_co_u32_e64 v2, s[28:29], v14, v2
	v_add_co_u32_e64 v15, s[28:29], -1, v2
; %bb.1730:                             ;   in Loop: Header=BB4_1713 Depth=4
	s_or_b64 exec, exec, s[48:49]
	v_add_u32_e32 v2, 0xffffff81, v21
	v_mov_b32_e32 v16, 0xffffff82
	v_cndmask_b32_e32 v2, v2, v16, vcc
	v_lshrrev_b32_e32 v16, 23, v14
	v_add3_u32 v21, v1, v2, v16
	v_add_u32_e32 v1, 6, v21
	v_and_b32_e32 v2, 0xfffff, v15
	v_add_u32_e32 v2, v2, v14
	v_cmp_ne_u32_e32 vcc, 0, v1
                                        ; implicit-def: $vgpr14_vgpr15
                                        ; implicit-def: $vgpr16
	s_and_saveexec_b64 s[28:29], vcc
	s_xor_b64 s[28:29], exec, s[28:29]
; %bb.1731:                             ;   in Loop: Header=BB4_1713 Depth=4
	v_cmp_lt_u64_e32 vcc, s[88:89], v[2:3]
	v_add_u32_e32 v14, 7, v21
	v_cndmask_b32_e32 v16, v1, v14, vcc
	v_cndmask_b32_e64 v1, 0, 1, vcc
	v_lshrrev_b64 v[14:15], v1, v[2:3]
; %bb.1732:                             ;   in Loop: Header=BB4_1713 Depth=4
	s_andn2_saveexec_b64 s[28:29], s[28:29]
; %bb.1733:                             ;   in Loop: Header=BB4_1713 Depth=4
	v_mov_b32_e32 v15, v3
	v_bfe_u32 v16, v2, 23, 1
	v_mov_b32_e32 v14, v2
; %bb.1734:                             ;   in Loop: Header=BB4_1713 Depth=4
	s_or_b64 exec, exec, s[28:29]
	v_lshrrev_b64 v[1:2], 20, v[14:15]
	v_cmp_gt_i32_e32 vcc, 16, v16
	v_cndmask_b32_e32 v15, 0, v2, vcc
	v_cndmask_b32_e32 v14, 7, v1, vcc
	v_cmp_ne_u64_e32 vcc, 0, v[14:15]
	v_cmp_ne_u32_e64 s[28:29], 0, v16
	s_or_b64 s[28:29], s[28:29], vcc
                                        ; implicit-def: $vgpr21
	s_and_saveexec_b64 s[44:45], s[28:29]
	s_xor_b64 s[28:29], exec, s[44:45]
; %bb.1735:                             ;   in Loop: Header=BB4_1713 Depth=4
	v_min_i32_e32 v1, 15, v16
	v_lshl_or_b32 v1, v1, 3, v60
	v_and_or_b32 v21, v14, 7, v1
                                        ; implicit-def: $vgpr60
; %bb.1736:                             ;   in Loop: Header=BB4_1713 Depth=4
	s_andn2_saveexec_b64 s[28:29], s[28:29]
; %bb.1737:                             ;   in Loop: Header=BB4_1713 Depth=4
	v_mov_b32_e32 v21, v60
; %bb.1738:                             ;   in Loop: Header=BB4_1713 Depth=4
	s_or_b64 exec, exec, s[28:29]
.LBB4_1739:                             ;   in Loop: Header=BB4_1713 Depth=4
	s_or_b64 exec, exec, s[38:39]
                                        ; implicit-def: $vgpr60
.LBB4_1740:                             ;   in Loop: Header=BB4_1713 Depth=4
	s_andn2_saveexec_b64 s[28:29], s[36:37]
; %bb.1741:                             ;   in Loop: Header=BB4_1713 Depth=4
	v_or_b32_e32 v21, 0x7e, v60
; %bb.1742:                             ;   in Loop: Header=BB4_1713 Depth=4
	s_or_b64 exec, exec, s[28:29]
                                        ; implicit-def: $vgpr14
.LBB4_1743:                             ;   in Loop: Header=BB4_1713 Depth=4
	s_andn2_saveexec_b64 s[28:29], s[34:35]
; %bb.1744:                             ;   in Loop: Header=BB4_1713 Depth=4
	v_or_b32_sdwa v21, v14, s71 dst_sel:DWORD dst_unused:UNUSED_PAD src0_sel:BYTE_3 src1_sel:DWORD
; %bb.1745:                             ;   in Loop: Header=BB4_1713 Depth=4
	s_or_b64 exec, exec, s[28:29]
	v_and_b32_e32 v2, 0xff, v59
	v_cmp_ne_u16_e32 vcc, 0, v2
	v_mov_b32_e32 v14, 0
	v_mov_b32_e32 v15, 0
	s_and_saveexec_b64 s[28:29], vcc
	s_cbranch_execz .LBB4_1751
; %bb.1746:                             ;   in Loop: Header=BB4_1713 Depth=4
	v_cmp_ne_u16_e32 vcc, s70, v2
	v_bfrev_b32_e32 v15, 1
	s_and_saveexec_b64 s[34:35], vcc
	s_cbranch_execz .LBB4_1750
; %bb.1747:                             ;   in Loop: Header=BB4_1713 Depth=4
	v_and_b32_e32 v1, 0x7f, v59
	v_cmp_ne_u32_e32 vcc, s71, v1
	v_mov_b32_e32 v15, 0x7f800001
	s_and_saveexec_b64 s[36:37], vcc
	s_cbranch_execz .LBB4_1749
; %bb.1748:                             ;   in Loop: Header=BB4_1713 Depth=4
	v_and_b32_e32 v15, 7, v2
	v_lshrrev_b32_e32 v16, 3, v1
	v_cmp_gt_u32_e32 vcc, 8, v1
	v_ffbh_u32_e32 v1, v15
	v_min_u32_e32 v40, 32, v1
	v_subrev_u32_e32 v1, 28, v40
	v_lshlrev_b64 v[1:2], v1, v[2:3]
	v_sub_u32_e32 v2, 29, v40
	v_and_b32_e32 v1, 7, v1
	v_cndmask_b32_e32 v2, v16, v2, vcc
	v_cndmask_b32_e32 v1, v15, v1, vcc
	v_lshlrev_b32_e32 v15, 24, v59
	v_lshlrev_b32_e32 v1, 20, v1
	v_and_b32_e32 v15, 0x80000000, v15
	v_lshl_add_u32 v2, v2, 23, v0
	v_or3_b32 v15, v15, v2, v1
.LBB4_1749:                             ;   in Loop: Header=BB4_1713 Depth=4
	s_or_b64 exec, exec, s[36:37]
.LBB4_1750:                             ;   in Loop: Header=BB4_1713 Depth=4
	s_or_b64 exec, exec, s[34:35]
.LBB4_1751:                             ;   in Loop: Header=BB4_1713 Depth=4
	s_or_b64 exec, exec, s[28:29]
	v_and_b32_e32 v2, 0xff, v24
	v_cmp_ne_u16_e32 vcc, 0, v2
	s_and_saveexec_b64 s[28:29], vcc
	s_cbranch_execz .LBB4_1757
; %bb.1752:                             ;   in Loop: Header=BB4_1713 Depth=4
	v_cmp_ne_u16_e32 vcc, s70, v2
	v_bfrev_b32_e32 v14, 1
	s_and_saveexec_b64 s[34:35], vcc
	s_cbranch_execz .LBB4_1756
; %bb.1753:                             ;   in Loop: Header=BB4_1713 Depth=4
	v_and_b32_e32 v1, 0x7f, v24
	v_cmp_ne_u32_e32 vcc, s71, v1
	v_mov_b32_e32 v14, 0x7f800001
	s_and_saveexec_b64 s[36:37], vcc
	s_cbranch_execz .LBB4_1755
; %bb.1754:                             ;   in Loop: Header=BB4_1713 Depth=4
	v_and_b32_e32 v14, 7, v2
	v_lshrrev_b32_e32 v16, 3, v1
	v_cmp_gt_u32_e32 vcc, 8, v1
	v_ffbh_u32_e32 v1, v14
	v_min_u32_e32 v40, 32, v1
	v_subrev_u32_e32 v1, 28, v40
	v_lshlrev_b64 v[1:2], v1, v[2:3]
	v_sub_u32_e32 v2, 29, v40
	v_and_b32_e32 v1, 7, v1
	v_cndmask_b32_e32 v2, v16, v2, vcc
	v_cndmask_b32_e32 v1, v14, v1, vcc
	v_lshlrev_b32_e32 v14, 24, v24
	v_lshlrev_b32_e32 v1, 20, v1
	v_and_b32_e32 v14, 0x80000000, v14
	v_lshl_add_u32 v2, v2, 23, v0
	v_or3_b32 v14, v14, v2, v1
.LBB4_1755:                             ;   in Loop: Header=BB4_1713 Depth=4
	s_or_b64 exec, exec, s[36:37]
.LBB4_1756:                             ;   in Loop: Header=BB4_1713 Depth=4
	s_or_b64 exec, exec, s[34:35]
.LBB4_1757:                             ;   in Loop: Header=BB4_1713 Depth=4
	s_or_b64 exec, exec, s[28:29]
	v_mul_f32_e32 v14, v15, v14
	v_and_b32_e32 v2, 0x7f800000, v14
	v_cmp_ne_u64_e32 vcc, s[62:63], v[2:3]
                                        ; implicit-def: $vgpr24
	s_and_saveexec_b64 s[28:29], vcc
	s_xor_b64 s[34:35], exec, s[28:29]
	s_cbranch_execz .LBB4_1775
; %bb.1758:                             ;   in Loop: Header=BB4_1713 Depth=4
	v_and_b32_e32 v2, 0x7fffffff, v14
	v_cmp_gt_u64_e32 vcc, s[72:73], v[2:3]
	v_and_b32_sdwa v59, v14, s70 dst_sel:DWORD dst_unused:UNUSED_PAD src0_sel:BYTE_3 src1_sel:DWORD
                                        ; implicit-def: $vgpr24
	s_and_saveexec_b64 s[28:29], vcc
	s_xor_b64 s[36:37], exec, s[28:29]
	s_cbranch_execz .LBB4_1772
; %bb.1759:                             ;   in Loop: Header=BB4_1713 Depth=4
	v_cmp_ne_u32_e32 vcc, 0, v14
	v_mov_b32_e32 v24, 0
	s_and_saveexec_b64 s[38:39], vcc
	s_cbranch_execz .LBB4_1771
; %bb.1760:                             ;   in Loop: Header=BB4_1713 Depth=4
	v_bfe_u32 v24, v14, 23, 8
	v_cmp_gt_u32_e64 s[28:29], s80, v24
	v_sub_u32_e32 v1, 0x79, v24
	v_and_b32_e32 v2, 0x7fffff, v14
	v_cmp_eq_u32_e32 vcc, 0, v24
	v_cndmask_b32_e64 v1, 0, v1, s[28:29]
	v_mov_b32_e32 v15, 0x78
	v_or_b32_e32 v14, 0x800000, v2
	v_cndmask_b32_e32 v1, v1, v15, vcc
	v_cndmask_b32_e32 v2, v14, v2, vcc
	v_add_u32_e32 v14, 20, v1
	v_lshlrev_b64 v[14:15], v14, -1
	v_add_u32_e32 v16, 19, v1
	v_lshlrev_b64 v[40:41], v16, 1
	v_bfi_b32 v15, v15, 0, 0
	v_bfi_b32 v14, v14, 0, v2
	v_cmp_eq_u64_e64 s[28:29], v[14:15], v[40:41]
	v_lshrrev_b64 v[14:15], v1, v[2:3]
	v_mov_b32_e32 v16, v15
	v_mov_b32_e32 v15, v14
	s_and_saveexec_b64 s[48:49], s[28:29]
; %bb.1761:                             ;   in Loop: Header=BB4_1713 Depth=4
	v_bfe_u32 v2, v14, 20, 1
	v_add_co_u32_e64 v2, s[28:29], v14, v2
	v_add_co_u32_e64 v15, s[28:29], -1, v2
; %bb.1762:                             ;   in Loop: Header=BB4_1713 Depth=4
	s_or_b64 exec, exec, s[48:49]
	v_add_u32_e32 v2, 0xffffff81, v24
	v_mov_b32_e32 v16, 0xffffff82
	v_cndmask_b32_e32 v2, v2, v16, vcc
	v_lshrrev_b32_e32 v16, 23, v14
	v_add3_u32 v24, v1, v2, v16
	v_add_u32_e32 v1, 6, v24
	v_and_b32_e32 v2, 0xfffff, v15
	v_add_u32_e32 v2, v2, v14
	v_cmp_ne_u32_e32 vcc, 0, v1
                                        ; implicit-def: $vgpr14_vgpr15
                                        ; implicit-def: $vgpr16
	s_and_saveexec_b64 s[28:29], vcc
	s_xor_b64 s[28:29], exec, s[28:29]
; %bb.1763:                             ;   in Loop: Header=BB4_1713 Depth=4
	v_cmp_lt_u64_e32 vcc, s[88:89], v[2:3]
	v_add_u32_e32 v14, 7, v24
	v_cndmask_b32_e32 v16, v1, v14, vcc
	v_cndmask_b32_e64 v1, 0, 1, vcc
	v_lshrrev_b64 v[14:15], v1, v[2:3]
; %bb.1764:                             ;   in Loop: Header=BB4_1713 Depth=4
	s_andn2_saveexec_b64 s[28:29], s[28:29]
; %bb.1765:                             ;   in Loop: Header=BB4_1713 Depth=4
	v_mov_b32_e32 v15, v3
	v_bfe_u32 v16, v2, 23, 1
	v_mov_b32_e32 v14, v2
; %bb.1766:                             ;   in Loop: Header=BB4_1713 Depth=4
	s_or_b64 exec, exec, s[28:29]
	v_lshrrev_b64 v[1:2], 20, v[14:15]
	v_cmp_gt_i32_e32 vcc, 16, v16
	v_cndmask_b32_e32 v15, 0, v2, vcc
	v_cndmask_b32_e32 v14, 7, v1, vcc
	v_cmp_ne_u64_e32 vcc, 0, v[14:15]
	v_cmp_ne_u32_e64 s[28:29], 0, v16
	s_or_b64 s[28:29], s[28:29], vcc
                                        ; implicit-def: $vgpr24
	s_and_saveexec_b64 s[44:45], s[28:29]
	s_xor_b64 s[28:29], exec, s[44:45]
; %bb.1767:                             ;   in Loop: Header=BB4_1713 Depth=4
	v_min_i32_e32 v1, 15, v16
	v_lshl_or_b32 v1, v1, 3, v59
	v_and_or_b32 v24, v14, 7, v1
                                        ; implicit-def: $vgpr59
; %bb.1768:                             ;   in Loop: Header=BB4_1713 Depth=4
	s_andn2_saveexec_b64 s[28:29], s[28:29]
; %bb.1769:                             ;   in Loop: Header=BB4_1713 Depth=4
	v_mov_b32_e32 v24, v59
; %bb.1770:                             ;   in Loop: Header=BB4_1713 Depth=4
	s_or_b64 exec, exec, s[28:29]
.LBB4_1771:                             ;   in Loop: Header=BB4_1713 Depth=4
	s_or_b64 exec, exec, s[38:39]
                                        ; implicit-def: $vgpr59
.LBB4_1772:                             ;   in Loop: Header=BB4_1713 Depth=4
	s_andn2_saveexec_b64 s[28:29], s[36:37]
; %bb.1773:                             ;   in Loop: Header=BB4_1713 Depth=4
	v_or_b32_e32 v24, 0x7e, v59
; %bb.1774:                             ;   in Loop: Header=BB4_1713 Depth=4
	s_or_b64 exec, exec, s[28:29]
                                        ; implicit-def: $vgpr14
.LBB4_1775:                             ;   in Loop: Header=BB4_1713 Depth=4
	s_andn2_saveexec_b64 s[28:29], s[34:35]
; %bb.1776:                             ;   in Loop: Header=BB4_1713 Depth=4
	v_or_b32_sdwa v24, v14, s71 dst_sel:DWORD dst_unused:UNUSED_PAD src0_sel:BYTE_3 src1_sel:DWORD
; %bb.1777:                             ;   in Loop: Header=BB4_1713 Depth=4
	s_or_b64 exec, exec, s[28:29]
	v_and_b32_e32 v2, 0xff, v43
	v_cmp_ne_u16_e32 vcc, 0, v2
	v_mov_b32_e32 v14, 0
	v_mov_b32_e32 v15, 0
	s_and_saveexec_b64 s[28:29], vcc
	s_cbranch_execz .LBB4_1783
; %bb.1778:                             ;   in Loop: Header=BB4_1713 Depth=4
	v_cmp_ne_u16_e32 vcc, s70, v2
	v_bfrev_b32_e32 v15, 1
	s_and_saveexec_b64 s[34:35], vcc
	s_cbranch_execz .LBB4_1782
; %bb.1779:                             ;   in Loop: Header=BB4_1713 Depth=4
	v_and_b32_e32 v1, 0x7f, v43
	v_cmp_ne_u32_e32 vcc, s71, v1
	v_mov_b32_e32 v15, 0x7f800001
	s_and_saveexec_b64 s[36:37], vcc
	s_cbranch_execz .LBB4_1781
; %bb.1780:                             ;   in Loop: Header=BB4_1713 Depth=4
	v_and_b32_e32 v15, 7, v2
	v_lshrrev_b32_e32 v16, 3, v1
	v_cmp_gt_u32_e32 vcc, 8, v1
	v_ffbh_u32_e32 v1, v15
	v_min_u32_e32 v40, 32, v1
	v_subrev_u32_e32 v1, 28, v40
	v_lshlrev_b64 v[1:2], v1, v[2:3]
	v_sub_u32_e32 v2, 29, v40
	v_and_b32_e32 v1, 7, v1
	v_cndmask_b32_e32 v2, v16, v2, vcc
	v_cndmask_b32_e32 v1, v15, v1, vcc
	v_lshlrev_b32_e32 v15, 24, v43
	v_lshlrev_b32_e32 v1, 20, v1
	v_and_b32_e32 v15, 0x80000000, v15
	v_lshl_add_u32 v2, v2, 23, v0
	v_or3_b32 v15, v15, v2, v1
.LBB4_1781:                             ;   in Loop: Header=BB4_1713 Depth=4
	s_or_b64 exec, exec, s[36:37]
.LBB4_1782:                             ;   in Loop: Header=BB4_1713 Depth=4
	s_or_b64 exec, exec, s[34:35]
.LBB4_1783:                             ;   in Loop: Header=BB4_1713 Depth=4
	s_or_b64 exec, exec, s[28:29]
	v_and_b32_e32 v2, 0xff, v27
	v_cmp_ne_u16_e32 vcc, 0, v2
	s_and_saveexec_b64 s[28:29], vcc
	s_cbranch_execz .LBB4_1789
; %bb.1784:                             ;   in Loop: Header=BB4_1713 Depth=4
	v_cmp_ne_u16_e32 vcc, s70, v2
	v_bfrev_b32_e32 v14, 1
	s_and_saveexec_b64 s[34:35], vcc
	s_cbranch_execz .LBB4_1788
; %bb.1785:                             ;   in Loop: Header=BB4_1713 Depth=4
	v_and_b32_e32 v1, 0x7f, v27
	v_cmp_ne_u32_e32 vcc, s71, v1
	v_mov_b32_e32 v14, 0x7f800001
	s_and_saveexec_b64 s[36:37], vcc
	s_cbranch_execz .LBB4_1787
; %bb.1786:                             ;   in Loop: Header=BB4_1713 Depth=4
	v_and_b32_e32 v14, 7, v2
	v_lshrrev_b32_e32 v16, 3, v1
	v_cmp_gt_u32_e32 vcc, 8, v1
	v_ffbh_u32_e32 v1, v14
	v_min_u32_e32 v40, 32, v1
	v_subrev_u32_e32 v1, 28, v40
	v_lshlrev_b64 v[1:2], v1, v[2:3]
	v_sub_u32_e32 v2, 29, v40
	v_and_b32_e32 v1, 7, v1
	v_cndmask_b32_e32 v2, v16, v2, vcc
	v_cndmask_b32_e32 v1, v14, v1, vcc
	v_lshlrev_b32_e32 v14, 24, v27
	v_lshlrev_b32_e32 v1, 20, v1
	v_and_b32_e32 v14, 0x80000000, v14
	v_lshl_add_u32 v2, v2, 23, v0
	v_or3_b32 v14, v14, v2, v1
.LBB4_1787:                             ;   in Loop: Header=BB4_1713 Depth=4
	s_or_b64 exec, exec, s[36:37]
.LBB4_1788:                             ;   in Loop: Header=BB4_1713 Depth=4
	s_or_b64 exec, exec, s[34:35]
.LBB4_1789:                             ;   in Loop: Header=BB4_1713 Depth=4
	s_or_b64 exec, exec, s[28:29]
	v_mul_f32_e32 v14, v15, v14
	v_and_b32_e32 v2, 0x7f800000, v14
	v_cmp_ne_u64_e32 vcc, s[62:63], v[2:3]
                                        ; implicit-def: $vgpr27
	s_and_saveexec_b64 s[28:29], vcc
	s_xor_b64 s[34:35], exec, s[28:29]
	s_cbranch_execz .LBB4_1807
; %bb.1790:                             ;   in Loop: Header=BB4_1713 Depth=4
	v_and_b32_e32 v2, 0x7fffffff, v14
	v_cmp_gt_u64_e32 vcc, s[72:73], v[2:3]
	v_and_b32_sdwa v43, v14, s70 dst_sel:DWORD dst_unused:UNUSED_PAD src0_sel:BYTE_3 src1_sel:DWORD
                                        ; implicit-def: $vgpr27
	s_and_saveexec_b64 s[28:29], vcc
	s_xor_b64 s[36:37], exec, s[28:29]
	s_cbranch_execz .LBB4_1804
; %bb.1791:                             ;   in Loop: Header=BB4_1713 Depth=4
	v_cmp_ne_u32_e32 vcc, 0, v14
	v_mov_b32_e32 v27, 0
	s_and_saveexec_b64 s[38:39], vcc
	s_cbranch_execz .LBB4_1803
; %bb.1792:                             ;   in Loop: Header=BB4_1713 Depth=4
	v_bfe_u32 v27, v14, 23, 8
	v_cmp_gt_u32_e64 s[28:29], s80, v27
	v_sub_u32_e32 v1, 0x79, v27
	v_and_b32_e32 v2, 0x7fffff, v14
	v_cmp_eq_u32_e32 vcc, 0, v27
	v_cndmask_b32_e64 v1, 0, v1, s[28:29]
	v_mov_b32_e32 v15, 0x78
	v_or_b32_e32 v14, 0x800000, v2
	v_cndmask_b32_e32 v1, v1, v15, vcc
	v_cndmask_b32_e32 v2, v14, v2, vcc
	v_add_u32_e32 v14, 20, v1
	v_lshlrev_b64 v[14:15], v14, -1
	v_add_u32_e32 v16, 19, v1
	v_lshlrev_b64 v[40:41], v16, 1
	v_bfi_b32 v15, v15, 0, 0
	v_bfi_b32 v14, v14, 0, v2
	v_cmp_eq_u64_e64 s[28:29], v[14:15], v[40:41]
	v_lshrrev_b64 v[14:15], v1, v[2:3]
	v_mov_b32_e32 v16, v15
	v_mov_b32_e32 v15, v14
	s_and_saveexec_b64 s[48:49], s[28:29]
; %bb.1793:                             ;   in Loop: Header=BB4_1713 Depth=4
	v_bfe_u32 v2, v14, 20, 1
	v_add_co_u32_e64 v2, s[28:29], v14, v2
	v_add_co_u32_e64 v15, s[28:29], -1, v2
; %bb.1794:                             ;   in Loop: Header=BB4_1713 Depth=4
	s_or_b64 exec, exec, s[48:49]
	v_add_u32_e32 v2, 0xffffff81, v27
	v_mov_b32_e32 v16, 0xffffff82
	v_cndmask_b32_e32 v2, v2, v16, vcc
	v_lshrrev_b32_e32 v16, 23, v14
	v_add3_u32 v27, v1, v2, v16
	v_add_u32_e32 v1, 6, v27
	v_and_b32_e32 v2, 0xfffff, v15
	v_add_u32_e32 v2, v2, v14
	v_cmp_ne_u32_e32 vcc, 0, v1
                                        ; implicit-def: $vgpr14_vgpr15
                                        ; implicit-def: $vgpr16
	s_and_saveexec_b64 s[28:29], vcc
	s_xor_b64 s[28:29], exec, s[28:29]
; %bb.1795:                             ;   in Loop: Header=BB4_1713 Depth=4
	v_cmp_lt_u64_e32 vcc, s[88:89], v[2:3]
	v_add_u32_e32 v14, 7, v27
	v_cndmask_b32_e32 v16, v1, v14, vcc
	v_cndmask_b32_e64 v1, 0, 1, vcc
	v_lshrrev_b64 v[14:15], v1, v[2:3]
; %bb.1796:                             ;   in Loop: Header=BB4_1713 Depth=4
	s_andn2_saveexec_b64 s[28:29], s[28:29]
; %bb.1797:                             ;   in Loop: Header=BB4_1713 Depth=4
	v_mov_b32_e32 v15, v3
	v_bfe_u32 v16, v2, 23, 1
	v_mov_b32_e32 v14, v2
; %bb.1798:                             ;   in Loop: Header=BB4_1713 Depth=4
	s_or_b64 exec, exec, s[28:29]
	v_lshrrev_b64 v[1:2], 20, v[14:15]
	v_cmp_gt_i32_e32 vcc, 16, v16
	v_cndmask_b32_e32 v15, 0, v2, vcc
	v_cndmask_b32_e32 v14, 7, v1, vcc
	v_cmp_ne_u64_e32 vcc, 0, v[14:15]
	v_cmp_ne_u32_e64 s[28:29], 0, v16
	s_or_b64 s[28:29], s[28:29], vcc
                                        ; implicit-def: $vgpr27
	s_and_saveexec_b64 s[44:45], s[28:29]
	s_xor_b64 s[28:29], exec, s[44:45]
; %bb.1799:                             ;   in Loop: Header=BB4_1713 Depth=4
	v_min_i32_e32 v1, 15, v16
	v_lshl_or_b32 v1, v1, 3, v43
	v_and_or_b32 v27, v14, 7, v1
                                        ; implicit-def: $vgpr43
; %bb.1800:                             ;   in Loop: Header=BB4_1713 Depth=4
	s_andn2_saveexec_b64 s[28:29], s[28:29]
; %bb.1801:                             ;   in Loop: Header=BB4_1713 Depth=4
	v_mov_b32_e32 v27, v43
; %bb.1802:                             ;   in Loop: Header=BB4_1713 Depth=4
	s_or_b64 exec, exec, s[28:29]
.LBB4_1803:                             ;   in Loop: Header=BB4_1713 Depth=4
	s_or_b64 exec, exec, s[38:39]
                                        ; implicit-def: $vgpr43
.LBB4_1804:                             ;   in Loop: Header=BB4_1713 Depth=4
	s_andn2_saveexec_b64 s[28:29], s[36:37]
; %bb.1805:                             ;   in Loop: Header=BB4_1713 Depth=4
	v_or_b32_e32 v27, 0x7e, v43
; %bb.1806:                             ;   in Loop: Header=BB4_1713 Depth=4
	s_or_b64 exec, exec, s[28:29]
                                        ; implicit-def: $vgpr14
.LBB4_1807:                             ;   in Loop: Header=BB4_1713 Depth=4
	s_andn2_saveexec_b64 s[28:29], s[34:35]
; %bb.1808:                             ;   in Loop: Header=BB4_1713 Depth=4
	v_or_b32_sdwa v27, v14, s71 dst_sel:DWORD dst_unused:UNUSED_PAD src0_sel:BYTE_3 src1_sel:DWORD
; %bb.1809:                             ;   in Loop: Header=BB4_1713 Depth=4
	s_or_b64 exec, exec, s[28:29]
	v_and_b32_e32 v2, 0xff, v50
	v_cmp_ne_u16_e32 vcc, 0, v2
	v_mov_b32_e32 v14, 0
	v_mov_b32_e32 v15, 0
	s_and_saveexec_b64 s[28:29], vcc
	s_cbranch_execz .LBB4_1815
; %bb.1810:                             ;   in Loop: Header=BB4_1713 Depth=4
	v_cmp_ne_u16_e32 vcc, s70, v2
	v_bfrev_b32_e32 v15, 1
	s_and_saveexec_b64 s[34:35], vcc
	s_cbranch_execz .LBB4_1814
; %bb.1811:                             ;   in Loop: Header=BB4_1713 Depth=4
	v_and_b32_e32 v1, 0x7f, v50
	v_cmp_ne_u32_e32 vcc, s71, v1
	v_mov_b32_e32 v15, 0x7f800001
	s_and_saveexec_b64 s[36:37], vcc
	s_cbranch_execz .LBB4_1813
; %bb.1812:                             ;   in Loop: Header=BB4_1713 Depth=4
	v_and_b32_e32 v15, 7, v2
	v_lshrrev_b32_e32 v16, 3, v1
	v_cmp_gt_u32_e32 vcc, 8, v1
	v_ffbh_u32_e32 v1, v15
	v_min_u32_e32 v40, 32, v1
	v_subrev_u32_e32 v1, 28, v40
	v_lshlrev_b64 v[1:2], v1, v[2:3]
	v_sub_u32_e32 v2, 29, v40
	v_and_b32_e32 v1, 7, v1
	v_cndmask_b32_e32 v2, v16, v2, vcc
	v_cndmask_b32_e32 v1, v15, v1, vcc
	v_lshlrev_b32_e32 v15, 24, v50
	v_lshlrev_b32_e32 v1, 20, v1
	v_and_b32_e32 v15, 0x80000000, v15
	v_lshl_add_u32 v2, v2, 23, v0
	v_or3_b32 v15, v15, v2, v1
.LBB4_1813:                             ;   in Loop: Header=BB4_1713 Depth=4
	s_or_b64 exec, exec, s[36:37]
.LBB4_1814:                             ;   in Loop: Header=BB4_1713 Depth=4
	s_or_b64 exec, exec, s[34:35]
.LBB4_1815:                             ;   in Loop: Header=BB4_1713 Depth=4
	s_or_b64 exec, exec, s[28:29]
	v_and_b32_e32 v2, 0xff, v29
	v_cmp_ne_u16_e32 vcc, 0, v2
	s_and_saveexec_b64 s[28:29], vcc
	s_cbranch_execz .LBB4_1821
; %bb.1816:                             ;   in Loop: Header=BB4_1713 Depth=4
	v_cmp_ne_u16_e32 vcc, s70, v2
	v_bfrev_b32_e32 v14, 1
	s_and_saveexec_b64 s[34:35], vcc
	s_cbranch_execz .LBB4_1820
; %bb.1817:                             ;   in Loop: Header=BB4_1713 Depth=4
	v_and_b32_e32 v1, 0x7f, v29
	v_cmp_ne_u32_e32 vcc, s71, v1
	v_mov_b32_e32 v14, 0x7f800001
	s_and_saveexec_b64 s[36:37], vcc
	s_cbranch_execz .LBB4_1819
; %bb.1818:                             ;   in Loop: Header=BB4_1713 Depth=4
	v_and_b32_e32 v14, 7, v2
	v_lshrrev_b32_e32 v16, 3, v1
	v_cmp_gt_u32_e32 vcc, 8, v1
	v_ffbh_u32_e32 v1, v14
	v_min_u32_e32 v50, 32, v1
	v_subrev_u32_e32 v1, 28, v50
	v_lshlrev_b64 v[1:2], v1, v[2:3]
	v_sub_u32_e32 v2, 29, v50
	v_and_b32_e32 v1, 7, v1
	v_cndmask_b32_e32 v2, v16, v2, vcc
	v_cndmask_b32_e32 v1, v14, v1, vcc
	v_lshlrev_b32_e32 v14, 24, v29
	v_lshlrev_b32_e32 v1, 20, v1
	v_and_b32_e32 v14, 0x80000000, v14
	v_lshl_add_u32 v2, v2, 23, v0
	v_or3_b32 v14, v14, v2, v1
.LBB4_1819:                             ;   in Loop: Header=BB4_1713 Depth=4
	s_or_b64 exec, exec, s[36:37]
.LBB4_1820:                             ;   in Loop: Header=BB4_1713 Depth=4
	s_or_b64 exec, exec, s[34:35]
.LBB4_1821:                             ;   in Loop: Header=BB4_1713 Depth=4
	s_or_b64 exec, exec, s[28:29]
	v_mul_f32_e32 v14, v15, v14
	v_and_b32_e32 v2, 0x7f800000, v14
	v_cmp_ne_u64_e32 vcc, s[62:63], v[2:3]
                                        ; implicit-def: $vgpr29
	s_and_saveexec_b64 s[28:29], vcc
	s_xor_b64 s[34:35], exec, s[28:29]
	s_cbranch_execz .LBB4_1839
; %bb.1822:                             ;   in Loop: Header=BB4_1713 Depth=4
	v_and_b32_e32 v2, 0x7fffffff, v14
	v_cmp_gt_u64_e32 vcc, s[72:73], v[2:3]
	v_and_b32_sdwa v50, v14, s70 dst_sel:DWORD dst_unused:UNUSED_PAD src0_sel:BYTE_3 src1_sel:DWORD
                                        ; implicit-def: $vgpr29
	s_and_saveexec_b64 s[28:29], vcc
	s_xor_b64 s[36:37], exec, s[28:29]
	s_cbranch_execz .LBB4_1836
; %bb.1823:                             ;   in Loop: Header=BB4_1713 Depth=4
	v_cmp_ne_u32_e32 vcc, 0, v14
	v_mov_b32_e32 v29, 0
	s_and_saveexec_b64 s[38:39], vcc
	s_cbranch_execz .LBB4_1835
; %bb.1824:                             ;   in Loop: Header=BB4_1713 Depth=4
	v_bfe_u32 v29, v14, 23, 8
	v_cmp_gt_u32_e64 s[28:29], s80, v29
	v_sub_u32_e32 v1, 0x79, v29
	v_and_b32_e32 v2, 0x7fffff, v14
	v_cmp_eq_u32_e32 vcc, 0, v29
	v_cndmask_b32_e64 v1, 0, v1, s[28:29]
	v_mov_b32_e32 v15, 0x78
	v_or_b32_e32 v14, 0x800000, v2
	v_cndmask_b32_e32 v1, v1, v15, vcc
	v_cndmask_b32_e32 v2, v14, v2, vcc
	v_add_u32_e32 v14, 20, v1
	v_lshlrev_b64 v[14:15], v14, -1
	v_add_u32_e32 v16, 19, v1
	v_lshlrev_b64 v[40:41], v16, 1
	v_bfi_b32 v15, v15, 0, 0
	v_bfi_b32 v14, v14, 0, v2
	v_cmp_eq_u64_e64 s[28:29], v[14:15], v[40:41]
	v_lshrrev_b64 v[14:15], v1, v[2:3]
	v_mov_b32_e32 v16, v15
	v_mov_b32_e32 v15, v14
	s_and_saveexec_b64 s[48:49], s[28:29]
; %bb.1825:                             ;   in Loop: Header=BB4_1713 Depth=4
	v_bfe_u32 v2, v14, 20, 1
	v_add_co_u32_e64 v2, s[28:29], v14, v2
	v_add_co_u32_e64 v15, s[28:29], -1, v2
; %bb.1826:                             ;   in Loop: Header=BB4_1713 Depth=4
	s_or_b64 exec, exec, s[48:49]
	v_add_u32_e32 v2, 0xffffff81, v29
	v_mov_b32_e32 v16, 0xffffff82
	v_cndmask_b32_e32 v2, v2, v16, vcc
	v_lshrrev_b32_e32 v16, 23, v14
	v_add3_u32 v29, v1, v2, v16
	v_add_u32_e32 v1, 6, v29
	v_and_b32_e32 v2, 0xfffff, v15
	v_add_u32_e32 v2, v2, v14
	v_cmp_ne_u32_e32 vcc, 0, v1
                                        ; implicit-def: $vgpr14_vgpr15
                                        ; implicit-def: $vgpr16
	s_and_saveexec_b64 s[28:29], vcc
	s_xor_b64 s[28:29], exec, s[28:29]
; %bb.1827:                             ;   in Loop: Header=BB4_1713 Depth=4
	v_cmp_lt_u64_e32 vcc, s[88:89], v[2:3]
	v_add_u32_e32 v14, 7, v29
	v_cndmask_b32_e32 v16, v1, v14, vcc
	v_cndmask_b32_e64 v1, 0, 1, vcc
	v_lshrrev_b64 v[14:15], v1, v[2:3]
; %bb.1828:                             ;   in Loop: Header=BB4_1713 Depth=4
	s_andn2_saveexec_b64 s[28:29], s[28:29]
; %bb.1829:                             ;   in Loop: Header=BB4_1713 Depth=4
	v_mov_b32_e32 v15, v3
	v_bfe_u32 v16, v2, 23, 1
	v_mov_b32_e32 v14, v2
; %bb.1830:                             ;   in Loop: Header=BB4_1713 Depth=4
	s_or_b64 exec, exec, s[28:29]
	v_lshrrev_b64 v[1:2], 20, v[14:15]
	v_cmp_gt_i32_e32 vcc, 16, v16
	v_cndmask_b32_e32 v15, 0, v2, vcc
	v_cndmask_b32_e32 v14, 7, v1, vcc
	v_cmp_ne_u64_e32 vcc, 0, v[14:15]
	v_cmp_ne_u32_e64 s[28:29], 0, v16
	s_or_b64 s[28:29], s[28:29], vcc
                                        ; implicit-def: $vgpr29
	s_and_saveexec_b64 s[44:45], s[28:29]
	s_xor_b64 s[28:29], exec, s[44:45]
; %bb.1831:                             ;   in Loop: Header=BB4_1713 Depth=4
	v_min_i32_e32 v1, 15, v16
	v_lshl_or_b32 v1, v1, 3, v50
	v_and_or_b32 v29, v14, 7, v1
                                        ; implicit-def: $vgpr50
; %bb.1832:                             ;   in Loop: Header=BB4_1713 Depth=4
	s_andn2_saveexec_b64 s[28:29], s[28:29]
; %bb.1833:                             ;   in Loop: Header=BB4_1713 Depth=4
	v_mov_b32_e32 v29, v50
; %bb.1834:                             ;   in Loop: Header=BB4_1713 Depth=4
	s_or_b64 exec, exec, s[28:29]
.LBB4_1835:                             ;   in Loop: Header=BB4_1713 Depth=4
	s_or_b64 exec, exec, s[38:39]
                                        ; implicit-def: $vgpr50
.LBB4_1836:                             ;   in Loop: Header=BB4_1713 Depth=4
	s_andn2_saveexec_b64 s[28:29], s[36:37]
; %bb.1837:                             ;   in Loop: Header=BB4_1713 Depth=4
	v_or_b32_e32 v29, 0x7e, v50
; %bb.1838:                             ;   in Loop: Header=BB4_1713 Depth=4
	s_or_b64 exec, exec, s[28:29]
                                        ; implicit-def: $vgpr14
.LBB4_1839:                             ;   in Loop: Header=BB4_1713 Depth=4
	s_andn2_saveexec_b64 s[28:29], s[34:35]
; %bb.1840:                             ;   in Loop: Header=BB4_1713 Depth=4
	v_or_b32_sdwa v29, v14, s71 dst_sel:DWORD dst_unused:UNUSED_PAD src0_sel:BYTE_3 src1_sel:DWORD
; %bb.1841:                             ;   in Loop: Header=BB4_1713 Depth=4
	s_or_b64 exec, exec, s[28:29]
	v_and_b32_e32 v2, 0xff, v51
	v_cmp_ne_u16_e32 vcc, 0, v2
	v_mov_b32_e32 v14, 0
	v_mov_b32_e32 v15, 0
	s_and_saveexec_b64 s[28:29], vcc
	s_cbranch_execz .LBB4_1847
; %bb.1842:                             ;   in Loop: Header=BB4_1713 Depth=4
	v_cmp_ne_u16_e32 vcc, s70, v2
	v_bfrev_b32_e32 v15, 1
	s_and_saveexec_b64 s[34:35], vcc
	s_cbranch_execz .LBB4_1846
; %bb.1843:                             ;   in Loop: Header=BB4_1713 Depth=4
	v_and_b32_e32 v1, 0x7f, v51
	v_cmp_ne_u32_e32 vcc, s71, v1
	v_mov_b32_e32 v15, 0x7f800001
	s_and_saveexec_b64 s[36:37], vcc
	s_cbranch_execz .LBB4_1845
; %bb.1844:                             ;   in Loop: Header=BB4_1713 Depth=4
	v_and_b32_e32 v15, 7, v2
	v_lshrrev_b32_e32 v16, 3, v1
	v_cmp_gt_u32_e32 vcc, 8, v1
	v_ffbh_u32_e32 v1, v15
	v_min_u32_e32 v50, 32, v1
	v_subrev_u32_e32 v1, 28, v50
	v_lshlrev_b64 v[1:2], v1, v[2:3]
	v_sub_u32_e32 v2, 29, v50
	v_and_b32_e32 v1, 7, v1
	v_cndmask_b32_e32 v2, v16, v2, vcc
	v_cndmask_b32_e32 v1, v15, v1, vcc
	v_lshlrev_b32_e32 v15, 24, v51
	v_lshlrev_b32_e32 v1, 20, v1
	v_and_b32_e32 v15, 0x80000000, v15
	v_lshl_add_u32 v2, v2, 23, v0
	v_or3_b32 v15, v15, v2, v1
.LBB4_1845:                             ;   in Loop: Header=BB4_1713 Depth=4
	s_or_b64 exec, exec, s[36:37]
.LBB4_1846:                             ;   in Loop: Header=BB4_1713 Depth=4
	s_or_b64 exec, exec, s[34:35]
.LBB4_1847:                             ;   in Loop: Header=BB4_1713 Depth=4
	s_or_b64 exec, exec, s[28:29]
	v_and_b32_e32 v2, 0xff, v34
	v_cmp_ne_u16_e32 vcc, 0, v2
	s_and_saveexec_b64 s[28:29], vcc
	s_cbranch_execz .LBB4_1853
; %bb.1848:                             ;   in Loop: Header=BB4_1713 Depth=4
	v_cmp_ne_u16_e32 vcc, s70, v2
	v_bfrev_b32_e32 v14, 1
	s_and_saveexec_b64 s[34:35], vcc
	s_cbranch_execz .LBB4_1852
; %bb.1849:                             ;   in Loop: Header=BB4_1713 Depth=4
	v_and_b32_e32 v1, 0x7f, v34
	v_cmp_ne_u32_e32 vcc, s71, v1
	v_mov_b32_e32 v14, 0x7f800001
	s_and_saveexec_b64 s[36:37], vcc
	s_cbranch_execz .LBB4_1851
; %bb.1850:                             ;   in Loop: Header=BB4_1713 Depth=4
	v_and_b32_e32 v14, 7, v2
	v_lshrrev_b32_e32 v16, 3, v1
	v_cmp_gt_u32_e32 vcc, 8, v1
	v_ffbh_u32_e32 v1, v14
	v_min_u32_e32 v50, 32, v1
	v_subrev_u32_e32 v1, 28, v50
	v_lshlrev_b64 v[1:2], v1, v[2:3]
	v_sub_u32_e32 v2, 29, v50
	v_and_b32_e32 v1, 7, v1
	v_cndmask_b32_e32 v2, v16, v2, vcc
	v_cndmask_b32_e32 v1, v14, v1, vcc
	v_lshlrev_b32_e32 v14, 24, v34
	v_lshlrev_b32_e32 v1, 20, v1
	v_and_b32_e32 v14, 0x80000000, v14
	v_lshl_add_u32 v2, v2, 23, v0
	v_or3_b32 v14, v14, v2, v1
.LBB4_1851:                             ;   in Loop: Header=BB4_1713 Depth=4
	s_or_b64 exec, exec, s[36:37]
.LBB4_1852:                             ;   in Loop: Header=BB4_1713 Depth=4
	s_or_b64 exec, exec, s[34:35]
.LBB4_1853:                             ;   in Loop: Header=BB4_1713 Depth=4
	s_or_b64 exec, exec, s[28:29]
	v_mul_f32_e32 v14, v15, v14
	v_and_b32_e32 v2, 0x7f800000, v14
	v_cmp_ne_u64_e32 vcc, s[62:63], v[2:3]
                                        ; implicit-def: $vgpr34
	s_and_saveexec_b64 s[28:29], vcc
	s_xor_b64 s[34:35], exec, s[28:29]
	s_cbranch_execz .LBB4_1871
; %bb.1854:                             ;   in Loop: Header=BB4_1713 Depth=4
	v_and_b32_e32 v2, 0x7fffffff, v14
	v_cmp_gt_u64_e32 vcc, s[72:73], v[2:3]
	v_and_b32_sdwa v50, v14, s70 dst_sel:DWORD dst_unused:UNUSED_PAD src0_sel:BYTE_3 src1_sel:DWORD
                                        ; implicit-def: $vgpr34
	s_and_saveexec_b64 s[28:29], vcc
	s_xor_b64 s[36:37], exec, s[28:29]
	s_cbranch_execz .LBB4_1868
; %bb.1855:                             ;   in Loop: Header=BB4_1713 Depth=4
	v_cmp_ne_u32_e32 vcc, 0, v14
	v_mov_b32_e32 v34, 0
	s_and_saveexec_b64 s[38:39], vcc
	s_cbranch_execz .LBB4_1867
; %bb.1856:                             ;   in Loop: Header=BB4_1713 Depth=4
	v_bfe_u32 v34, v14, 23, 8
	v_cmp_gt_u32_e64 s[28:29], s80, v34
	v_sub_u32_e32 v1, 0x79, v34
	v_and_b32_e32 v2, 0x7fffff, v14
	v_cmp_eq_u32_e32 vcc, 0, v34
	v_cndmask_b32_e64 v1, 0, v1, s[28:29]
	v_mov_b32_e32 v15, 0x78
	v_or_b32_e32 v14, 0x800000, v2
	v_cndmask_b32_e32 v1, v1, v15, vcc
	v_cndmask_b32_e32 v2, v14, v2, vcc
	v_add_u32_e32 v14, 20, v1
	v_lshlrev_b64 v[14:15], v14, -1
	v_add_u32_e32 v16, 19, v1
	v_lshlrev_b64 v[40:41], v16, 1
	v_bfi_b32 v15, v15, 0, 0
	v_bfi_b32 v14, v14, 0, v2
	v_cmp_eq_u64_e64 s[28:29], v[14:15], v[40:41]
	v_lshrrev_b64 v[14:15], v1, v[2:3]
	v_mov_b32_e32 v16, v15
	v_mov_b32_e32 v15, v14
	s_and_saveexec_b64 s[48:49], s[28:29]
; %bb.1857:                             ;   in Loop: Header=BB4_1713 Depth=4
	v_bfe_u32 v2, v14, 20, 1
	v_add_co_u32_e64 v2, s[28:29], v14, v2
	v_add_co_u32_e64 v15, s[28:29], -1, v2
; %bb.1858:                             ;   in Loop: Header=BB4_1713 Depth=4
	s_or_b64 exec, exec, s[48:49]
	v_add_u32_e32 v2, 0xffffff81, v34
	v_mov_b32_e32 v16, 0xffffff82
	v_cndmask_b32_e32 v2, v2, v16, vcc
	v_lshrrev_b32_e32 v16, 23, v14
	v_add3_u32 v34, v1, v2, v16
	v_add_u32_e32 v1, 6, v34
	v_and_b32_e32 v2, 0xfffff, v15
	v_add_u32_e32 v2, v2, v14
	v_cmp_ne_u32_e32 vcc, 0, v1
                                        ; implicit-def: $vgpr14_vgpr15
                                        ; implicit-def: $vgpr16
	s_and_saveexec_b64 s[28:29], vcc
	s_xor_b64 s[28:29], exec, s[28:29]
; %bb.1859:                             ;   in Loop: Header=BB4_1713 Depth=4
	v_cmp_lt_u64_e32 vcc, s[88:89], v[2:3]
	v_add_u32_e32 v14, 7, v34
	v_cndmask_b32_e32 v16, v1, v14, vcc
	v_cndmask_b32_e64 v1, 0, 1, vcc
	v_lshrrev_b64 v[14:15], v1, v[2:3]
; %bb.1860:                             ;   in Loop: Header=BB4_1713 Depth=4
	s_andn2_saveexec_b64 s[28:29], s[28:29]
; %bb.1861:                             ;   in Loop: Header=BB4_1713 Depth=4
	v_mov_b32_e32 v15, v3
	v_bfe_u32 v16, v2, 23, 1
	v_mov_b32_e32 v14, v2
; %bb.1862:                             ;   in Loop: Header=BB4_1713 Depth=4
	s_or_b64 exec, exec, s[28:29]
	v_lshrrev_b64 v[1:2], 20, v[14:15]
	v_cmp_gt_i32_e32 vcc, 16, v16
	v_cndmask_b32_e32 v15, 0, v2, vcc
	v_cndmask_b32_e32 v14, 7, v1, vcc
	v_cmp_ne_u64_e32 vcc, 0, v[14:15]
	v_cmp_ne_u32_e64 s[28:29], 0, v16
	s_or_b64 s[28:29], s[28:29], vcc
                                        ; implicit-def: $vgpr34
	s_and_saveexec_b64 s[44:45], s[28:29]
	s_xor_b64 s[28:29], exec, s[44:45]
; %bb.1863:                             ;   in Loop: Header=BB4_1713 Depth=4
	v_min_i32_e32 v1, 15, v16
	v_lshl_or_b32 v1, v1, 3, v50
	v_and_or_b32 v34, v14, 7, v1
                                        ; implicit-def: $vgpr50
; %bb.1864:                             ;   in Loop: Header=BB4_1713 Depth=4
	s_andn2_saveexec_b64 s[28:29], s[28:29]
; %bb.1865:                             ;   in Loop: Header=BB4_1713 Depth=4
	v_mov_b32_e32 v34, v50
; %bb.1866:                             ;   in Loop: Header=BB4_1713 Depth=4
	s_or_b64 exec, exec, s[28:29]
.LBB4_1867:                             ;   in Loop: Header=BB4_1713 Depth=4
	s_or_b64 exec, exec, s[38:39]
                                        ; implicit-def: $vgpr50
.LBB4_1868:                             ;   in Loop: Header=BB4_1713 Depth=4
	s_andn2_saveexec_b64 s[28:29], s[36:37]
; %bb.1869:                             ;   in Loop: Header=BB4_1713 Depth=4
	v_or_b32_e32 v34, 0x7e, v50
; %bb.1870:                             ;   in Loop: Header=BB4_1713 Depth=4
	s_or_b64 exec, exec, s[28:29]
                                        ; implicit-def: $vgpr14
.LBB4_1871:                             ;   in Loop: Header=BB4_1713 Depth=4
	s_andn2_saveexec_b64 s[28:29], s[34:35]
; %bb.1872:                             ;   in Loop: Header=BB4_1713 Depth=4
	v_or_b32_sdwa v34, v14, s71 dst_sel:DWORD dst_unused:UNUSED_PAD src0_sel:BYTE_3 src1_sel:DWORD
; %bb.1873:                             ;   in Loop: Header=BB4_1713 Depth=4
	s_or_b64 exec, exec, s[28:29]
	v_and_b32_e32 v2, 0xff, v58
	v_cmp_ne_u16_e32 vcc, 0, v2
	v_mov_b32_e32 v14, 0
	v_mov_b32_e32 v15, 0
	s_and_saveexec_b64 s[28:29], vcc
	s_cbranch_execz .LBB4_1879
; %bb.1874:                             ;   in Loop: Header=BB4_1713 Depth=4
	v_cmp_ne_u16_e32 vcc, s70, v2
	v_bfrev_b32_e32 v15, 1
	s_and_saveexec_b64 s[34:35], vcc
	s_cbranch_execz .LBB4_1878
; %bb.1875:                             ;   in Loop: Header=BB4_1713 Depth=4
	v_and_b32_e32 v1, 0x7f, v58
	v_cmp_ne_u32_e32 vcc, s71, v1
	v_mov_b32_e32 v15, 0x7f800001
	s_and_saveexec_b64 s[36:37], vcc
	s_cbranch_execz .LBB4_1877
; %bb.1876:                             ;   in Loop: Header=BB4_1713 Depth=4
	v_and_b32_e32 v15, 7, v2
	v_lshrrev_b32_e32 v16, 3, v1
	v_cmp_gt_u32_e32 vcc, 8, v1
	v_ffbh_u32_e32 v1, v15
	v_min_u32_e32 v50, 32, v1
	v_subrev_u32_e32 v1, 28, v50
	v_lshlrev_b64 v[1:2], v1, v[2:3]
	v_sub_u32_e32 v2, 29, v50
	v_and_b32_e32 v1, 7, v1
	v_cndmask_b32_e32 v2, v16, v2, vcc
	v_cndmask_b32_e32 v1, v15, v1, vcc
	v_lshlrev_b32_e32 v15, 24, v58
	v_lshlrev_b32_e32 v1, 20, v1
	v_and_b32_e32 v15, 0x80000000, v15
	v_lshl_add_u32 v2, v2, 23, v0
	v_or3_b32 v15, v15, v2, v1
.LBB4_1877:                             ;   in Loop: Header=BB4_1713 Depth=4
	s_or_b64 exec, exec, s[36:37]
.LBB4_1878:                             ;   in Loop: Header=BB4_1713 Depth=4
	s_or_b64 exec, exec, s[34:35]
.LBB4_1879:                             ;   in Loop: Header=BB4_1713 Depth=4
	s_or_b64 exec, exec, s[28:29]
	v_and_b32_e32 v2, 0xff, v37
	v_cmp_ne_u16_e32 vcc, 0, v2
	s_and_saveexec_b64 s[28:29], vcc
	s_cbranch_execz .LBB4_1885
; %bb.1880:                             ;   in Loop: Header=BB4_1713 Depth=4
	v_cmp_ne_u16_e32 vcc, s70, v2
	v_bfrev_b32_e32 v14, 1
	s_and_saveexec_b64 s[34:35], vcc
	s_cbranch_execz .LBB4_1884
; %bb.1881:                             ;   in Loop: Header=BB4_1713 Depth=4
	v_and_b32_e32 v1, 0x7f, v37
	v_cmp_ne_u32_e32 vcc, s71, v1
	v_mov_b32_e32 v14, 0x7f800001
	s_and_saveexec_b64 s[36:37], vcc
	s_cbranch_execz .LBB4_1883
; %bb.1882:                             ;   in Loop: Header=BB4_1713 Depth=4
	v_and_b32_e32 v14, 7, v2
	v_lshrrev_b32_e32 v16, 3, v1
	v_cmp_gt_u32_e32 vcc, 8, v1
	v_ffbh_u32_e32 v1, v14
	v_min_u32_e32 v50, 32, v1
	v_subrev_u32_e32 v1, 28, v50
	v_lshlrev_b64 v[1:2], v1, v[2:3]
	v_sub_u32_e32 v2, 29, v50
	v_and_b32_e32 v1, 7, v1
	v_cndmask_b32_e32 v2, v16, v2, vcc
	v_cndmask_b32_e32 v1, v14, v1, vcc
	v_lshlrev_b32_e32 v14, 24, v37
	v_lshlrev_b32_e32 v1, 20, v1
	v_and_b32_e32 v14, 0x80000000, v14
	v_lshl_add_u32 v2, v2, 23, v0
	v_or3_b32 v14, v14, v2, v1
.LBB4_1883:                             ;   in Loop: Header=BB4_1713 Depth=4
	s_or_b64 exec, exec, s[36:37]
.LBB4_1884:                             ;   in Loop: Header=BB4_1713 Depth=4
	s_or_b64 exec, exec, s[34:35]
.LBB4_1885:                             ;   in Loop: Header=BB4_1713 Depth=4
	s_or_b64 exec, exec, s[28:29]
	v_mul_f32_e32 v14, v15, v14
	v_and_b32_e32 v2, 0x7f800000, v14
	v_cmp_ne_u64_e32 vcc, s[62:63], v[2:3]
                                        ; implicit-def: $vgpr37
	s_and_saveexec_b64 s[28:29], vcc
	s_xor_b64 s[34:35], exec, s[28:29]
	s_cbranch_execz .LBB4_1903
; %bb.1886:                             ;   in Loop: Header=BB4_1713 Depth=4
	v_and_b32_e32 v2, 0x7fffffff, v14
	v_cmp_gt_u64_e32 vcc, s[72:73], v[2:3]
	v_and_b32_sdwa v50, v14, s70 dst_sel:DWORD dst_unused:UNUSED_PAD src0_sel:BYTE_3 src1_sel:DWORD
                                        ; implicit-def: $vgpr37
	s_and_saveexec_b64 s[28:29], vcc
	s_xor_b64 s[36:37], exec, s[28:29]
	s_cbranch_execz .LBB4_1900
; %bb.1887:                             ;   in Loop: Header=BB4_1713 Depth=4
	v_cmp_ne_u32_e32 vcc, 0, v14
	v_mov_b32_e32 v37, 0
	s_and_saveexec_b64 s[38:39], vcc
	s_cbranch_execz .LBB4_1899
; %bb.1888:                             ;   in Loop: Header=BB4_1713 Depth=4
	v_bfe_u32 v37, v14, 23, 8
	v_cmp_gt_u32_e64 s[28:29], s80, v37
	v_sub_u32_e32 v1, 0x79, v37
	v_and_b32_e32 v2, 0x7fffff, v14
	v_cmp_eq_u32_e32 vcc, 0, v37
	v_cndmask_b32_e64 v1, 0, v1, s[28:29]
	v_mov_b32_e32 v15, 0x78
	v_or_b32_e32 v14, 0x800000, v2
	v_cndmask_b32_e32 v1, v1, v15, vcc
	v_cndmask_b32_e32 v2, v14, v2, vcc
	v_add_u32_e32 v14, 20, v1
	v_lshlrev_b64 v[14:15], v14, -1
	v_add_u32_e32 v16, 19, v1
	v_lshlrev_b64 v[40:41], v16, 1
	v_bfi_b32 v15, v15, 0, 0
	v_bfi_b32 v14, v14, 0, v2
	v_cmp_eq_u64_e64 s[28:29], v[14:15], v[40:41]
	v_lshrrev_b64 v[14:15], v1, v[2:3]
	v_mov_b32_e32 v16, v15
	v_mov_b32_e32 v15, v14
	s_and_saveexec_b64 s[48:49], s[28:29]
; %bb.1889:                             ;   in Loop: Header=BB4_1713 Depth=4
	v_bfe_u32 v2, v14, 20, 1
	v_add_co_u32_e64 v2, s[28:29], v14, v2
	v_add_co_u32_e64 v15, s[28:29], -1, v2
; %bb.1890:                             ;   in Loop: Header=BB4_1713 Depth=4
	s_or_b64 exec, exec, s[48:49]
	v_add_u32_e32 v2, 0xffffff81, v37
	v_mov_b32_e32 v16, 0xffffff82
	v_cndmask_b32_e32 v2, v2, v16, vcc
	v_lshrrev_b32_e32 v16, 23, v14
	v_add3_u32 v37, v1, v2, v16
	v_add_u32_e32 v1, 6, v37
	v_and_b32_e32 v2, 0xfffff, v15
	v_add_u32_e32 v2, v2, v14
	v_cmp_ne_u32_e32 vcc, 0, v1
                                        ; implicit-def: $vgpr14_vgpr15
                                        ; implicit-def: $vgpr16
	s_and_saveexec_b64 s[28:29], vcc
	s_xor_b64 s[28:29], exec, s[28:29]
; %bb.1891:                             ;   in Loop: Header=BB4_1713 Depth=4
	v_cmp_lt_u64_e32 vcc, s[88:89], v[2:3]
	v_add_u32_e32 v14, 7, v37
	v_cndmask_b32_e32 v16, v1, v14, vcc
	v_cndmask_b32_e64 v1, 0, 1, vcc
	v_lshrrev_b64 v[14:15], v1, v[2:3]
; %bb.1892:                             ;   in Loop: Header=BB4_1713 Depth=4
	s_andn2_saveexec_b64 s[28:29], s[28:29]
; %bb.1893:                             ;   in Loop: Header=BB4_1713 Depth=4
	v_mov_b32_e32 v15, v3
	v_bfe_u32 v16, v2, 23, 1
	v_mov_b32_e32 v14, v2
; %bb.1894:                             ;   in Loop: Header=BB4_1713 Depth=4
	s_or_b64 exec, exec, s[28:29]
	v_lshrrev_b64 v[1:2], 20, v[14:15]
	v_cmp_gt_i32_e32 vcc, 16, v16
	v_cndmask_b32_e32 v15, 0, v2, vcc
	v_cndmask_b32_e32 v14, 7, v1, vcc
	v_cmp_ne_u64_e32 vcc, 0, v[14:15]
	v_cmp_ne_u32_e64 s[28:29], 0, v16
	s_or_b64 s[28:29], s[28:29], vcc
                                        ; implicit-def: $vgpr37
	s_and_saveexec_b64 s[44:45], s[28:29]
	s_xor_b64 s[28:29], exec, s[44:45]
; %bb.1895:                             ;   in Loop: Header=BB4_1713 Depth=4
	v_min_i32_e32 v1, 15, v16
	v_lshl_or_b32 v1, v1, 3, v50
	v_and_or_b32 v37, v14, 7, v1
                                        ; implicit-def: $vgpr50
; %bb.1896:                             ;   in Loop: Header=BB4_1713 Depth=4
	s_andn2_saveexec_b64 s[28:29], s[28:29]
; %bb.1897:                             ;   in Loop: Header=BB4_1713 Depth=4
	v_mov_b32_e32 v37, v50
; %bb.1898:                             ;   in Loop: Header=BB4_1713 Depth=4
	s_or_b64 exec, exec, s[28:29]
.LBB4_1899:                             ;   in Loop: Header=BB4_1713 Depth=4
	s_or_b64 exec, exec, s[38:39]
                                        ; implicit-def: $vgpr50
.LBB4_1900:                             ;   in Loop: Header=BB4_1713 Depth=4
	s_andn2_saveexec_b64 s[28:29], s[36:37]
; %bb.1901:                             ;   in Loop: Header=BB4_1713 Depth=4
	v_or_b32_e32 v37, 0x7e, v50
; %bb.1902:                             ;   in Loop: Header=BB4_1713 Depth=4
	s_or_b64 exec, exec, s[28:29]
                                        ; implicit-def: $vgpr14
.LBB4_1903:                             ;   in Loop: Header=BB4_1713 Depth=4
	s_andn2_saveexec_b64 s[28:29], s[34:35]
; %bb.1904:                             ;   in Loop: Header=BB4_1713 Depth=4
	v_or_b32_sdwa v37, v14, s71 dst_sel:DWORD dst_unused:UNUSED_PAD src0_sel:BYTE_3 src1_sel:DWORD
; %bb.1905:                             ;   in Loop: Header=BB4_1713 Depth=4
	s_or_b64 exec, exec, s[28:29]
	v_and_b32_e32 v2, 0xff, v57
	v_cmp_ne_u16_e32 vcc, 0, v2
	v_mov_b32_e32 v14, 0
	v_mov_b32_e32 v15, 0
	s_and_saveexec_b64 s[28:29], vcc
	s_cbranch_execz .LBB4_1911
; %bb.1906:                             ;   in Loop: Header=BB4_1713 Depth=4
	v_cmp_ne_u16_e32 vcc, s70, v2
	v_bfrev_b32_e32 v15, 1
	s_and_saveexec_b64 s[34:35], vcc
	s_cbranch_execz .LBB4_1910
; %bb.1907:                             ;   in Loop: Header=BB4_1713 Depth=4
	v_and_b32_e32 v1, 0x7f, v57
	v_cmp_ne_u32_e32 vcc, s71, v1
	v_mov_b32_e32 v15, 0x7f800001
	s_and_saveexec_b64 s[36:37], vcc
	s_cbranch_execz .LBB4_1909
; %bb.1908:                             ;   in Loop: Header=BB4_1713 Depth=4
	v_and_b32_e32 v15, 7, v2
	v_lshrrev_b32_e32 v16, 3, v1
	v_cmp_gt_u32_e32 vcc, 8, v1
	v_ffbh_u32_e32 v1, v15
	v_min_u32_e32 v50, 32, v1
	v_subrev_u32_e32 v1, 28, v50
	v_lshlrev_b64 v[1:2], v1, v[2:3]
	v_sub_u32_e32 v2, 29, v50
	v_and_b32_e32 v1, 7, v1
	v_cndmask_b32_e32 v2, v16, v2, vcc
	v_cndmask_b32_e32 v1, v15, v1, vcc
	v_lshlrev_b32_e32 v15, 24, v57
	v_lshlrev_b32_e32 v1, 20, v1
	v_and_b32_e32 v15, 0x80000000, v15
	v_lshl_add_u32 v2, v2, 23, v0
	v_or3_b32 v15, v15, v2, v1
.LBB4_1909:                             ;   in Loop: Header=BB4_1713 Depth=4
	s_or_b64 exec, exec, s[36:37]
.LBB4_1910:                             ;   in Loop: Header=BB4_1713 Depth=4
	s_or_b64 exec, exec, s[34:35]
.LBB4_1911:                             ;   in Loop: Header=BB4_1713 Depth=4
	s_or_b64 exec, exec, s[28:29]
	v_and_b32_e32 v2, 0xff, v54
	v_cmp_ne_u16_e32 vcc, 0, v2
	s_and_saveexec_b64 s[28:29], vcc
	s_cbranch_execz .LBB4_1917
; %bb.1912:                             ;   in Loop: Header=BB4_1713 Depth=4
	v_cmp_ne_u16_e32 vcc, s70, v2
	v_bfrev_b32_e32 v14, 1
	s_and_saveexec_b64 s[34:35], vcc
	s_cbranch_execz .LBB4_1916
; %bb.1913:                             ;   in Loop: Header=BB4_1713 Depth=4
	v_and_b32_e32 v1, 0x7f, v54
	v_cmp_ne_u32_e32 vcc, s71, v1
	v_mov_b32_e32 v14, 0x7f800001
	s_and_saveexec_b64 s[36:37], vcc
	s_cbranch_execz .LBB4_1915
; %bb.1914:                             ;   in Loop: Header=BB4_1713 Depth=4
	v_and_b32_e32 v14, 7, v2
	v_lshrrev_b32_e32 v16, 3, v1
	v_cmp_gt_u32_e32 vcc, 8, v1
	v_ffbh_u32_e32 v1, v14
	v_min_u32_e32 v50, 32, v1
	v_subrev_u32_e32 v1, 28, v50
	v_lshlrev_b64 v[1:2], v1, v[2:3]
	v_sub_u32_e32 v2, 29, v50
	v_and_b32_e32 v1, 7, v1
	v_cndmask_b32_e32 v2, v16, v2, vcc
	v_cndmask_b32_e32 v1, v14, v1, vcc
	v_lshlrev_b32_e32 v14, 24, v54
	v_lshlrev_b32_e32 v1, 20, v1
	v_and_b32_e32 v14, 0x80000000, v14
	v_lshl_add_u32 v2, v2, 23, v0
	v_or3_b32 v14, v14, v2, v1
.LBB4_1915:                             ;   in Loop: Header=BB4_1713 Depth=4
	s_or_b64 exec, exec, s[36:37]
.LBB4_1916:                             ;   in Loop: Header=BB4_1713 Depth=4
	s_or_b64 exec, exec, s[34:35]
.LBB4_1917:                             ;   in Loop: Header=BB4_1713 Depth=4
	s_or_b64 exec, exec, s[28:29]
	v_mul_f32_e32 v14, v15, v14
	v_and_b32_e32 v2, 0x7f800000, v14
	v_cmp_ne_u64_e32 vcc, s[62:63], v[2:3]
                                        ; implicit-def: $vgpr54
	s_and_saveexec_b64 s[28:29], vcc
	s_xor_b64 s[34:35], exec, s[28:29]
	s_cbranch_execz .LBB4_1935
; %bb.1918:                             ;   in Loop: Header=BB4_1713 Depth=4
	v_and_b32_e32 v2, 0x7fffffff, v14
	v_cmp_gt_u64_e32 vcc, s[72:73], v[2:3]
	v_and_b32_sdwa v50, v14, s70 dst_sel:DWORD dst_unused:UNUSED_PAD src0_sel:BYTE_3 src1_sel:DWORD
                                        ; implicit-def: $vgpr54
	s_and_saveexec_b64 s[28:29], vcc
	s_xor_b64 s[36:37], exec, s[28:29]
	s_cbranch_execz .LBB4_1932
; %bb.1919:                             ;   in Loop: Header=BB4_1713 Depth=4
	v_cmp_ne_u32_e32 vcc, 0, v14
	v_mov_b32_e32 v54, 0
	s_and_saveexec_b64 s[38:39], vcc
	s_cbranch_execz .LBB4_1931
; %bb.1920:                             ;   in Loop: Header=BB4_1713 Depth=4
	v_bfe_u32 v51, v14, 23, 8
	v_cmp_gt_u32_e64 s[28:29], s80, v51
	v_sub_u32_e32 v1, 0x79, v51
	v_and_b32_e32 v2, 0x7fffff, v14
	v_cmp_eq_u32_e32 vcc, 0, v51
	v_cndmask_b32_e64 v1, 0, v1, s[28:29]
	v_mov_b32_e32 v15, 0x78
	v_or_b32_e32 v14, 0x800000, v2
	v_cndmask_b32_e32 v1, v1, v15, vcc
	v_cndmask_b32_e32 v2, v14, v2, vcc
	v_add_u32_e32 v14, 20, v1
	v_lshlrev_b64 v[14:15], v14, -1
	v_add_u32_e32 v16, 19, v1
	v_lshlrev_b64 v[40:41], v16, 1
	v_bfi_b32 v15, v15, 0, 0
	v_bfi_b32 v14, v14, 0, v2
	v_cmp_eq_u64_e64 s[28:29], v[14:15], v[40:41]
	v_lshrrev_b64 v[14:15], v1, v[2:3]
	v_mov_b32_e32 v16, v15
	v_mov_b32_e32 v15, v14
	s_and_saveexec_b64 s[48:49], s[28:29]
; %bb.1921:                             ;   in Loop: Header=BB4_1713 Depth=4
	v_bfe_u32 v2, v14, 20, 1
	v_add_co_u32_e64 v2, s[28:29], v14, v2
	v_add_co_u32_e64 v15, s[28:29], -1, v2
; %bb.1922:                             ;   in Loop: Header=BB4_1713 Depth=4
	s_or_b64 exec, exec, s[48:49]
	v_add_u32_e32 v2, 0xffffff81, v51
	v_mov_b32_e32 v16, 0xffffff82
	v_cndmask_b32_e32 v2, v2, v16, vcc
	v_lshrrev_b32_e32 v16, 23, v14
	v_add3_u32 v51, v1, v2, v16
	v_add_u32_e32 v1, 6, v51
	v_and_b32_e32 v2, 0xfffff, v15
	v_add_u32_e32 v2, v2, v14
	v_cmp_ne_u32_e32 vcc, 0, v1
                                        ; implicit-def: $vgpr14_vgpr15
                                        ; implicit-def: $vgpr16
	s_and_saveexec_b64 s[28:29], vcc
	s_xor_b64 s[28:29], exec, s[28:29]
; %bb.1923:                             ;   in Loop: Header=BB4_1713 Depth=4
	v_cmp_lt_u64_e32 vcc, s[88:89], v[2:3]
	v_add_u32_e32 v14, 7, v51
	v_cndmask_b32_e32 v16, v1, v14, vcc
	v_cndmask_b32_e64 v1, 0, 1, vcc
	v_lshrrev_b64 v[14:15], v1, v[2:3]
; %bb.1924:                             ;   in Loop: Header=BB4_1713 Depth=4
	s_andn2_saveexec_b64 s[28:29], s[28:29]
; %bb.1925:                             ;   in Loop: Header=BB4_1713 Depth=4
	v_mov_b32_e32 v15, v3
	v_bfe_u32 v16, v2, 23, 1
	v_mov_b32_e32 v14, v2
; %bb.1926:                             ;   in Loop: Header=BB4_1713 Depth=4
	s_or_b64 exec, exec, s[28:29]
	v_lshrrev_b64 v[1:2], 20, v[14:15]
	v_cmp_gt_i32_e32 vcc, 16, v16
	v_cndmask_b32_e32 v15, 0, v2, vcc
	v_cndmask_b32_e32 v14, 7, v1, vcc
	v_cmp_ne_u64_e32 vcc, 0, v[14:15]
	v_cmp_ne_u32_e64 s[28:29], 0, v16
	s_or_b64 s[28:29], s[28:29], vcc
                                        ; implicit-def: $vgpr54
	s_and_saveexec_b64 s[44:45], s[28:29]
	s_xor_b64 s[28:29], exec, s[44:45]
; %bb.1927:                             ;   in Loop: Header=BB4_1713 Depth=4
	v_min_i32_e32 v1, 15, v16
	v_lshl_or_b32 v1, v1, 3, v50
	v_and_or_b32 v54, v14, 7, v1
                                        ; implicit-def: $vgpr50
; %bb.1928:                             ;   in Loop: Header=BB4_1713 Depth=4
	s_andn2_saveexec_b64 s[28:29], s[28:29]
; %bb.1929:                             ;   in Loop: Header=BB4_1713 Depth=4
	v_mov_b32_e32 v54, v50
; %bb.1930:                             ;   in Loop: Header=BB4_1713 Depth=4
	s_or_b64 exec, exec, s[28:29]
.LBB4_1931:                             ;   in Loop: Header=BB4_1713 Depth=4
	s_or_b64 exec, exec, s[38:39]
                                        ; implicit-def: $vgpr50
.LBB4_1932:                             ;   in Loop: Header=BB4_1713 Depth=4
	s_andn2_saveexec_b64 s[28:29], s[36:37]
; %bb.1933:                             ;   in Loop: Header=BB4_1713 Depth=4
	v_or_b32_e32 v54, 0x7e, v50
; %bb.1934:                             ;   in Loop: Header=BB4_1713 Depth=4
	s_or_b64 exec, exec, s[28:29]
                                        ; implicit-def: $vgpr14
.LBB4_1935:                             ;   in Loop: Header=BB4_1713 Depth=4
	s_andn2_saveexec_b64 s[28:29], s[34:35]
; %bb.1936:                             ;   in Loop: Header=BB4_1713 Depth=4
	v_or_b32_sdwa v54, v14, s71 dst_sel:DWORD dst_unused:UNUSED_PAD src0_sel:BYTE_3 src1_sel:DWORD
; %bb.1937:                             ;   in Loop: Header=BB4_1713 Depth=4
	s_or_b64 exec, exec, s[28:29]
	v_and_b32_e32 v2, 0xff, v56
	v_cmp_ne_u16_e32 vcc, 0, v2
	v_mov_b32_e32 v14, 0
	v_mov_b32_e32 v15, 0
	s_and_saveexec_b64 s[28:29], vcc
	s_cbranch_execz .LBB4_1943
; %bb.1938:                             ;   in Loop: Header=BB4_1713 Depth=4
	v_cmp_ne_u16_e32 vcc, s70, v2
	v_bfrev_b32_e32 v15, 1
	s_and_saveexec_b64 s[34:35], vcc
	s_cbranch_execz .LBB4_1942
; %bb.1939:                             ;   in Loop: Header=BB4_1713 Depth=4
	v_and_b32_e32 v1, 0x7f, v56
	v_cmp_ne_u32_e32 vcc, s71, v1
	v_mov_b32_e32 v15, 0x7f800001
	s_and_saveexec_b64 s[36:37], vcc
	s_cbranch_execz .LBB4_1941
; %bb.1940:                             ;   in Loop: Header=BB4_1713 Depth=4
	v_and_b32_e32 v15, 7, v2
	v_lshrrev_b32_e32 v16, 3, v1
	v_cmp_gt_u32_e32 vcc, 8, v1
	v_ffbh_u32_e32 v1, v15
	v_min_u32_e32 v50, 32, v1
	v_subrev_u32_e32 v1, 28, v50
	v_lshlrev_b64 v[1:2], v1, v[2:3]
	v_sub_u32_e32 v2, 29, v50
	v_and_b32_e32 v1, 7, v1
	v_cndmask_b32_e32 v2, v16, v2, vcc
	v_cndmask_b32_e32 v1, v15, v1, vcc
	v_lshlrev_b32_e32 v15, 24, v56
	v_lshlrev_b32_e32 v1, 20, v1
	v_and_b32_e32 v15, 0x80000000, v15
	v_lshl_add_u32 v2, v2, 23, v0
	v_or3_b32 v15, v15, v2, v1
.LBB4_1941:                             ;   in Loop: Header=BB4_1713 Depth=4
	s_or_b64 exec, exec, s[36:37]
.LBB4_1942:                             ;   in Loop: Header=BB4_1713 Depth=4
	s_or_b64 exec, exec, s[34:35]
.LBB4_1943:                             ;   in Loop: Header=BB4_1713 Depth=4
	s_or_b64 exec, exec, s[28:29]
	v_and_b32_e32 v2, 0xff, v45
	v_cmp_ne_u16_e32 vcc, 0, v2
	s_and_saveexec_b64 s[28:29], vcc
	s_cbranch_execz .LBB4_1949
; %bb.1944:                             ;   in Loop: Header=BB4_1713 Depth=4
	v_cmp_ne_u16_e32 vcc, s70, v2
	v_bfrev_b32_e32 v14, 1
	s_and_saveexec_b64 s[34:35], vcc
	s_cbranch_execz .LBB4_1948
; %bb.1945:                             ;   in Loop: Header=BB4_1713 Depth=4
	v_and_b32_e32 v1, 0x7f, v45
	v_cmp_ne_u32_e32 vcc, s71, v1
	v_mov_b32_e32 v14, 0x7f800001
	s_and_saveexec_b64 s[36:37], vcc
	s_cbranch_execz .LBB4_1947
; %bb.1946:                             ;   in Loop: Header=BB4_1713 Depth=4
	v_and_b32_e32 v14, 7, v2
	v_lshrrev_b32_e32 v16, 3, v1
	v_cmp_gt_u32_e32 vcc, 8, v1
	v_ffbh_u32_e32 v1, v14
	v_min_u32_e32 v50, 32, v1
	v_subrev_u32_e32 v1, 28, v50
	v_lshlrev_b64 v[1:2], v1, v[2:3]
	v_sub_u32_e32 v2, 29, v50
	v_and_b32_e32 v1, 7, v1
	v_cndmask_b32_e32 v2, v16, v2, vcc
	v_cndmask_b32_e32 v1, v14, v1, vcc
	v_lshlrev_b32_e32 v14, 24, v45
	v_lshlrev_b32_e32 v1, 20, v1
	v_and_b32_e32 v14, 0x80000000, v14
	v_lshl_add_u32 v2, v2, 23, v0
	v_or3_b32 v14, v14, v2, v1
.LBB4_1947:                             ;   in Loop: Header=BB4_1713 Depth=4
	s_or_b64 exec, exec, s[36:37]
.LBB4_1948:                             ;   in Loop: Header=BB4_1713 Depth=4
	s_or_b64 exec, exec, s[34:35]
.LBB4_1949:                             ;   in Loop: Header=BB4_1713 Depth=4
	s_or_b64 exec, exec, s[28:29]
	v_mul_f32_e32 v14, v15, v14
	v_and_b32_e32 v2, 0x7f800000, v14
	v_cmp_ne_u64_e32 vcc, s[62:63], v[2:3]
                                        ; implicit-def: $vgpr45
	s_and_saveexec_b64 s[28:29], vcc
	s_xor_b64 s[34:35], exec, s[28:29]
	s_cbranch_execz .LBB4_1967
; %bb.1950:                             ;   in Loop: Header=BB4_1713 Depth=4
	v_and_b32_e32 v2, 0x7fffffff, v14
	v_cmp_gt_u64_e32 vcc, s[72:73], v[2:3]
	v_and_b32_sdwa v50, v14, s70 dst_sel:DWORD dst_unused:UNUSED_PAD src0_sel:BYTE_3 src1_sel:DWORD
                                        ; implicit-def: $vgpr45
	s_and_saveexec_b64 s[28:29], vcc
	s_xor_b64 s[36:37], exec, s[28:29]
	s_cbranch_execz .LBB4_1964
; %bb.1951:                             ;   in Loop: Header=BB4_1713 Depth=4
	v_cmp_ne_u32_e32 vcc, 0, v14
	v_mov_b32_e32 v45, 0
	s_and_saveexec_b64 s[38:39], vcc
	s_cbranch_execz .LBB4_1963
; %bb.1952:                             ;   in Loop: Header=BB4_1713 Depth=4
	v_bfe_u32 v51, v14, 23, 8
	v_cmp_gt_u32_e64 s[28:29], s80, v51
	v_sub_u32_e32 v1, 0x79, v51
	v_and_b32_e32 v2, 0x7fffff, v14
	v_cmp_eq_u32_e32 vcc, 0, v51
	v_cndmask_b32_e64 v1, 0, v1, s[28:29]
	v_mov_b32_e32 v15, 0x78
	v_or_b32_e32 v14, 0x800000, v2
	v_cndmask_b32_e32 v1, v1, v15, vcc
	v_cndmask_b32_e32 v2, v14, v2, vcc
	v_add_u32_e32 v14, 20, v1
	v_lshlrev_b64 v[14:15], v14, -1
	v_add_u32_e32 v16, 19, v1
	v_lshlrev_b64 v[40:41], v16, 1
	v_bfi_b32 v15, v15, 0, 0
	v_bfi_b32 v14, v14, 0, v2
	v_cmp_eq_u64_e64 s[28:29], v[14:15], v[40:41]
	v_lshrrev_b64 v[14:15], v1, v[2:3]
	v_mov_b32_e32 v16, v15
	v_mov_b32_e32 v15, v14
	s_and_saveexec_b64 s[48:49], s[28:29]
; %bb.1953:                             ;   in Loop: Header=BB4_1713 Depth=4
	v_bfe_u32 v2, v14, 20, 1
	v_add_co_u32_e64 v2, s[28:29], v14, v2
	v_add_co_u32_e64 v15, s[28:29], -1, v2
; %bb.1954:                             ;   in Loop: Header=BB4_1713 Depth=4
	s_or_b64 exec, exec, s[48:49]
	v_add_u32_e32 v2, 0xffffff81, v51
	v_mov_b32_e32 v16, 0xffffff82
	v_cndmask_b32_e32 v2, v2, v16, vcc
	v_lshrrev_b32_e32 v16, 23, v14
	v_add3_u32 v51, v1, v2, v16
	v_add_u32_e32 v1, 6, v51
	v_and_b32_e32 v2, 0xfffff, v15
	v_add_u32_e32 v2, v2, v14
	v_cmp_ne_u32_e32 vcc, 0, v1
                                        ; implicit-def: $vgpr14_vgpr15
                                        ; implicit-def: $vgpr16
	s_and_saveexec_b64 s[28:29], vcc
	s_xor_b64 s[28:29], exec, s[28:29]
; %bb.1955:                             ;   in Loop: Header=BB4_1713 Depth=4
	v_cmp_lt_u64_e32 vcc, s[88:89], v[2:3]
	v_add_u32_e32 v14, 7, v51
	v_cndmask_b32_e32 v16, v1, v14, vcc
	v_cndmask_b32_e64 v1, 0, 1, vcc
	v_lshrrev_b64 v[14:15], v1, v[2:3]
; %bb.1956:                             ;   in Loop: Header=BB4_1713 Depth=4
	s_andn2_saveexec_b64 s[28:29], s[28:29]
; %bb.1957:                             ;   in Loop: Header=BB4_1713 Depth=4
	v_mov_b32_e32 v15, v3
	v_bfe_u32 v16, v2, 23, 1
	v_mov_b32_e32 v14, v2
; %bb.1958:                             ;   in Loop: Header=BB4_1713 Depth=4
	s_or_b64 exec, exec, s[28:29]
	v_lshrrev_b64 v[1:2], 20, v[14:15]
	v_cmp_gt_i32_e32 vcc, 16, v16
	v_cndmask_b32_e32 v15, 0, v2, vcc
	v_cndmask_b32_e32 v14, 7, v1, vcc
	v_cmp_ne_u64_e32 vcc, 0, v[14:15]
	v_cmp_ne_u32_e64 s[28:29], 0, v16
	s_or_b64 s[28:29], s[28:29], vcc
                                        ; implicit-def: $vgpr45
	s_and_saveexec_b64 s[44:45], s[28:29]
	s_xor_b64 s[28:29], exec, s[44:45]
; %bb.1959:                             ;   in Loop: Header=BB4_1713 Depth=4
	v_min_i32_e32 v1, 15, v16
	v_lshl_or_b32 v1, v1, 3, v50
	v_and_or_b32 v45, v14, 7, v1
                                        ; implicit-def: $vgpr50
; %bb.1960:                             ;   in Loop: Header=BB4_1713 Depth=4
	s_andn2_saveexec_b64 s[28:29], s[28:29]
; %bb.1961:                             ;   in Loop: Header=BB4_1713 Depth=4
	v_mov_b32_e32 v45, v50
; %bb.1962:                             ;   in Loop: Header=BB4_1713 Depth=4
	s_or_b64 exec, exec, s[28:29]
.LBB4_1963:                             ;   in Loop: Header=BB4_1713 Depth=4
	s_or_b64 exec, exec, s[38:39]
                                        ; implicit-def: $vgpr50
.LBB4_1964:                             ;   in Loop: Header=BB4_1713 Depth=4
	s_andn2_saveexec_b64 s[28:29], s[36:37]
; %bb.1965:                             ;   in Loop: Header=BB4_1713 Depth=4
	v_or_b32_e32 v45, 0x7e, v50
; %bb.1966:                             ;   in Loop: Header=BB4_1713 Depth=4
	s_or_b64 exec, exec, s[28:29]
                                        ; implicit-def: $vgpr14
.LBB4_1967:                             ;   in Loop: Header=BB4_1713 Depth=4
	s_andn2_saveexec_b64 s[28:29], s[34:35]
; %bb.1968:                             ;   in Loop: Header=BB4_1713 Depth=4
	v_or_b32_sdwa v45, v14, s71 dst_sel:DWORD dst_unused:UNUSED_PAD src0_sel:BYTE_3 src1_sel:DWORD
; %bb.1969:                             ;   in Loop: Header=BB4_1713 Depth=4
	s_or_b64 exec, exec, s[28:29]
	v_and_b32_e32 v2, 0xff, v47
	v_cmp_ne_u16_e32 vcc, 0, v2
	v_mov_b32_e32 v14, 0
	v_mov_b32_e32 v15, 0
	s_and_saveexec_b64 s[28:29], vcc
	s_cbranch_execz .LBB4_1975
; %bb.1970:                             ;   in Loop: Header=BB4_1713 Depth=4
	v_cmp_ne_u16_e32 vcc, s70, v2
	v_bfrev_b32_e32 v15, 1
	s_and_saveexec_b64 s[34:35], vcc
	s_cbranch_execz .LBB4_1974
; %bb.1971:                             ;   in Loop: Header=BB4_1713 Depth=4
	v_and_b32_e32 v1, 0x7f, v47
	v_cmp_ne_u32_e32 vcc, s71, v1
	v_mov_b32_e32 v15, 0x7f800001
	s_and_saveexec_b64 s[36:37], vcc
	s_cbranch_execz .LBB4_1973
; %bb.1972:                             ;   in Loop: Header=BB4_1713 Depth=4
	v_and_b32_e32 v15, 7, v2
	v_lshrrev_b32_e32 v16, 3, v1
	v_cmp_gt_u32_e32 vcc, 8, v1
	v_ffbh_u32_e32 v1, v15
	v_min_u32_e32 v50, 32, v1
	v_subrev_u32_e32 v1, 28, v50
	v_lshlrev_b64 v[1:2], v1, v[2:3]
	v_sub_u32_e32 v2, 29, v50
	v_and_b32_e32 v1, 7, v1
	v_cndmask_b32_e32 v2, v16, v2, vcc
	v_cndmask_b32_e32 v1, v15, v1, vcc
	v_lshlrev_b32_e32 v15, 24, v47
	v_lshlrev_b32_e32 v1, 20, v1
	v_and_b32_e32 v15, 0x80000000, v15
	v_lshl_add_u32 v2, v2, 23, v0
	v_or3_b32 v15, v15, v2, v1
.LBB4_1973:                             ;   in Loop: Header=BB4_1713 Depth=4
	s_or_b64 exec, exec, s[36:37]
.LBB4_1974:                             ;   in Loop: Header=BB4_1713 Depth=4
	s_or_b64 exec, exec, s[34:35]
.LBB4_1975:                             ;   in Loop: Header=BB4_1713 Depth=4
	s_or_b64 exec, exec, s[28:29]
	v_and_b32_e32 v2, 0xff, v46
	v_cmp_ne_u16_e32 vcc, 0, v2
	s_and_saveexec_b64 s[28:29], vcc
	s_cbranch_execz .LBB4_1981
; %bb.1976:                             ;   in Loop: Header=BB4_1713 Depth=4
	v_cmp_ne_u16_e32 vcc, s70, v2
	v_bfrev_b32_e32 v14, 1
	s_and_saveexec_b64 s[34:35], vcc
	s_cbranch_execz .LBB4_1980
; %bb.1977:                             ;   in Loop: Header=BB4_1713 Depth=4
	v_and_b32_e32 v1, 0x7f, v46
	v_cmp_ne_u32_e32 vcc, s71, v1
	v_mov_b32_e32 v14, 0x7f800001
	s_and_saveexec_b64 s[36:37], vcc
	s_cbranch_execz .LBB4_1979
; %bb.1978:                             ;   in Loop: Header=BB4_1713 Depth=4
	v_and_b32_e32 v14, 7, v2
	v_lshrrev_b32_e32 v16, 3, v1
	v_cmp_gt_u32_e32 vcc, 8, v1
	v_ffbh_u32_e32 v1, v14
	v_min_u32_e32 v50, 32, v1
	v_subrev_u32_e32 v1, 28, v50
	v_lshlrev_b64 v[1:2], v1, v[2:3]
	v_sub_u32_e32 v2, 29, v50
	v_and_b32_e32 v1, 7, v1
	v_cndmask_b32_e32 v2, v16, v2, vcc
	v_cndmask_b32_e32 v1, v14, v1, vcc
	v_lshlrev_b32_e32 v14, 24, v46
	v_lshlrev_b32_e32 v1, 20, v1
	v_and_b32_e32 v14, 0x80000000, v14
	v_lshl_add_u32 v2, v2, 23, v0
	v_or3_b32 v14, v14, v2, v1
.LBB4_1979:                             ;   in Loop: Header=BB4_1713 Depth=4
	s_or_b64 exec, exec, s[36:37]
.LBB4_1980:                             ;   in Loop: Header=BB4_1713 Depth=4
	s_or_b64 exec, exec, s[34:35]
.LBB4_1981:                             ;   in Loop: Header=BB4_1713 Depth=4
	s_or_b64 exec, exec, s[28:29]
	v_mul_f32_e32 v14, v15, v14
	v_and_b32_e32 v2, 0x7f800000, v14
	v_cmp_ne_u64_e32 vcc, s[62:63], v[2:3]
                                        ; implicit-def: $vgpr46
	s_and_saveexec_b64 s[28:29], vcc
	s_xor_b64 s[34:35], exec, s[28:29]
	s_cbranch_execz .LBB4_1999
; %bb.1982:                             ;   in Loop: Header=BB4_1713 Depth=4
	v_and_b32_e32 v2, 0x7fffffff, v14
	v_cmp_gt_u64_e32 vcc, s[72:73], v[2:3]
	v_and_b32_sdwa v50, v14, s70 dst_sel:DWORD dst_unused:UNUSED_PAD src0_sel:BYTE_3 src1_sel:DWORD
                                        ; implicit-def: $vgpr46
	s_and_saveexec_b64 s[28:29], vcc
	s_xor_b64 s[36:37], exec, s[28:29]
	s_cbranch_execz .LBB4_1996
; %bb.1983:                             ;   in Loop: Header=BB4_1713 Depth=4
	v_cmp_ne_u32_e32 vcc, 0, v14
	v_mov_b32_e32 v46, 0
	s_and_saveexec_b64 s[38:39], vcc
	s_cbranch_execz .LBB4_1995
; %bb.1984:                             ;   in Loop: Header=BB4_1713 Depth=4
	v_bfe_u32 v51, v14, 23, 8
	v_cmp_gt_u32_e64 s[28:29], s80, v51
	v_sub_u32_e32 v1, 0x79, v51
	v_and_b32_e32 v2, 0x7fffff, v14
	v_cmp_eq_u32_e32 vcc, 0, v51
	v_cndmask_b32_e64 v1, 0, v1, s[28:29]
	v_mov_b32_e32 v15, 0x78
	v_or_b32_e32 v14, 0x800000, v2
	v_cndmask_b32_e32 v1, v1, v15, vcc
	v_cndmask_b32_e32 v2, v14, v2, vcc
	v_add_u32_e32 v14, 20, v1
	v_lshlrev_b64 v[14:15], v14, -1
	v_add_u32_e32 v16, 19, v1
	v_lshlrev_b64 v[40:41], v16, 1
	v_bfi_b32 v15, v15, 0, 0
	v_bfi_b32 v14, v14, 0, v2
	v_cmp_eq_u64_e64 s[28:29], v[14:15], v[40:41]
	v_lshrrev_b64 v[14:15], v1, v[2:3]
	v_mov_b32_e32 v16, v15
	v_mov_b32_e32 v15, v14
	s_and_saveexec_b64 s[48:49], s[28:29]
; %bb.1985:                             ;   in Loop: Header=BB4_1713 Depth=4
	v_bfe_u32 v2, v14, 20, 1
	v_add_co_u32_e64 v2, s[28:29], v14, v2
	v_add_co_u32_e64 v15, s[28:29], -1, v2
; %bb.1986:                             ;   in Loop: Header=BB4_1713 Depth=4
	s_or_b64 exec, exec, s[48:49]
	v_add_u32_e32 v2, 0xffffff81, v51
	v_mov_b32_e32 v16, 0xffffff82
	v_cndmask_b32_e32 v2, v2, v16, vcc
	v_lshrrev_b32_e32 v16, 23, v14
	v_add3_u32 v51, v1, v2, v16
	v_add_u32_e32 v1, 6, v51
	v_and_b32_e32 v2, 0xfffff, v15
	v_add_u32_e32 v2, v2, v14
	v_cmp_ne_u32_e32 vcc, 0, v1
                                        ; implicit-def: $vgpr14_vgpr15
                                        ; implicit-def: $vgpr16
	s_and_saveexec_b64 s[28:29], vcc
	s_xor_b64 s[28:29], exec, s[28:29]
; %bb.1987:                             ;   in Loop: Header=BB4_1713 Depth=4
	v_cmp_lt_u64_e32 vcc, s[88:89], v[2:3]
	v_add_u32_e32 v14, 7, v51
	v_cndmask_b32_e32 v16, v1, v14, vcc
	v_cndmask_b32_e64 v1, 0, 1, vcc
	v_lshrrev_b64 v[14:15], v1, v[2:3]
; %bb.1988:                             ;   in Loop: Header=BB4_1713 Depth=4
	s_andn2_saveexec_b64 s[28:29], s[28:29]
; %bb.1989:                             ;   in Loop: Header=BB4_1713 Depth=4
	v_mov_b32_e32 v15, v3
	v_bfe_u32 v16, v2, 23, 1
	v_mov_b32_e32 v14, v2
; %bb.1990:                             ;   in Loop: Header=BB4_1713 Depth=4
	s_or_b64 exec, exec, s[28:29]
	v_lshrrev_b64 v[1:2], 20, v[14:15]
	v_cmp_gt_i32_e32 vcc, 16, v16
	v_cndmask_b32_e32 v15, 0, v2, vcc
	v_cndmask_b32_e32 v14, 7, v1, vcc
	v_cmp_ne_u64_e32 vcc, 0, v[14:15]
	v_cmp_ne_u32_e64 s[28:29], 0, v16
	s_or_b64 s[28:29], s[28:29], vcc
                                        ; implicit-def: $vgpr46
	s_and_saveexec_b64 s[44:45], s[28:29]
	s_xor_b64 s[28:29], exec, s[44:45]
; %bb.1991:                             ;   in Loop: Header=BB4_1713 Depth=4
	v_min_i32_e32 v1, 15, v16
	v_lshl_or_b32 v1, v1, 3, v50
	v_and_or_b32 v46, v14, 7, v1
                                        ; implicit-def: $vgpr50
; %bb.1992:                             ;   in Loop: Header=BB4_1713 Depth=4
	s_andn2_saveexec_b64 s[28:29], s[28:29]
; %bb.1993:                             ;   in Loop: Header=BB4_1713 Depth=4
	v_mov_b32_e32 v46, v50
; %bb.1994:                             ;   in Loop: Header=BB4_1713 Depth=4
	s_or_b64 exec, exec, s[28:29]
.LBB4_1995:                             ;   in Loop: Header=BB4_1713 Depth=4
	s_or_b64 exec, exec, s[38:39]
                                        ; implicit-def: $vgpr50
.LBB4_1996:                             ;   in Loop: Header=BB4_1713 Depth=4
	s_andn2_saveexec_b64 s[28:29], s[36:37]
; %bb.1997:                             ;   in Loop: Header=BB4_1713 Depth=4
	v_or_b32_e32 v46, 0x7e, v50
; %bb.1998:                             ;   in Loop: Header=BB4_1713 Depth=4
	s_or_b64 exec, exec, s[28:29]
                                        ; implicit-def: $vgpr14
.LBB4_1999:                             ;   in Loop: Header=BB4_1713 Depth=4
	s_andn2_saveexec_b64 s[28:29], s[34:35]
; %bb.2000:                             ;   in Loop: Header=BB4_1713 Depth=4
	v_or_b32_sdwa v46, v14, s71 dst_sel:DWORD dst_unused:UNUSED_PAD src0_sel:BYTE_3 src1_sel:DWORD
; %bb.2001:                             ;   in Loop: Header=BB4_1713 Depth=4
	s_or_b64 exec, exec, s[28:29]
	v_and_b32_e32 v2, 0xff, v42
	v_cmp_ne_u16_e32 vcc, 0, v2
	v_mov_b32_e32 v14, 0
	v_mov_b32_e32 v15, 0
	s_and_saveexec_b64 s[28:29], vcc
	s_cbranch_execz .LBB4_2007
; %bb.2002:                             ;   in Loop: Header=BB4_1713 Depth=4
	v_cmp_ne_u16_e32 vcc, s70, v2
	v_bfrev_b32_e32 v15, 1
	s_and_saveexec_b64 s[34:35], vcc
	s_cbranch_execz .LBB4_2006
; %bb.2003:                             ;   in Loop: Header=BB4_1713 Depth=4
	v_and_b32_e32 v1, 0x7f, v42
	v_cmp_ne_u32_e32 vcc, s71, v1
	v_mov_b32_e32 v15, 0x7f800001
	s_and_saveexec_b64 s[36:37], vcc
	s_cbranch_execz .LBB4_2005
; %bb.2004:                             ;   in Loop: Header=BB4_1713 Depth=4
	v_and_b32_e32 v15, 7, v2
	v_lshrrev_b32_e32 v16, 3, v1
	v_cmp_gt_u32_e32 vcc, 8, v1
	v_ffbh_u32_e32 v1, v15
	v_min_u32_e32 v50, 32, v1
	v_subrev_u32_e32 v1, 28, v50
	v_lshlrev_b64 v[1:2], v1, v[2:3]
	v_sub_u32_e32 v2, 29, v50
	v_and_b32_e32 v1, 7, v1
	v_cndmask_b32_e32 v2, v16, v2, vcc
	v_cndmask_b32_e32 v1, v15, v1, vcc
	v_lshlrev_b32_e32 v15, 24, v42
	v_lshlrev_b32_e32 v1, 20, v1
	v_and_b32_e32 v15, 0x80000000, v15
	v_lshl_add_u32 v2, v2, 23, v0
	v_or3_b32 v15, v15, v2, v1
.LBB4_2005:                             ;   in Loop: Header=BB4_1713 Depth=4
	s_or_b64 exec, exec, s[36:37]
.LBB4_2006:                             ;   in Loop: Header=BB4_1713 Depth=4
	s_or_b64 exec, exec, s[34:35]
.LBB4_2007:                             ;   in Loop: Header=BB4_1713 Depth=4
	s_or_b64 exec, exec, s[28:29]
	v_and_b32_e32 v2, 0xff, v55
	v_cmp_ne_u16_e32 vcc, 0, v2
	s_and_saveexec_b64 s[28:29], vcc
	s_cbranch_execz .LBB4_2013
; %bb.2008:                             ;   in Loop: Header=BB4_1713 Depth=4
	v_cmp_ne_u16_e32 vcc, s70, v2
	v_bfrev_b32_e32 v14, 1
	s_and_saveexec_b64 s[34:35], vcc
	s_cbranch_execz .LBB4_2012
; %bb.2009:                             ;   in Loop: Header=BB4_1713 Depth=4
	v_and_b32_e32 v1, 0x7f, v55
	v_cmp_ne_u32_e32 vcc, s71, v1
	v_mov_b32_e32 v14, 0x7f800001
	s_and_saveexec_b64 s[36:37], vcc
	s_cbranch_execz .LBB4_2011
; %bb.2010:                             ;   in Loop: Header=BB4_1713 Depth=4
	v_and_b32_e32 v14, 7, v2
	v_lshrrev_b32_e32 v16, 3, v1
	v_cmp_gt_u32_e32 vcc, 8, v1
	v_ffbh_u32_e32 v1, v14
	v_min_u32_e32 v50, 32, v1
	v_subrev_u32_e32 v1, 28, v50
	v_lshlrev_b64 v[1:2], v1, v[2:3]
	v_sub_u32_e32 v2, 29, v50
	v_and_b32_e32 v1, 7, v1
	v_cndmask_b32_e32 v2, v16, v2, vcc
	v_cndmask_b32_e32 v1, v14, v1, vcc
	v_lshlrev_b32_e32 v14, 24, v55
	v_lshlrev_b32_e32 v1, 20, v1
	v_and_b32_e32 v14, 0x80000000, v14
	v_lshl_add_u32 v2, v2, 23, v0
	v_or3_b32 v14, v14, v2, v1
.LBB4_2011:                             ;   in Loop: Header=BB4_1713 Depth=4
	s_or_b64 exec, exec, s[36:37]
.LBB4_2012:                             ;   in Loop: Header=BB4_1713 Depth=4
	s_or_b64 exec, exec, s[34:35]
.LBB4_2013:                             ;   in Loop: Header=BB4_1713 Depth=4
	s_or_b64 exec, exec, s[28:29]
	v_mul_f32_e32 v14, v15, v14
	v_and_b32_e32 v2, 0x7f800000, v14
	v_cmp_ne_u64_e32 vcc, s[62:63], v[2:3]
                                        ; implicit-def: $vgpr55
	s_and_saveexec_b64 s[28:29], vcc
	s_xor_b64 s[34:35], exec, s[28:29]
	s_cbranch_execz .LBB4_2031
; %bb.2014:                             ;   in Loop: Header=BB4_1713 Depth=4
	v_and_b32_e32 v2, 0x7fffffff, v14
	v_cmp_gt_u64_e32 vcc, s[72:73], v[2:3]
	v_and_b32_sdwa v50, v14, s70 dst_sel:DWORD dst_unused:UNUSED_PAD src0_sel:BYTE_3 src1_sel:DWORD
                                        ; implicit-def: $vgpr55
	s_and_saveexec_b64 s[28:29], vcc
	s_xor_b64 s[36:37], exec, s[28:29]
	s_cbranch_execz .LBB4_2028
; %bb.2015:                             ;   in Loop: Header=BB4_1713 Depth=4
	v_cmp_ne_u32_e32 vcc, 0, v14
	v_mov_b32_e32 v55, 0
	s_and_saveexec_b64 s[38:39], vcc
	s_cbranch_execz .LBB4_2027
; %bb.2016:                             ;   in Loop: Header=BB4_1713 Depth=4
	v_bfe_u32 v51, v14, 23, 8
	v_cmp_gt_u32_e64 s[28:29], s80, v51
	v_sub_u32_e32 v1, 0x79, v51
	v_and_b32_e32 v2, 0x7fffff, v14
	v_cmp_eq_u32_e32 vcc, 0, v51
	v_cndmask_b32_e64 v1, 0, v1, s[28:29]
	v_mov_b32_e32 v15, 0x78
	v_or_b32_e32 v14, 0x800000, v2
	v_cndmask_b32_e32 v1, v1, v15, vcc
	v_cndmask_b32_e32 v2, v14, v2, vcc
	v_add_u32_e32 v14, 20, v1
	v_lshlrev_b64 v[14:15], v14, -1
	v_add_u32_e32 v16, 19, v1
	v_lshlrev_b64 v[40:41], v16, 1
	v_bfi_b32 v15, v15, 0, 0
	v_bfi_b32 v14, v14, 0, v2
	v_cmp_eq_u64_e64 s[28:29], v[14:15], v[40:41]
	v_lshrrev_b64 v[14:15], v1, v[2:3]
	v_mov_b32_e32 v16, v15
	v_mov_b32_e32 v15, v14
	s_and_saveexec_b64 s[48:49], s[28:29]
; %bb.2017:                             ;   in Loop: Header=BB4_1713 Depth=4
	v_bfe_u32 v2, v14, 20, 1
	v_add_co_u32_e64 v2, s[28:29], v14, v2
	v_add_co_u32_e64 v15, s[28:29], -1, v2
; %bb.2018:                             ;   in Loop: Header=BB4_1713 Depth=4
	s_or_b64 exec, exec, s[48:49]
	v_add_u32_e32 v2, 0xffffff81, v51
	v_mov_b32_e32 v16, 0xffffff82
	v_cndmask_b32_e32 v2, v2, v16, vcc
	v_lshrrev_b32_e32 v16, 23, v14
	v_add3_u32 v51, v1, v2, v16
	v_add_u32_e32 v1, 6, v51
	v_and_b32_e32 v2, 0xfffff, v15
	v_add_u32_e32 v2, v2, v14
	v_cmp_ne_u32_e32 vcc, 0, v1
                                        ; implicit-def: $vgpr14_vgpr15
                                        ; implicit-def: $vgpr16
	s_and_saveexec_b64 s[28:29], vcc
	s_xor_b64 s[28:29], exec, s[28:29]
; %bb.2019:                             ;   in Loop: Header=BB4_1713 Depth=4
	v_cmp_lt_u64_e32 vcc, s[88:89], v[2:3]
	v_add_u32_e32 v14, 7, v51
	v_cndmask_b32_e32 v16, v1, v14, vcc
	v_cndmask_b32_e64 v1, 0, 1, vcc
	v_lshrrev_b64 v[14:15], v1, v[2:3]
; %bb.2020:                             ;   in Loop: Header=BB4_1713 Depth=4
	s_andn2_saveexec_b64 s[28:29], s[28:29]
; %bb.2021:                             ;   in Loop: Header=BB4_1713 Depth=4
	v_mov_b32_e32 v15, v3
	v_bfe_u32 v16, v2, 23, 1
	v_mov_b32_e32 v14, v2
; %bb.2022:                             ;   in Loop: Header=BB4_1713 Depth=4
	s_or_b64 exec, exec, s[28:29]
	v_lshrrev_b64 v[1:2], 20, v[14:15]
	v_cmp_gt_i32_e32 vcc, 16, v16
	v_cndmask_b32_e32 v15, 0, v2, vcc
	v_cndmask_b32_e32 v14, 7, v1, vcc
	v_cmp_ne_u64_e32 vcc, 0, v[14:15]
	v_cmp_ne_u32_e64 s[28:29], 0, v16
	s_or_b64 s[28:29], s[28:29], vcc
                                        ; implicit-def: $vgpr55
	s_and_saveexec_b64 s[44:45], s[28:29]
	s_xor_b64 s[28:29], exec, s[44:45]
; %bb.2023:                             ;   in Loop: Header=BB4_1713 Depth=4
	v_min_i32_e32 v1, 15, v16
	v_lshl_or_b32 v1, v1, 3, v50
	v_and_or_b32 v55, v14, 7, v1
                                        ; implicit-def: $vgpr50
; %bb.2024:                             ;   in Loop: Header=BB4_1713 Depth=4
	s_andn2_saveexec_b64 s[28:29], s[28:29]
; %bb.2025:                             ;   in Loop: Header=BB4_1713 Depth=4
	v_mov_b32_e32 v55, v50
; %bb.2026:                             ;   in Loop: Header=BB4_1713 Depth=4
	s_or_b64 exec, exec, s[28:29]
.LBB4_2027:                             ;   in Loop: Header=BB4_1713 Depth=4
	s_or_b64 exec, exec, s[38:39]
                                        ; implicit-def: $vgpr50
.LBB4_2028:                             ;   in Loop: Header=BB4_1713 Depth=4
	s_andn2_saveexec_b64 s[28:29], s[36:37]
; %bb.2029:                             ;   in Loop: Header=BB4_1713 Depth=4
	v_or_b32_e32 v55, 0x7e, v50
; %bb.2030:                             ;   in Loop: Header=BB4_1713 Depth=4
	s_or_b64 exec, exec, s[28:29]
                                        ; implicit-def: $vgpr14
.LBB4_2031:                             ;   in Loop: Header=BB4_1713 Depth=4
	s_andn2_saveexec_b64 s[28:29], s[34:35]
; %bb.2032:                             ;   in Loop: Header=BB4_1713 Depth=4
	v_or_b32_sdwa v55, v14, s71 dst_sel:DWORD dst_unused:UNUSED_PAD src0_sel:BYTE_3 src1_sel:DWORD
; %bb.2033:                             ;   in Loop: Header=BB4_1713 Depth=4
	s_or_b64 exec, exec, s[28:29]
	v_and_b32_e32 v2, 0xff, v53
	v_cmp_ne_u16_e32 vcc, 0, v2
	v_mov_b32_e32 v14, 0
	v_mov_b32_e32 v15, 0
	s_and_saveexec_b64 s[28:29], vcc
	s_cbranch_execz .LBB4_2039
; %bb.2034:                             ;   in Loop: Header=BB4_1713 Depth=4
	v_cmp_ne_u16_e32 vcc, s70, v2
	v_bfrev_b32_e32 v15, 1
	s_and_saveexec_b64 s[34:35], vcc
	s_cbranch_execz .LBB4_2038
; %bb.2035:                             ;   in Loop: Header=BB4_1713 Depth=4
	v_and_b32_e32 v1, 0x7f, v53
	v_cmp_ne_u32_e32 vcc, s71, v1
	v_mov_b32_e32 v15, 0x7f800001
	s_and_saveexec_b64 s[36:37], vcc
	s_cbranch_execz .LBB4_2037
; %bb.2036:                             ;   in Loop: Header=BB4_1713 Depth=4
	v_and_b32_e32 v15, 7, v2
	v_lshrrev_b32_e32 v16, 3, v1
	v_cmp_gt_u32_e32 vcc, 8, v1
	v_ffbh_u32_e32 v1, v15
	v_min_u32_e32 v50, 32, v1
	v_subrev_u32_e32 v1, 28, v50
	v_lshlrev_b64 v[1:2], v1, v[2:3]
	v_sub_u32_e32 v2, 29, v50
	v_and_b32_e32 v1, 7, v1
	v_cndmask_b32_e32 v2, v16, v2, vcc
	v_cndmask_b32_e32 v1, v15, v1, vcc
	v_lshlrev_b32_e32 v15, 24, v53
	v_lshlrev_b32_e32 v1, 20, v1
	v_and_b32_e32 v15, 0x80000000, v15
	v_lshl_add_u32 v2, v2, 23, v0
	v_or3_b32 v15, v15, v2, v1
.LBB4_2037:                             ;   in Loop: Header=BB4_1713 Depth=4
	s_or_b64 exec, exec, s[36:37]
.LBB4_2038:                             ;   in Loop: Header=BB4_1713 Depth=4
	s_or_b64 exec, exec, s[34:35]
.LBB4_2039:                             ;   in Loop: Header=BB4_1713 Depth=4
	s_or_b64 exec, exec, s[28:29]
	v_and_b32_e32 v2, 0xff, v52
	v_cmp_ne_u16_e32 vcc, 0, v2
	s_and_saveexec_b64 s[28:29], vcc
	s_cbranch_execz .LBB4_2045
; %bb.2040:                             ;   in Loop: Header=BB4_1713 Depth=4
	v_cmp_ne_u16_e32 vcc, s70, v2
	v_bfrev_b32_e32 v14, 1
	s_and_saveexec_b64 s[34:35], vcc
	s_cbranch_execz .LBB4_2044
; %bb.2041:                             ;   in Loop: Header=BB4_1713 Depth=4
	v_and_b32_e32 v1, 0x7f, v52
	v_cmp_ne_u32_e32 vcc, s71, v1
	v_mov_b32_e32 v14, 0x7f800001
	s_and_saveexec_b64 s[36:37], vcc
	s_cbranch_execz .LBB4_2043
; %bb.2042:                             ;   in Loop: Header=BB4_1713 Depth=4
	v_and_b32_e32 v14, 7, v2
	v_lshrrev_b32_e32 v16, 3, v1
	v_cmp_gt_u32_e32 vcc, 8, v1
	v_ffbh_u32_e32 v1, v14
	v_min_u32_e32 v50, 32, v1
	v_subrev_u32_e32 v1, 28, v50
	v_lshlrev_b64 v[1:2], v1, v[2:3]
	v_sub_u32_e32 v2, 29, v50
	v_and_b32_e32 v1, 7, v1
	v_cndmask_b32_e32 v2, v16, v2, vcc
	v_cndmask_b32_e32 v1, v14, v1, vcc
	v_lshlrev_b32_e32 v14, 24, v52
	v_lshlrev_b32_e32 v1, 20, v1
	v_and_b32_e32 v14, 0x80000000, v14
	v_lshl_add_u32 v2, v2, 23, v0
	v_or3_b32 v14, v14, v2, v1
.LBB4_2043:                             ;   in Loop: Header=BB4_1713 Depth=4
	s_or_b64 exec, exec, s[36:37]
.LBB4_2044:                             ;   in Loop: Header=BB4_1713 Depth=4
	s_or_b64 exec, exec, s[34:35]
.LBB4_2045:                             ;   in Loop: Header=BB4_1713 Depth=4
	s_or_b64 exec, exec, s[28:29]
	v_mul_f32_e32 v14, v15, v14
	v_and_b32_e32 v2, 0x7f800000, v14
	v_cmp_ne_u64_e32 vcc, s[62:63], v[2:3]
                                        ; implicit-def: $vgpr52
	s_and_saveexec_b64 s[28:29], vcc
	s_xor_b64 s[34:35], exec, s[28:29]
	s_cbranch_execz .LBB4_2063
; %bb.2046:                             ;   in Loop: Header=BB4_1713 Depth=4
	v_and_b32_e32 v2, 0x7fffffff, v14
	v_cmp_gt_u64_e32 vcc, s[72:73], v[2:3]
	v_and_b32_sdwa v50, v14, s70 dst_sel:DWORD dst_unused:UNUSED_PAD src0_sel:BYTE_3 src1_sel:DWORD
                                        ; implicit-def: $vgpr52
	s_and_saveexec_b64 s[28:29], vcc
	s_xor_b64 s[36:37], exec, s[28:29]
	s_cbranch_execz .LBB4_2060
; %bb.2047:                             ;   in Loop: Header=BB4_1713 Depth=4
	v_cmp_ne_u32_e32 vcc, 0, v14
	v_mov_b32_e32 v52, 0
	s_and_saveexec_b64 s[38:39], vcc
	s_cbranch_execz .LBB4_2059
; %bb.2048:                             ;   in Loop: Header=BB4_1713 Depth=4
	v_bfe_u32 v51, v14, 23, 8
	v_cmp_gt_u32_e64 s[28:29], s80, v51
	v_sub_u32_e32 v1, 0x79, v51
	v_and_b32_e32 v2, 0x7fffff, v14
	v_cmp_eq_u32_e32 vcc, 0, v51
	v_cndmask_b32_e64 v1, 0, v1, s[28:29]
	v_mov_b32_e32 v15, 0x78
	v_or_b32_e32 v14, 0x800000, v2
	v_cndmask_b32_e32 v1, v1, v15, vcc
	v_cndmask_b32_e32 v2, v14, v2, vcc
	v_add_u32_e32 v14, 20, v1
	v_lshlrev_b64 v[14:15], v14, -1
	v_add_u32_e32 v16, 19, v1
	v_lshlrev_b64 v[52:53], v16, 1
	v_bfi_b32 v15, v15, 0, 0
	v_bfi_b32 v14, v14, 0, v2
	v_cmp_eq_u64_e64 s[28:29], v[14:15], v[52:53]
	v_lshrrev_b64 v[14:15], v1, v[2:3]
	v_mov_b32_e32 v16, v15
	v_mov_b32_e32 v15, v14
	s_and_saveexec_b64 s[48:49], s[28:29]
; %bb.2049:                             ;   in Loop: Header=BB4_1713 Depth=4
	v_bfe_u32 v2, v14, 20, 1
	v_add_co_u32_e64 v2, s[28:29], v14, v2
	v_add_co_u32_e64 v15, s[28:29], -1, v2
; %bb.2050:                             ;   in Loop: Header=BB4_1713 Depth=4
	s_or_b64 exec, exec, s[48:49]
	v_add_u32_e32 v2, 0xffffff81, v51
	v_mov_b32_e32 v16, 0xffffff82
	v_cndmask_b32_e32 v2, v2, v16, vcc
	v_lshrrev_b32_e32 v16, 23, v14
	v_add3_u32 v51, v1, v2, v16
	v_add_u32_e32 v1, 6, v51
	v_and_b32_e32 v2, 0xfffff, v15
	v_add_u32_e32 v2, v2, v14
	v_cmp_ne_u32_e32 vcc, 0, v1
                                        ; implicit-def: $vgpr14_vgpr15
                                        ; implicit-def: $vgpr16
	s_and_saveexec_b64 s[28:29], vcc
	s_xor_b64 s[28:29], exec, s[28:29]
; %bb.2051:                             ;   in Loop: Header=BB4_1713 Depth=4
	v_cmp_lt_u64_e32 vcc, s[88:89], v[2:3]
	v_add_u32_e32 v14, 7, v51
	v_cndmask_b32_e32 v16, v1, v14, vcc
	v_cndmask_b32_e64 v1, 0, 1, vcc
	v_lshrrev_b64 v[14:15], v1, v[2:3]
; %bb.2052:                             ;   in Loop: Header=BB4_1713 Depth=4
	s_andn2_saveexec_b64 s[28:29], s[28:29]
; %bb.2053:                             ;   in Loop: Header=BB4_1713 Depth=4
	v_mov_b32_e32 v15, v3
	v_bfe_u32 v16, v2, 23, 1
	v_mov_b32_e32 v14, v2
; %bb.2054:                             ;   in Loop: Header=BB4_1713 Depth=4
	s_or_b64 exec, exec, s[28:29]
	v_lshrrev_b64 v[1:2], 20, v[14:15]
	v_cmp_gt_i32_e32 vcc, 16, v16
	v_cndmask_b32_e32 v15, 0, v2, vcc
	v_cndmask_b32_e32 v14, 7, v1, vcc
	v_cmp_ne_u64_e32 vcc, 0, v[14:15]
	v_cmp_ne_u32_e64 s[28:29], 0, v16
	s_or_b64 s[28:29], s[28:29], vcc
                                        ; implicit-def: $vgpr52
	s_and_saveexec_b64 s[44:45], s[28:29]
	s_xor_b64 s[28:29], exec, s[44:45]
; %bb.2055:                             ;   in Loop: Header=BB4_1713 Depth=4
	v_min_i32_e32 v1, 15, v16
	v_lshl_or_b32 v1, v1, 3, v50
	v_and_or_b32 v52, v14, 7, v1
                                        ; implicit-def: $vgpr50
; %bb.2056:                             ;   in Loop: Header=BB4_1713 Depth=4
	s_andn2_saveexec_b64 s[28:29], s[28:29]
; %bb.2057:                             ;   in Loop: Header=BB4_1713 Depth=4
	v_mov_b32_e32 v52, v50
; %bb.2058:                             ;   in Loop: Header=BB4_1713 Depth=4
	s_or_b64 exec, exec, s[28:29]
.LBB4_2059:                             ;   in Loop: Header=BB4_1713 Depth=4
	s_or_b64 exec, exec, s[38:39]
                                        ; implicit-def: $vgpr50
.LBB4_2060:                             ;   in Loop: Header=BB4_1713 Depth=4
	s_andn2_saveexec_b64 s[28:29], s[36:37]
; %bb.2061:                             ;   in Loop: Header=BB4_1713 Depth=4
	v_or_b32_e32 v52, 0x7e, v50
; %bb.2062:                             ;   in Loop: Header=BB4_1713 Depth=4
	s_or_b64 exec, exec, s[28:29]
                                        ; implicit-def: $vgpr14
.LBB4_2063:                             ;   in Loop: Header=BB4_1713 Depth=4
	s_andn2_saveexec_b64 s[28:29], s[34:35]
; %bb.2064:                             ;   in Loop: Header=BB4_1713 Depth=4
	v_or_b32_sdwa v52, v14, s71 dst_sel:DWORD dst_unused:UNUSED_PAD src0_sel:BYTE_3 src1_sel:DWORD
; %bb.2065:                             ;   in Loop: Header=BB4_1713 Depth=4
	s_or_b64 exec, exec, s[28:29]
	v_and_b32_e32 v2, 0xff, v36
	v_cmp_ne_u16_e32 vcc, 0, v2
	v_mov_b32_e32 v14, 0
	v_mov_b32_e32 v15, 0
	s_and_saveexec_b64 s[28:29], vcc
	s_cbranch_execz .LBB4_2071
; %bb.2066:                             ;   in Loop: Header=BB4_1713 Depth=4
	v_cmp_ne_u16_e32 vcc, s70, v2
	v_bfrev_b32_e32 v15, 1
	s_and_saveexec_b64 s[34:35], vcc
	s_cbranch_execz .LBB4_2070
; %bb.2067:                             ;   in Loop: Header=BB4_1713 Depth=4
	v_and_b32_e32 v1, 0x7f, v36
	v_cmp_ne_u32_e32 vcc, s71, v1
	v_mov_b32_e32 v15, 0x7f800001
	s_and_saveexec_b64 s[36:37], vcc
	s_cbranch_execz .LBB4_2069
; %bb.2068:                             ;   in Loop: Header=BB4_1713 Depth=4
	v_and_b32_e32 v15, 7, v2
	v_lshrrev_b32_e32 v16, 3, v1
	v_cmp_gt_u32_e32 vcc, 8, v1
	v_ffbh_u32_e32 v1, v15
	v_min_u32_e32 v50, 32, v1
	v_subrev_u32_e32 v1, 28, v50
	v_lshlrev_b64 v[1:2], v1, v[2:3]
	v_sub_u32_e32 v2, 29, v50
	v_and_b32_e32 v1, 7, v1
	v_cndmask_b32_e32 v2, v16, v2, vcc
	v_cndmask_b32_e32 v1, v15, v1, vcc
	v_lshlrev_b32_e32 v15, 24, v36
	v_lshlrev_b32_e32 v1, 20, v1
	v_and_b32_e32 v15, 0x80000000, v15
	v_lshl_add_u32 v2, v2, 23, v0
	v_or3_b32 v15, v15, v2, v1
.LBB4_2069:                             ;   in Loop: Header=BB4_1713 Depth=4
	s_or_b64 exec, exec, s[36:37]
.LBB4_2070:                             ;   in Loop: Header=BB4_1713 Depth=4
	s_or_b64 exec, exec, s[34:35]
.LBB4_2071:                             ;   in Loop: Header=BB4_1713 Depth=4
	s_or_b64 exec, exec, s[28:29]
	v_and_b32_e32 v2, 0xff, v35
	v_cmp_ne_u16_e32 vcc, 0, v2
	s_and_saveexec_b64 s[28:29], vcc
	s_cbranch_execz .LBB4_2077
; %bb.2072:                             ;   in Loop: Header=BB4_1713 Depth=4
	v_cmp_ne_u16_e32 vcc, s70, v2
	v_bfrev_b32_e32 v14, 1
	s_and_saveexec_b64 s[34:35], vcc
	s_cbranch_execz .LBB4_2076
; %bb.2073:                             ;   in Loop: Header=BB4_1713 Depth=4
	v_and_b32_e32 v1, 0x7f, v35
	v_cmp_ne_u32_e32 vcc, s71, v1
	v_mov_b32_e32 v14, 0x7f800001
	s_and_saveexec_b64 s[36:37], vcc
	s_cbranch_execz .LBB4_2075
; %bb.2074:                             ;   in Loop: Header=BB4_1713 Depth=4
	v_and_b32_e32 v14, 7, v2
	v_lshrrev_b32_e32 v16, 3, v1
	v_cmp_gt_u32_e32 vcc, 8, v1
	v_ffbh_u32_e32 v1, v14
	v_min_u32_e32 v36, 32, v1
	v_subrev_u32_e32 v1, 28, v36
	v_lshlrev_b64 v[1:2], v1, v[2:3]
	v_sub_u32_e32 v2, 29, v36
	v_and_b32_e32 v1, 7, v1
	v_cndmask_b32_e32 v2, v16, v2, vcc
	v_cndmask_b32_e32 v1, v14, v1, vcc
	v_lshlrev_b32_e32 v14, 24, v35
	v_lshlrev_b32_e32 v1, 20, v1
	v_and_b32_e32 v14, 0x80000000, v14
	v_lshl_add_u32 v2, v2, 23, v0
	v_or3_b32 v14, v14, v2, v1
.LBB4_2075:                             ;   in Loop: Header=BB4_1713 Depth=4
	s_or_b64 exec, exec, s[36:37]
.LBB4_2076:                             ;   in Loop: Header=BB4_1713 Depth=4
	s_or_b64 exec, exec, s[34:35]
.LBB4_2077:                             ;   in Loop: Header=BB4_1713 Depth=4
	s_or_b64 exec, exec, s[28:29]
	v_mul_f32_e32 v14, v15, v14
	v_and_b32_e32 v2, 0x7f800000, v14
	v_cmp_ne_u64_e32 vcc, s[62:63], v[2:3]
                                        ; implicit-def: $vgpr35
	s_and_saveexec_b64 s[28:29], vcc
	s_xor_b64 s[34:35], exec, s[28:29]
	s_cbranch_execz .LBB4_2095
; %bb.2078:                             ;   in Loop: Header=BB4_1713 Depth=4
	v_and_b32_e32 v2, 0x7fffffff, v14
	v_cmp_gt_u64_e32 vcc, s[72:73], v[2:3]
	v_and_b32_sdwa v36, v14, s70 dst_sel:DWORD dst_unused:UNUSED_PAD src0_sel:BYTE_3 src1_sel:DWORD
                                        ; implicit-def: $vgpr35
	s_and_saveexec_b64 s[28:29], vcc
	s_xor_b64 s[36:37], exec, s[28:29]
	s_cbranch_execz .LBB4_2092
; %bb.2079:                             ;   in Loop: Header=BB4_1713 Depth=4
	v_cmp_ne_u32_e32 vcc, 0, v14
	v_mov_b32_e32 v35, 0
	s_and_saveexec_b64 s[38:39], vcc
	s_cbranch_execz .LBB4_2091
; %bb.2080:                             ;   in Loop: Header=BB4_1713 Depth=4
	v_bfe_u32 v35, v14, 23, 8
	v_cmp_gt_u32_e64 s[28:29], s80, v35
	v_sub_u32_e32 v1, 0x79, v35
	v_and_b32_e32 v2, 0x7fffff, v14
	v_cmp_eq_u32_e32 vcc, 0, v35
	v_cndmask_b32_e64 v1, 0, v1, s[28:29]
	v_mov_b32_e32 v15, 0x78
	v_or_b32_e32 v14, 0x800000, v2
	v_cndmask_b32_e32 v1, v1, v15, vcc
	v_cndmask_b32_e32 v2, v14, v2, vcc
	v_add_u32_e32 v14, 20, v1
	v_lshlrev_b64 v[14:15], v14, -1
	v_add_u32_e32 v16, 19, v1
	v_lshlrev_b64 v[50:51], v16, 1
	v_bfi_b32 v15, v15, 0, 0
	v_bfi_b32 v14, v14, 0, v2
	v_cmp_eq_u64_e64 s[28:29], v[14:15], v[50:51]
	v_lshrrev_b64 v[14:15], v1, v[2:3]
	v_mov_b32_e32 v16, v15
	v_mov_b32_e32 v15, v14
	s_and_saveexec_b64 s[48:49], s[28:29]
; %bb.2081:                             ;   in Loop: Header=BB4_1713 Depth=4
	v_bfe_u32 v2, v14, 20, 1
	v_add_co_u32_e64 v2, s[28:29], v14, v2
	v_add_co_u32_e64 v15, s[28:29], -1, v2
; %bb.2082:                             ;   in Loop: Header=BB4_1713 Depth=4
	s_or_b64 exec, exec, s[48:49]
	v_add_u32_e32 v2, 0xffffff81, v35
	v_mov_b32_e32 v16, 0xffffff82
	v_cndmask_b32_e32 v2, v2, v16, vcc
	v_lshrrev_b32_e32 v16, 23, v14
	v_add3_u32 v35, v1, v2, v16
	v_add_u32_e32 v1, 6, v35
	v_and_b32_e32 v2, 0xfffff, v15
	v_add_u32_e32 v2, v2, v14
	v_cmp_ne_u32_e32 vcc, 0, v1
                                        ; implicit-def: $vgpr14_vgpr15
                                        ; implicit-def: $vgpr16
	s_and_saveexec_b64 s[28:29], vcc
	s_xor_b64 s[28:29], exec, s[28:29]
; %bb.2083:                             ;   in Loop: Header=BB4_1713 Depth=4
	v_cmp_lt_u64_e32 vcc, s[88:89], v[2:3]
	v_add_u32_e32 v14, 7, v35
	v_cndmask_b32_e32 v16, v1, v14, vcc
	v_cndmask_b32_e64 v1, 0, 1, vcc
	v_lshrrev_b64 v[14:15], v1, v[2:3]
; %bb.2084:                             ;   in Loop: Header=BB4_1713 Depth=4
	s_andn2_saveexec_b64 s[28:29], s[28:29]
; %bb.2085:                             ;   in Loop: Header=BB4_1713 Depth=4
	v_mov_b32_e32 v15, v3
	v_bfe_u32 v16, v2, 23, 1
	v_mov_b32_e32 v14, v2
; %bb.2086:                             ;   in Loop: Header=BB4_1713 Depth=4
	s_or_b64 exec, exec, s[28:29]
	v_lshrrev_b64 v[1:2], 20, v[14:15]
	v_cmp_gt_i32_e32 vcc, 16, v16
	v_cndmask_b32_e32 v15, 0, v2, vcc
	v_cndmask_b32_e32 v14, 7, v1, vcc
	v_cmp_ne_u64_e32 vcc, 0, v[14:15]
	v_cmp_ne_u32_e64 s[28:29], 0, v16
	s_or_b64 s[28:29], s[28:29], vcc
                                        ; implicit-def: $vgpr35
	s_and_saveexec_b64 s[44:45], s[28:29]
	s_xor_b64 s[28:29], exec, s[44:45]
; %bb.2087:                             ;   in Loop: Header=BB4_1713 Depth=4
	v_min_i32_e32 v1, 15, v16
	v_lshl_or_b32 v1, v1, 3, v36
	v_and_or_b32 v35, v14, 7, v1
                                        ; implicit-def: $vgpr36
; %bb.2088:                             ;   in Loop: Header=BB4_1713 Depth=4
	s_andn2_saveexec_b64 s[28:29], s[28:29]
; %bb.2089:                             ;   in Loop: Header=BB4_1713 Depth=4
	v_mov_b32_e32 v35, v36
; %bb.2090:                             ;   in Loop: Header=BB4_1713 Depth=4
	s_or_b64 exec, exec, s[28:29]
.LBB4_2091:                             ;   in Loop: Header=BB4_1713 Depth=4
	s_or_b64 exec, exec, s[38:39]
                                        ; implicit-def: $vgpr36
.LBB4_2092:                             ;   in Loop: Header=BB4_1713 Depth=4
	s_andn2_saveexec_b64 s[28:29], s[36:37]
; %bb.2093:                             ;   in Loop: Header=BB4_1713 Depth=4
	v_or_b32_e32 v35, 0x7e, v36
; %bb.2094:                             ;   in Loop: Header=BB4_1713 Depth=4
	s_or_b64 exec, exec, s[28:29]
                                        ; implicit-def: $vgpr14
.LBB4_2095:                             ;   in Loop: Header=BB4_1713 Depth=4
	s_andn2_saveexec_b64 s[28:29], s[34:35]
; %bb.2096:                             ;   in Loop: Header=BB4_1713 Depth=4
	v_or_b32_sdwa v35, v14, s71 dst_sel:DWORD dst_unused:UNUSED_PAD src0_sel:BYTE_3 src1_sel:DWORD
; %bb.2097:                             ;   in Loop: Header=BB4_1713 Depth=4
	s_or_b64 exec, exec, s[28:29]
	v_and_b32_e32 v2, 0xff, v31
	v_cmp_ne_u16_e32 vcc, 0, v2
	v_mov_b32_e32 v14, 0
	v_mov_b32_e32 v15, 0
	s_and_saveexec_b64 s[28:29], vcc
	s_cbranch_execz .LBB4_2103
; %bb.2098:                             ;   in Loop: Header=BB4_1713 Depth=4
	v_cmp_ne_u16_e32 vcc, s70, v2
	v_bfrev_b32_e32 v15, 1
	s_and_saveexec_b64 s[34:35], vcc
	s_cbranch_execz .LBB4_2102
; %bb.2099:                             ;   in Loop: Header=BB4_1713 Depth=4
	v_and_b32_e32 v1, 0x7f, v31
	v_cmp_ne_u32_e32 vcc, s71, v1
	v_mov_b32_e32 v15, 0x7f800001
	s_and_saveexec_b64 s[36:37], vcc
	s_cbranch_execz .LBB4_2101
; %bb.2100:                             ;   in Loop: Header=BB4_1713 Depth=4
	v_and_b32_e32 v15, 7, v2
	v_lshrrev_b32_e32 v16, 3, v1
	v_cmp_gt_u32_e32 vcc, 8, v1
	v_ffbh_u32_e32 v1, v15
	v_min_u32_e32 v36, 32, v1
	v_subrev_u32_e32 v1, 28, v36
	v_lshlrev_b64 v[1:2], v1, v[2:3]
	v_sub_u32_e32 v2, 29, v36
	v_and_b32_e32 v1, 7, v1
	v_cndmask_b32_e32 v2, v16, v2, vcc
	v_cndmask_b32_e32 v1, v15, v1, vcc
	v_lshlrev_b32_e32 v15, 24, v31
	v_lshlrev_b32_e32 v1, 20, v1
	v_and_b32_e32 v15, 0x80000000, v15
	v_lshl_add_u32 v2, v2, 23, v0
	v_or3_b32 v15, v15, v2, v1
.LBB4_2101:                             ;   in Loop: Header=BB4_1713 Depth=4
	s_or_b64 exec, exec, s[36:37]
.LBB4_2102:                             ;   in Loop: Header=BB4_1713 Depth=4
	s_or_b64 exec, exec, s[34:35]
.LBB4_2103:                             ;   in Loop: Header=BB4_1713 Depth=4
	s_or_b64 exec, exec, s[28:29]
	v_and_b32_e32 v2, 0xff, v30
	v_cmp_ne_u16_e32 vcc, 0, v2
	s_and_saveexec_b64 s[28:29], vcc
	s_cbranch_execz .LBB4_2109
; %bb.2104:                             ;   in Loop: Header=BB4_1713 Depth=4
	v_cmp_ne_u16_e32 vcc, s70, v2
	v_bfrev_b32_e32 v14, 1
	s_and_saveexec_b64 s[34:35], vcc
	s_cbranch_execz .LBB4_2108
; %bb.2105:                             ;   in Loop: Header=BB4_1713 Depth=4
	v_and_b32_e32 v1, 0x7f, v30
	v_cmp_ne_u32_e32 vcc, s71, v1
	v_mov_b32_e32 v14, 0x7f800001
	s_and_saveexec_b64 s[36:37], vcc
	s_cbranch_execz .LBB4_2107
; %bb.2106:                             ;   in Loop: Header=BB4_1713 Depth=4
	v_and_b32_e32 v14, 7, v2
	v_lshrrev_b32_e32 v16, 3, v1
	v_cmp_gt_u32_e32 vcc, 8, v1
	v_ffbh_u32_e32 v1, v14
	v_min_u32_e32 v31, 32, v1
	v_subrev_u32_e32 v1, 28, v31
	v_lshlrev_b64 v[1:2], v1, v[2:3]
	v_sub_u32_e32 v2, 29, v31
	v_and_b32_e32 v1, 7, v1
	v_cndmask_b32_e32 v2, v16, v2, vcc
	v_cndmask_b32_e32 v1, v14, v1, vcc
	v_lshlrev_b32_e32 v14, 24, v30
	v_lshlrev_b32_e32 v1, 20, v1
	v_and_b32_e32 v14, 0x80000000, v14
	v_lshl_add_u32 v2, v2, 23, v0
	v_or3_b32 v14, v14, v2, v1
.LBB4_2107:                             ;   in Loop: Header=BB4_1713 Depth=4
	s_or_b64 exec, exec, s[36:37]
.LBB4_2108:                             ;   in Loop: Header=BB4_1713 Depth=4
	s_or_b64 exec, exec, s[34:35]
.LBB4_2109:                             ;   in Loop: Header=BB4_1713 Depth=4
	s_or_b64 exec, exec, s[28:29]
	v_mul_f32_e32 v14, v15, v14
	v_and_b32_e32 v2, 0x7f800000, v14
	v_cmp_ne_u64_e32 vcc, s[62:63], v[2:3]
                                        ; implicit-def: $vgpr30
	s_and_saveexec_b64 s[28:29], vcc
	s_xor_b64 s[34:35], exec, s[28:29]
	s_cbranch_execz .LBB4_2127
; %bb.2110:                             ;   in Loop: Header=BB4_1713 Depth=4
	v_and_b32_e32 v2, 0x7fffffff, v14
	v_cmp_gt_u64_e32 vcc, s[72:73], v[2:3]
	v_and_b32_sdwa v31, v14, s70 dst_sel:DWORD dst_unused:UNUSED_PAD src0_sel:BYTE_3 src1_sel:DWORD
                                        ; implicit-def: $vgpr30
	s_and_saveexec_b64 s[28:29], vcc
	s_xor_b64 s[36:37], exec, s[28:29]
	s_cbranch_execz .LBB4_2124
; %bb.2111:                             ;   in Loop: Header=BB4_1713 Depth=4
	v_cmp_ne_u32_e32 vcc, 0, v14
	v_mov_b32_e32 v30, 0
	s_and_saveexec_b64 s[38:39], vcc
	s_cbranch_execz .LBB4_2123
; %bb.2112:                             ;   in Loop: Header=BB4_1713 Depth=4
	v_bfe_u32 v30, v14, 23, 8
	v_cmp_gt_u32_e64 s[28:29], s80, v30
	v_sub_u32_e32 v1, 0x79, v30
	v_and_b32_e32 v2, 0x7fffff, v14
	v_cmp_eq_u32_e32 vcc, 0, v30
	v_cndmask_b32_e64 v1, 0, v1, s[28:29]
	v_mov_b32_e32 v15, 0x78
	v_or_b32_e32 v14, 0x800000, v2
	v_cndmask_b32_e32 v1, v1, v15, vcc
	v_cndmask_b32_e32 v2, v14, v2, vcc
	v_add_u32_e32 v14, 20, v1
	v_lshlrev_b64 v[14:15], v14, -1
	v_add_u32_e32 v16, 19, v1
	v_lshlrev_b64 v[50:51], v16, 1
	v_bfi_b32 v15, v15, 0, 0
	v_bfi_b32 v14, v14, 0, v2
	v_cmp_eq_u64_e64 s[28:29], v[14:15], v[50:51]
	v_lshrrev_b64 v[14:15], v1, v[2:3]
	v_mov_b32_e32 v16, v15
	v_mov_b32_e32 v15, v14
	s_and_saveexec_b64 s[48:49], s[28:29]
; %bb.2113:                             ;   in Loop: Header=BB4_1713 Depth=4
	v_bfe_u32 v2, v14, 20, 1
	v_add_co_u32_e64 v2, s[28:29], v14, v2
	v_add_co_u32_e64 v15, s[28:29], -1, v2
; %bb.2114:                             ;   in Loop: Header=BB4_1713 Depth=4
	s_or_b64 exec, exec, s[48:49]
	v_add_u32_e32 v2, 0xffffff81, v30
	v_mov_b32_e32 v16, 0xffffff82
	v_cndmask_b32_e32 v2, v2, v16, vcc
	v_lshrrev_b32_e32 v16, 23, v14
	v_add3_u32 v30, v1, v2, v16
	v_add_u32_e32 v1, 6, v30
	v_and_b32_e32 v2, 0xfffff, v15
	v_add_u32_e32 v2, v2, v14
	v_cmp_ne_u32_e32 vcc, 0, v1
                                        ; implicit-def: $vgpr14_vgpr15
                                        ; implicit-def: $vgpr16
	s_and_saveexec_b64 s[28:29], vcc
	s_xor_b64 s[28:29], exec, s[28:29]
; %bb.2115:                             ;   in Loop: Header=BB4_1713 Depth=4
	v_cmp_lt_u64_e32 vcc, s[88:89], v[2:3]
	v_add_u32_e32 v14, 7, v30
	v_cndmask_b32_e32 v16, v1, v14, vcc
	v_cndmask_b32_e64 v1, 0, 1, vcc
	v_lshrrev_b64 v[14:15], v1, v[2:3]
; %bb.2116:                             ;   in Loop: Header=BB4_1713 Depth=4
	s_andn2_saveexec_b64 s[28:29], s[28:29]
; %bb.2117:                             ;   in Loop: Header=BB4_1713 Depth=4
	v_mov_b32_e32 v15, v3
	v_bfe_u32 v16, v2, 23, 1
	v_mov_b32_e32 v14, v2
; %bb.2118:                             ;   in Loop: Header=BB4_1713 Depth=4
	s_or_b64 exec, exec, s[28:29]
	v_lshrrev_b64 v[1:2], 20, v[14:15]
	v_cmp_gt_i32_e32 vcc, 16, v16
	v_cndmask_b32_e32 v15, 0, v2, vcc
	v_cndmask_b32_e32 v14, 7, v1, vcc
	v_cmp_ne_u64_e32 vcc, 0, v[14:15]
	v_cmp_ne_u32_e64 s[28:29], 0, v16
	s_or_b64 s[28:29], s[28:29], vcc
                                        ; implicit-def: $vgpr30
	s_and_saveexec_b64 s[44:45], s[28:29]
	s_xor_b64 s[28:29], exec, s[44:45]
; %bb.2119:                             ;   in Loop: Header=BB4_1713 Depth=4
	v_min_i32_e32 v1, 15, v16
	v_lshl_or_b32 v1, v1, 3, v31
	v_and_or_b32 v30, v14, 7, v1
                                        ; implicit-def: $vgpr31
; %bb.2120:                             ;   in Loop: Header=BB4_1713 Depth=4
	s_andn2_saveexec_b64 s[28:29], s[28:29]
; %bb.2121:                             ;   in Loop: Header=BB4_1713 Depth=4
	v_mov_b32_e32 v30, v31
; %bb.2122:                             ;   in Loop: Header=BB4_1713 Depth=4
	s_or_b64 exec, exec, s[28:29]
.LBB4_2123:                             ;   in Loop: Header=BB4_1713 Depth=4
	s_or_b64 exec, exec, s[38:39]
                                        ; implicit-def: $vgpr31
.LBB4_2124:                             ;   in Loop: Header=BB4_1713 Depth=4
	s_andn2_saveexec_b64 s[28:29], s[36:37]
; %bb.2125:                             ;   in Loop: Header=BB4_1713 Depth=4
	v_or_b32_e32 v30, 0x7e, v31
; %bb.2126:                             ;   in Loop: Header=BB4_1713 Depth=4
	s_or_b64 exec, exec, s[28:29]
                                        ; implicit-def: $vgpr14
.LBB4_2127:                             ;   in Loop: Header=BB4_1713 Depth=4
	s_andn2_saveexec_b64 s[28:29], s[34:35]
; %bb.2128:                             ;   in Loop: Header=BB4_1713 Depth=4
	v_or_b32_sdwa v30, v14, s71 dst_sel:DWORD dst_unused:UNUSED_PAD src0_sel:BYTE_3 src1_sel:DWORD
; %bb.2129:                             ;   in Loop: Header=BB4_1713 Depth=4
	s_or_b64 exec, exec, s[28:29]
	v_and_b32_e32 v2, 0xff, v28
	v_cmp_ne_u16_e32 vcc, 0, v2
	v_mov_b32_e32 v14, 0
	v_mov_b32_e32 v15, 0
	s_and_saveexec_b64 s[28:29], vcc
	s_cbranch_execz .LBB4_2135
; %bb.2130:                             ;   in Loop: Header=BB4_1713 Depth=4
	v_cmp_ne_u16_e32 vcc, s70, v2
	v_bfrev_b32_e32 v15, 1
	s_and_saveexec_b64 s[34:35], vcc
	s_cbranch_execz .LBB4_2134
; %bb.2131:                             ;   in Loop: Header=BB4_1713 Depth=4
	v_and_b32_e32 v1, 0x7f, v28
	v_cmp_ne_u32_e32 vcc, s71, v1
	v_mov_b32_e32 v15, 0x7f800001
	s_and_saveexec_b64 s[36:37], vcc
	s_cbranch_execz .LBB4_2133
; %bb.2132:                             ;   in Loop: Header=BB4_1713 Depth=4
	v_and_b32_e32 v15, 7, v2
	v_lshrrev_b32_e32 v16, 3, v1
	v_cmp_gt_u32_e32 vcc, 8, v1
	v_ffbh_u32_e32 v1, v15
	v_min_u32_e32 v31, 32, v1
	v_subrev_u32_e32 v1, 28, v31
	v_lshlrev_b64 v[1:2], v1, v[2:3]
	v_sub_u32_e32 v2, 29, v31
	v_and_b32_e32 v1, 7, v1
	v_cndmask_b32_e32 v2, v16, v2, vcc
	v_cndmask_b32_e32 v1, v15, v1, vcc
	v_lshlrev_b32_e32 v15, 24, v28
	v_lshlrev_b32_e32 v1, 20, v1
	v_and_b32_e32 v15, 0x80000000, v15
	v_lshl_add_u32 v2, v2, 23, v0
	v_or3_b32 v15, v15, v2, v1
.LBB4_2133:                             ;   in Loop: Header=BB4_1713 Depth=4
	s_or_b64 exec, exec, s[36:37]
.LBB4_2134:                             ;   in Loop: Header=BB4_1713 Depth=4
	s_or_b64 exec, exec, s[34:35]
.LBB4_2135:                             ;   in Loop: Header=BB4_1713 Depth=4
	s_or_b64 exec, exec, s[28:29]
	v_and_b32_e32 v2, 0xff, v26
	v_cmp_ne_u16_e32 vcc, 0, v2
	s_and_saveexec_b64 s[28:29], vcc
	s_cbranch_execz .LBB4_2141
; %bb.2136:                             ;   in Loop: Header=BB4_1713 Depth=4
	v_cmp_ne_u16_e32 vcc, s70, v2
	v_bfrev_b32_e32 v14, 1
	s_and_saveexec_b64 s[34:35], vcc
	s_cbranch_execz .LBB4_2140
; %bb.2137:                             ;   in Loop: Header=BB4_1713 Depth=4
	v_and_b32_e32 v1, 0x7f, v26
	v_cmp_ne_u32_e32 vcc, s71, v1
	v_mov_b32_e32 v14, 0x7f800001
	s_and_saveexec_b64 s[36:37], vcc
	s_cbranch_execz .LBB4_2139
; %bb.2138:                             ;   in Loop: Header=BB4_1713 Depth=4
	v_and_b32_e32 v14, 7, v2
	v_lshrrev_b32_e32 v16, 3, v1
	v_cmp_gt_u32_e32 vcc, 8, v1
	v_ffbh_u32_e32 v1, v14
	v_min_u32_e32 v28, 32, v1
	v_subrev_u32_e32 v1, 28, v28
	v_lshlrev_b64 v[1:2], v1, v[2:3]
	v_sub_u32_e32 v2, 29, v28
	v_and_b32_e32 v1, 7, v1
	v_cndmask_b32_e32 v2, v16, v2, vcc
	v_cndmask_b32_e32 v1, v14, v1, vcc
	v_lshlrev_b32_e32 v14, 24, v26
	v_lshlrev_b32_e32 v1, 20, v1
	v_and_b32_e32 v14, 0x80000000, v14
	v_lshl_add_u32 v2, v2, 23, v0
	v_or3_b32 v14, v14, v2, v1
.LBB4_2139:                             ;   in Loop: Header=BB4_1713 Depth=4
	s_or_b64 exec, exec, s[36:37]
.LBB4_2140:                             ;   in Loop: Header=BB4_1713 Depth=4
	s_or_b64 exec, exec, s[34:35]
.LBB4_2141:                             ;   in Loop: Header=BB4_1713 Depth=4
	s_or_b64 exec, exec, s[28:29]
	v_mul_f32_e32 v14, v15, v14
	v_and_b32_e32 v2, 0x7f800000, v14
	v_cmp_ne_u64_e32 vcc, s[62:63], v[2:3]
                                        ; implicit-def: $vgpr26
	s_and_saveexec_b64 s[28:29], vcc
	s_xor_b64 s[34:35], exec, s[28:29]
	s_cbranch_execz .LBB4_2159
; %bb.2142:                             ;   in Loop: Header=BB4_1713 Depth=4
	v_and_b32_e32 v2, 0x7fffffff, v14
	v_cmp_gt_u64_e32 vcc, s[72:73], v[2:3]
	v_and_b32_sdwa v28, v14, s70 dst_sel:DWORD dst_unused:UNUSED_PAD src0_sel:BYTE_3 src1_sel:DWORD
                                        ; implicit-def: $vgpr26
	s_and_saveexec_b64 s[28:29], vcc
	s_xor_b64 s[36:37], exec, s[28:29]
	s_cbranch_execz .LBB4_2156
; %bb.2143:                             ;   in Loop: Header=BB4_1713 Depth=4
	v_cmp_ne_u32_e32 vcc, 0, v14
	v_mov_b32_e32 v26, 0
	s_and_saveexec_b64 s[38:39], vcc
	s_cbranch_execz .LBB4_2155
; %bb.2144:                             ;   in Loop: Header=BB4_1713 Depth=4
	v_bfe_u32 v26, v14, 23, 8
	v_cmp_gt_u32_e64 s[28:29], s80, v26
	v_sub_u32_e32 v1, 0x79, v26
	v_and_b32_e32 v2, 0x7fffff, v14
	v_cmp_eq_u32_e32 vcc, 0, v26
	v_cndmask_b32_e64 v1, 0, v1, s[28:29]
	v_mov_b32_e32 v15, 0x78
	v_or_b32_e32 v14, 0x800000, v2
	v_cndmask_b32_e32 v1, v1, v15, vcc
	v_cndmask_b32_e32 v2, v14, v2, vcc
	v_add_u32_e32 v14, 20, v1
	v_lshlrev_b64 v[14:15], v14, -1
	v_add_u32_e32 v16, 19, v1
	v_lshlrev_b64 v[50:51], v16, 1
	v_bfi_b32 v15, v15, 0, 0
	v_bfi_b32 v14, v14, 0, v2
	v_cmp_eq_u64_e64 s[28:29], v[14:15], v[50:51]
	v_lshrrev_b64 v[14:15], v1, v[2:3]
	v_mov_b32_e32 v16, v15
	v_mov_b32_e32 v15, v14
	s_and_saveexec_b64 s[48:49], s[28:29]
; %bb.2145:                             ;   in Loop: Header=BB4_1713 Depth=4
	v_bfe_u32 v2, v14, 20, 1
	v_add_co_u32_e64 v2, s[28:29], v14, v2
	v_add_co_u32_e64 v15, s[28:29], -1, v2
; %bb.2146:                             ;   in Loop: Header=BB4_1713 Depth=4
	s_or_b64 exec, exec, s[48:49]
	v_add_u32_e32 v2, 0xffffff81, v26
	v_mov_b32_e32 v16, 0xffffff82
	v_cndmask_b32_e32 v2, v2, v16, vcc
	v_lshrrev_b32_e32 v16, 23, v14
	v_add3_u32 v26, v1, v2, v16
	v_add_u32_e32 v1, 6, v26
	v_and_b32_e32 v2, 0xfffff, v15
	v_add_u32_e32 v2, v2, v14
	v_cmp_ne_u32_e32 vcc, 0, v1
                                        ; implicit-def: $vgpr14_vgpr15
                                        ; implicit-def: $vgpr16
	s_and_saveexec_b64 s[28:29], vcc
	s_xor_b64 s[28:29], exec, s[28:29]
; %bb.2147:                             ;   in Loop: Header=BB4_1713 Depth=4
	v_cmp_lt_u64_e32 vcc, s[88:89], v[2:3]
	v_add_u32_e32 v14, 7, v26
	v_cndmask_b32_e32 v16, v1, v14, vcc
	v_cndmask_b32_e64 v1, 0, 1, vcc
	v_lshrrev_b64 v[14:15], v1, v[2:3]
; %bb.2148:                             ;   in Loop: Header=BB4_1713 Depth=4
	s_andn2_saveexec_b64 s[28:29], s[28:29]
; %bb.2149:                             ;   in Loop: Header=BB4_1713 Depth=4
	v_mov_b32_e32 v15, v3
	v_bfe_u32 v16, v2, 23, 1
	v_mov_b32_e32 v14, v2
; %bb.2150:                             ;   in Loop: Header=BB4_1713 Depth=4
	s_or_b64 exec, exec, s[28:29]
	v_lshrrev_b64 v[1:2], 20, v[14:15]
	v_cmp_gt_i32_e32 vcc, 16, v16
	v_cndmask_b32_e32 v15, 0, v2, vcc
	v_cndmask_b32_e32 v14, 7, v1, vcc
	v_cmp_ne_u64_e32 vcc, 0, v[14:15]
	v_cmp_ne_u32_e64 s[28:29], 0, v16
	s_or_b64 s[28:29], s[28:29], vcc
                                        ; implicit-def: $vgpr26
	s_and_saveexec_b64 s[44:45], s[28:29]
	s_xor_b64 s[28:29], exec, s[44:45]
; %bb.2151:                             ;   in Loop: Header=BB4_1713 Depth=4
	v_min_i32_e32 v1, 15, v16
	v_lshl_or_b32 v1, v1, 3, v28
	v_and_or_b32 v26, v14, 7, v1
                                        ; implicit-def: $vgpr28
; %bb.2152:                             ;   in Loop: Header=BB4_1713 Depth=4
	s_andn2_saveexec_b64 s[28:29], s[28:29]
; %bb.2153:                             ;   in Loop: Header=BB4_1713 Depth=4
	v_mov_b32_e32 v26, v28
; %bb.2154:                             ;   in Loop: Header=BB4_1713 Depth=4
	s_or_b64 exec, exec, s[28:29]
.LBB4_2155:                             ;   in Loop: Header=BB4_1713 Depth=4
	s_or_b64 exec, exec, s[38:39]
                                        ; implicit-def: $vgpr28
.LBB4_2156:                             ;   in Loop: Header=BB4_1713 Depth=4
	s_andn2_saveexec_b64 s[28:29], s[36:37]
; %bb.2157:                             ;   in Loop: Header=BB4_1713 Depth=4
	v_or_b32_e32 v26, 0x7e, v28
; %bb.2158:                             ;   in Loop: Header=BB4_1713 Depth=4
	s_or_b64 exec, exec, s[28:29]
                                        ; implicit-def: $vgpr14
.LBB4_2159:                             ;   in Loop: Header=BB4_1713 Depth=4
	s_andn2_saveexec_b64 s[28:29], s[34:35]
; %bb.2160:                             ;   in Loop: Header=BB4_1713 Depth=4
	v_or_b32_sdwa v26, v14, s71 dst_sel:DWORD dst_unused:UNUSED_PAD src0_sel:BYTE_3 src1_sel:DWORD
; %bb.2161:                             ;   in Loop: Header=BB4_1713 Depth=4
	s_or_b64 exec, exec, s[28:29]
	v_and_b32_e32 v2, 0xff, v25
	v_cmp_ne_u16_e32 vcc, 0, v2
	v_mov_b32_e32 v14, 0
	v_mov_b32_e32 v15, 0
	s_and_saveexec_b64 s[28:29], vcc
	s_cbranch_execz .LBB4_2167
; %bb.2162:                             ;   in Loop: Header=BB4_1713 Depth=4
	v_cmp_ne_u16_e32 vcc, s70, v2
	v_bfrev_b32_e32 v15, 1
	s_and_saveexec_b64 s[34:35], vcc
	s_cbranch_execz .LBB4_2166
; %bb.2163:                             ;   in Loop: Header=BB4_1713 Depth=4
	v_and_b32_e32 v1, 0x7f, v25
	v_cmp_ne_u32_e32 vcc, s71, v1
	v_mov_b32_e32 v15, 0x7f800001
	s_and_saveexec_b64 s[36:37], vcc
	s_cbranch_execz .LBB4_2165
; %bb.2164:                             ;   in Loop: Header=BB4_1713 Depth=4
	v_and_b32_e32 v15, 7, v2
	v_lshrrev_b32_e32 v16, 3, v1
	v_cmp_gt_u32_e32 vcc, 8, v1
	v_ffbh_u32_e32 v1, v15
	v_min_u32_e32 v28, 32, v1
	v_subrev_u32_e32 v1, 28, v28
	v_lshlrev_b64 v[1:2], v1, v[2:3]
	v_sub_u32_e32 v2, 29, v28
	v_and_b32_e32 v1, 7, v1
	v_cndmask_b32_e32 v2, v16, v2, vcc
	v_cndmask_b32_e32 v1, v15, v1, vcc
	v_lshlrev_b32_e32 v15, 24, v25
	v_lshlrev_b32_e32 v1, 20, v1
	v_and_b32_e32 v15, 0x80000000, v15
	v_lshl_add_u32 v2, v2, 23, v0
	v_or3_b32 v15, v15, v2, v1
.LBB4_2165:                             ;   in Loop: Header=BB4_1713 Depth=4
	s_or_b64 exec, exec, s[36:37]
.LBB4_2166:                             ;   in Loop: Header=BB4_1713 Depth=4
	s_or_b64 exec, exec, s[34:35]
.LBB4_2167:                             ;   in Loop: Header=BB4_1713 Depth=4
	s_or_b64 exec, exec, s[28:29]
	v_and_b32_e32 v2, 0xff, v23
	v_cmp_ne_u16_e32 vcc, 0, v2
	s_and_saveexec_b64 s[28:29], vcc
	s_cbranch_execz .LBB4_2173
; %bb.2168:                             ;   in Loop: Header=BB4_1713 Depth=4
	v_cmp_ne_u16_e32 vcc, s70, v2
	v_bfrev_b32_e32 v14, 1
	s_and_saveexec_b64 s[34:35], vcc
	s_cbranch_execz .LBB4_2172
; %bb.2169:                             ;   in Loop: Header=BB4_1713 Depth=4
	v_and_b32_e32 v1, 0x7f, v23
	v_cmp_ne_u32_e32 vcc, s71, v1
	v_mov_b32_e32 v14, 0x7f800001
	s_and_saveexec_b64 s[36:37], vcc
	s_cbranch_execz .LBB4_2171
; %bb.2170:                             ;   in Loop: Header=BB4_1713 Depth=4
	v_and_b32_e32 v14, 7, v2
	v_lshrrev_b32_e32 v16, 3, v1
	v_cmp_gt_u32_e32 vcc, 8, v1
	v_ffbh_u32_e32 v1, v14
	v_min_u32_e32 v25, 32, v1
	v_subrev_u32_e32 v1, 28, v25
	v_lshlrev_b64 v[1:2], v1, v[2:3]
	v_sub_u32_e32 v2, 29, v25
	v_and_b32_e32 v1, 7, v1
	v_cndmask_b32_e32 v2, v16, v2, vcc
	v_cndmask_b32_e32 v1, v14, v1, vcc
	v_lshlrev_b32_e32 v14, 24, v23
	v_lshlrev_b32_e32 v1, 20, v1
	v_and_b32_e32 v14, 0x80000000, v14
	v_lshl_add_u32 v2, v2, 23, v0
	v_or3_b32 v14, v14, v2, v1
.LBB4_2171:                             ;   in Loop: Header=BB4_1713 Depth=4
	s_or_b64 exec, exec, s[36:37]
.LBB4_2172:                             ;   in Loop: Header=BB4_1713 Depth=4
	s_or_b64 exec, exec, s[34:35]
.LBB4_2173:                             ;   in Loop: Header=BB4_1713 Depth=4
	s_or_b64 exec, exec, s[28:29]
	v_mul_f32_e32 v14, v15, v14
	v_and_b32_e32 v2, 0x7f800000, v14
	v_cmp_ne_u64_e32 vcc, s[62:63], v[2:3]
                                        ; implicit-def: $vgpr23
	s_and_saveexec_b64 s[28:29], vcc
	s_xor_b64 s[34:35], exec, s[28:29]
	s_cbranch_execz .LBB4_2191
; %bb.2174:                             ;   in Loop: Header=BB4_1713 Depth=4
	v_and_b32_e32 v2, 0x7fffffff, v14
	v_cmp_gt_u64_e32 vcc, s[72:73], v[2:3]
	v_and_b32_sdwa v25, v14, s70 dst_sel:DWORD dst_unused:UNUSED_PAD src0_sel:BYTE_3 src1_sel:DWORD
                                        ; implicit-def: $vgpr23
	s_and_saveexec_b64 s[28:29], vcc
	s_xor_b64 s[36:37], exec, s[28:29]
	s_cbranch_execz .LBB4_2188
; %bb.2175:                             ;   in Loop: Header=BB4_1713 Depth=4
	v_cmp_ne_u32_e32 vcc, 0, v14
	v_mov_b32_e32 v23, 0
	s_and_saveexec_b64 s[38:39], vcc
	s_cbranch_execz .LBB4_2187
; %bb.2176:                             ;   in Loop: Header=BB4_1713 Depth=4
	v_bfe_u32 v23, v14, 23, 8
	v_cmp_gt_u32_e64 s[28:29], s80, v23
	v_sub_u32_e32 v1, 0x79, v23
	v_and_b32_e32 v2, 0x7fffff, v14
	v_cmp_eq_u32_e32 vcc, 0, v23
	v_cndmask_b32_e64 v1, 0, v1, s[28:29]
	v_mov_b32_e32 v15, 0x78
	v_or_b32_e32 v14, 0x800000, v2
	v_cndmask_b32_e32 v1, v1, v15, vcc
	v_cndmask_b32_e32 v2, v14, v2, vcc
	v_add_u32_e32 v14, 20, v1
	v_lshlrev_b64 v[14:15], v14, -1
	v_add_u32_e32 v16, 19, v1
	v_lshlrev_b64 v[50:51], v16, 1
	v_bfi_b32 v15, v15, 0, 0
	v_bfi_b32 v14, v14, 0, v2
	v_cmp_eq_u64_e64 s[28:29], v[14:15], v[50:51]
	v_lshrrev_b64 v[14:15], v1, v[2:3]
	v_mov_b32_e32 v16, v15
	v_mov_b32_e32 v15, v14
	s_and_saveexec_b64 s[48:49], s[28:29]
; %bb.2177:                             ;   in Loop: Header=BB4_1713 Depth=4
	v_bfe_u32 v2, v14, 20, 1
	v_add_co_u32_e64 v2, s[28:29], v14, v2
	v_add_co_u32_e64 v15, s[28:29], -1, v2
; %bb.2178:                             ;   in Loop: Header=BB4_1713 Depth=4
	s_or_b64 exec, exec, s[48:49]
	v_add_u32_e32 v2, 0xffffff81, v23
	v_mov_b32_e32 v16, 0xffffff82
	v_cndmask_b32_e32 v2, v2, v16, vcc
	v_lshrrev_b32_e32 v16, 23, v14
	v_add3_u32 v23, v1, v2, v16
	v_add_u32_e32 v1, 6, v23
	v_and_b32_e32 v2, 0xfffff, v15
	v_add_u32_e32 v2, v2, v14
	v_cmp_ne_u32_e32 vcc, 0, v1
                                        ; implicit-def: $vgpr14_vgpr15
                                        ; implicit-def: $vgpr16
	s_and_saveexec_b64 s[28:29], vcc
	s_xor_b64 s[28:29], exec, s[28:29]
; %bb.2179:                             ;   in Loop: Header=BB4_1713 Depth=4
	v_cmp_lt_u64_e32 vcc, s[88:89], v[2:3]
	v_add_u32_e32 v14, 7, v23
	v_cndmask_b32_e32 v16, v1, v14, vcc
	v_cndmask_b32_e64 v1, 0, 1, vcc
	v_lshrrev_b64 v[14:15], v1, v[2:3]
; %bb.2180:                             ;   in Loop: Header=BB4_1713 Depth=4
	s_andn2_saveexec_b64 s[28:29], s[28:29]
; %bb.2181:                             ;   in Loop: Header=BB4_1713 Depth=4
	v_mov_b32_e32 v15, v3
	v_bfe_u32 v16, v2, 23, 1
	v_mov_b32_e32 v14, v2
; %bb.2182:                             ;   in Loop: Header=BB4_1713 Depth=4
	s_or_b64 exec, exec, s[28:29]
	v_lshrrev_b64 v[1:2], 20, v[14:15]
	v_cmp_gt_i32_e32 vcc, 16, v16
	v_cndmask_b32_e32 v15, 0, v2, vcc
	v_cndmask_b32_e32 v14, 7, v1, vcc
	v_cmp_ne_u64_e32 vcc, 0, v[14:15]
	v_cmp_ne_u32_e64 s[28:29], 0, v16
	s_or_b64 s[28:29], s[28:29], vcc
                                        ; implicit-def: $vgpr23
	s_and_saveexec_b64 s[44:45], s[28:29]
	s_xor_b64 s[28:29], exec, s[44:45]
; %bb.2183:                             ;   in Loop: Header=BB4_1713 Depth=4
	v_min_i32_e32 v1, 15, v16
	v_lshl_or_b32 v1, v1, 3, v25
	v_and_or_b32 v23, v14, 7, v1
                                        ; implicit-def: $vgpr25
; %bb.2184:                             ;   in Loop: Header=BB4_1713 Depth=4
	s_andn2_saveexec_b64 s[28:29], s[28:29]
; %bb.2185:                             ;   in Loop: Header=BB4_1713 Depth=4
	v_mov_b32_e32 v23, v25
; %bb.2186:                             ;   in Loop: Header=BB4_1713 Depth=4
	s_or_b64 exec, exec, s[28:29]
.LBB4_2187:                             ;   in Loop: Header=BB4_1713 Depth=4
	s_or_b64 exec, exec, s[38:39]
                                        ; implicit-def: $vgpr25
.LBB4_2188:                             ;   in Loop: Header=BB4_1713 Depth=4
	s_andn2_saveexec_b64 s[28:29], s[36:37]
; %bb.2189:                             ;   in Loop: Header=BB4_1713 Depth=4
	v_or_b32_e32 v23, 0x7e, v25
; %bb.2190:                             ;   in Loop: Header=BB4_1713 Depth=4
	s_or_b64 exec, exec, s[28:29]
                                        ; implicit-def: $vgpr14
.LBB4_2191:                             ;   in Loop: Header=BB4_1713 Depth=4
	s_andn2_saveexec_b64 s[28:29], s[34:35]
; %bb.2192:                             ;   in Loop: Header=BB4_1713 Depth=4
	v_or_b32_sdwa v23, v14, s71 dst_sel:DWORD dst_unused:UNUSED_PAD src0_sel:BYTE_3 src1_sel:DWORD
; %bb.2193:                             ;   in Loop: Header=BB4_1713 Depth=4
	s_or_b64 exec, exec, s[28:29]
	v_and_b32_e32 v2, 0xff, v22
	v_cmp_ne_u16_e32 vcc, 0, v2
	v_mov_b32_e32 v14, 0
	v_mov_b32_e32 v15, 0
	s_and_saveexec_b64 s[28:29], vcc
	s_cbranch_execz .LBB4_2199
; %bb.2194:                             ;   in Loop: Header=BB4_1713 Depth=4
	v_cmp_ne_u16_e32 vcc, s70, v2
	v_bfrev_b32_e32 v15, 1
	s_and_saveexec_b64 s[34:35], vcc
	s_cbranch_execz .LBB4_2198
; %bb.2195:                             ;   in Loop: Header=BB4_1713 Depth=4
	v_and_b32_e32 v1, 0x7f, v22
	v_cmp_ne_u32_e32 vcc, s71, v1
	v_mov_b32_e32 v15, 0x7f800001
	s_and_saveexec_b64 s[36:37], vcc
	s_cbranch_execz .LBB4_2197
; %bb.2196:                             ;   in Loop: Header=BB4_1713 Depth=4
	v_and_b32_e32 v15, 7, v2
	v_lshrrev_b32_e32 v16, 3, v1
	v_cmp_gt_u32_e32 vcc, 8, v1
	v_ffbh_u32_e32 v1, v15
	v_min_u32_e32 v25, 32, v1
	v_subrev_u32_e32 v1, 28, v25
	v_lshlrev_b64 v[1:2], v1, v[2:3]
	v_sub_u32_e32 v2, 29, v25
	v_and_b32_e32 v1, 7, v1
	v_cndmask_b32_e32 v2, v16, v2, vcc
	v_cndmask_b32_e32 v1, v15, v1, vcc
	v_lshlrev_b32_e32 v15, 24, v22
	v_lshlrev_b32_e32 v1, 20, v1
	v_and_b32_e32 v15, 0x80000000, v15
	v_lshl_add_u32 v2, v2, 23, v0
	v_or3_b32 v15, v15, v2, v1
.LBB4_2197:                             ;   in Loop: Header=BB4_1713 Depth=4
	s_or_b64 exec, exec, s[36:37]
.LBB4_2198:                             ;   in Loop: Header=BB4_1713 Depth=4
	s_or_b64 exec, exec, s[34:35]
.LBB4_2199:                             ;   in Loop: Header=BB4_1713 Depth=4
	s_or_b64 exec, exec, s[28:29]
	v_and_b32_e32 v2, 0xff, v20
	v_cmp_ne_u16_e32 vcc, 0, v2
	s_and_saveexec_b64 s[28:29], vcc
	s_cbranch_execz .LBB4_2205
; %bb.2200:                             ;   in Loop: Header=BB4_1713 Depth=4
	v_cmp_ne_u16_e32 vcc, s70, v2
	v_bfrev_b32_e32 v14, 1
	s_and_saveexec_b64 s[34:35], vcc
	s_cbranch_execz .LBB4_2204
; %bb.2201:                             ;   in Loop: Header=BB4_1713 Depth=4
	v_and_b32_e32 v1, 0x7f, v20
	v_cmp_ne_u32_e32 vcc, s71, v1
	v_mov_b32_e32 v14, 0x7f800001
	s_and_saveexec_b64 s[36:37], vcc
	s_cbranch_execz .LBB4_2203
; %bb.2202:                             ;   in Loop: Header=BB4_1713 Depth=4
	v_and_b32_e32 v14, 7, v2
	v_lshrrev_b32_e32 v16, 3, v1
	v_cmp_gt_u32_e32 vcc, 8, v1
	v_ffbh_u32_e32 v1, v14
	v_min_u32_e32 v22, 32, v1
	v_subrev_u32_e32 v1, 28, v22
	v_lshlrev_b64 v[1:2], v1, v[2:3]
	v_sub_u32_e32 v2, 29, v22
	v_and_b32_e32 v1, 7, v1
	v_cndmask_b32_e32 v2, v16, v2, vcc
	v_cndmask_b32_e32 v1, v14, v1, vcc
	v_lshlrev_b32_e32 v14, 24, v20
	v_lshlrev_b32_e32 v1, 20, v1
	v_and_b32_e32 v14, 0x80000000, v14
	v_lshl_add_u32 v2, v2, 23, v0
	v_or3_b32 v14, v14, v2, v1
.LBB4_2203:                             ;   in Loop: Header=BB4_1713 Depth=4
	s_or_b64 exec, exec, s[36:37]
.LBB4_2204:                             ;   in Loop: Header=BB4_1713 Depth=4
	s_or_b64 exec, exec, s[34:35]
.LBB4_2205:                             ;   in Loop: Header=BB4_1713 Depth=4
	s_or_b64 exec, exec, s[28:29]
	v_mul_f32_e32 v14, v15, v14
	v_and_b32_e32 v2, 0x7f800000, v14
	v_cmp_ne_u64_e32 vcc, s[62:63], v[2:3]
                                        ; implicit-def: $vgpr2
	s_and_saveexec_b64 s[28:29], vcc
	s_xor_b64 s[34:35], exec, s[28:29]
	s_cbranch_execz .LBB4_2223
; %bb.2206:                             ;   in Loop: Header=BB4_1713 Depth=4
	v_and_b32_e32 v2, 0x7fffffff, v14
	v_cmp_gt_u64_e32 vcc, s[72:73], v[2:3]
	v_and_b32_sdwa v20, v14, s70 dst_sel:DWORD dst_unused:UNUSED_PAD src0_sel:BYTE_3 src1_sel:DWORD
                                        ; implicit-def: $vgpr2
	s_and_saveexec_b64 s[28:29], vcc
	s_xor_b64 s[36:37], exec, s[28:29]
	s_cbranch_execz .LBB4_2220
; %bb.2207:                             ;   in Loop: Header=BB4_1713 Depth=4
	v_cmp_ne_u32_e32 vcc, 0, v14
	v_mov_b32_e32 v2, 0
	s_and_saveexec_b64 s[38:39], vcc
	s_cbranch_execz .LBB4_2219
; %bb.2208:                             ;   in Loop: Header=BB4_1713 Depth=4
	v_bfe_u32 v22, v14, 23, 8
	v_cmp_gt_u32_e64 s[28:29], s80, v22
	v_sub_u32_e32 v1, 0x79, v22
	v_and_b32_e32 v2, 0x7fffff, v14
	v_cmp_eq_u32_e32 vcc, 0, v22
	v_cndmask_b32_e64 v1, 0, v1, s[28:29]
	v_mov_b32_e32 v15, 0x78
	v_or_b32_e32 v14, 0x800000, v2
	v_cndmask_b32_e32 v1, v1, v15, vcc
	v_cndmask_b32_e32 v2, v14, v2, vcc
	v_add_u32_e32 v14, 20, v1
	v_lshlrev_b64 v[14:15], v14, -1
	v_add_u32_e32 v16, 19, v1
	v_lshlrev_b64 v[50:51], v16, 1
	v_bfi_b32 v15, v15, 0, 0
	v_bfi_b32 v14, v14, 0, v2
	v_cmp_eq_u64_e64 s[28:29], v[14:15], v[50:51]
	v_lshrrev_b64 v[14:15], v1, v[2:3]
	v_mov_b32_e32 v16, v15
	v_mov_b32_e32 v15, v14
	s_and_saveexec_b64 s[48:49], s[28:29]
; %bb.2209:                             ;   in Loop: Header=BB4_1713 Depth=4
	v_bfe_u32 v2, v14, 20, 1
	v_add_co_u32_e64 v2, s[28:29], v14, v2
	v_add_co_u32_e64 v15, s[28:29], -1, v2
; %bb.2210:                             ;   in Loop: Header=BB4_1713 Depth=4
	s_or_b64 exec, exec, s[48:49]
	v_add_u32_e32 v2, 0xffffff81, v22
	v_mov_b32_e32 v16, 0xffffff82
	v_cndmask_b32_e32 v2, v2, v16, vcc
	v_lshrrev_b32_e32 v16, 23, v14
	v_add3_u32 v22, v1, v2, v16
	v_add_u32_e32 v1, 6, v22
	v_and_b32_e32 v2, 0xfffff, v15
	v_add_u32_e32 v2, v2, v14
	v_cmp_ne_u32_e32 vcc, 0, v1
                                        ; implicit-def: $vgpr14_vgpr15
                                        ; implicit-def: $vgpr16
	s_and_saveexec_b64 s[28:29], vcc
	s_xor_b64 s[28:29], exec, s[28:29]
; %bb.2211:                             ;   in Loop: Header=BB4_1713 Depth=4
	v_cmp_lt_u64_e32 vcc, s[88:89], v[2:3]
	v_add_u32_e32 v14, 7, v22
	v_cndmask_b32_e32 v16, v1, v14, vcc
	v_cndmask_b32_e64 v1, 0, 1, vcc
	v_lshrrev_b64 v[14:15], v1, v[2:3]
; %bb.2212:                             ;   in Loop: Header=BB4_1713 Depth=4
	s_andn2_saveexec_b64 s[28:29], s[28:29]
; %bb.2213:                             ;   in Loop: Header=BB4_1713 Depth=4
	v_mov_b32_e32 v15, v3
	v_bfe_u32 v16, v2, 23, 1
	v_mov_b32_e32 v14, v2
; %bb.2214:                             ;   in Loop: Header=BB4_1713 Depth=4
	s_or_b64 exec, exec, s[28:29]
	v_lshrrev_b64 v[1:2], 20, v[14:15]
	v_cmp_gt_i32_e32 vcc, 16, v16
	v_cndmask_b32_e32 v15, 0, v2, vcc
	v_cndmask_b32_e32 v14, 7, v1, vcc
	v_cmp_ne_u64_e32 vcc, 0, v[14:15]
	v_cmp_ne_u32_e64 s[28:29], 0, v16
	s_or_b64 s[28:29], s[28:29], vcc
                                        ; implicit-def: $vgpr2
	s_and_saveexec_b64 s[44:45], s[28:29]
	s_xor_b64 s[28:29], exec, s[44:45]
; %bb.2215:                             ;   in Loop: Header=BB4_1713 Depth=4
	v_min_i32_e32 v1, 15, v16
	v_lshl_or_b32 v1, v1, 3, v20
	v_and_or_b32 v2, v14, 7, v1
                                        ; implicit-def: $vgpr20
; %bb.2216:                             ;   in Loop: Header=BB4_1713 Depth=4
	s_andn2_saveexec_b64 s[28:29], s[28:29]
; %bb.2217:                             ;   in Loop: Header=BB4_1713 Depth=4
	v_mov_b32_e32 v2, v20
; %bb.2218:                             ;   in Loop: Header=BB4_1713 Depth=4
	s_or_b64 exec, exec, s[28:29]
.LBB4_2219:                             ;   in Loop: Header=BB4_1713 Depth=4
	s_or_b64 exec, exec, s[38:39]
                                        ; implicit-def: $vgpr20
.LBB4_2220:                             ;   in Loop: Header=BB4_1713 Depth=4
	s_andn2_saveexec_b64 s[28:29], s[36:37]
; %bb.2221:                             ;   in Loop: Header=BB4_1713 Depth=4
	v_or_b32_e32 v2, 0x7e, v20
; %bb.2222:                             ;   in Loop: Header=BB4_1713 Depth=4
	s_or_b64 exec, exec, s[28:29]
                                        ; implicit-def: $vgpr14
.LBB4_2223:                             ;   in Loop: Header=BB4_1713 Depth=4
	s_andn2_saveexec_b64 s[28:29], s[34:35]
	s_cbranch_execz .LBB4_1712
; %bb.2224:                             ;   in Loop: Header=BB4_1713 Depth=4
	v_or_b32_sdwa v2, v14, s71 dst_sel:DWORD dst_unused:UNUSED_PAD src0_sel:BYTE_3 src1_sel:DWORD
	s_branch .LBB4_1712
.LBB4_2225:                             ;   in Loop: Header=BB4_274 Depth=3
	s_or_b64 exec, exec, s[30:31]
	buffer_load_dword v20, off, s[0:3], s33 offset:188 ; 4-byte Folded Reload
	buffer_load_dword v21, off, s[0:3], s33 offset:184 ; 4-byte Folded Reload
.LBB4_2226:                             ;   in Loop: Header=BB4_274 Depth=3
	s_or_b64 exec, exec, s[94:95]
	v_lshlrev_b32_e32 v1, 10, v19
	v_cmp_ne_u32_e32 vcc, v7, v1
	s_and_b64 exec, exec, vcc
	s_cbranch_execz .LBB4_2262
; %bb.2227:                             ;   in Loop: Header=BB4_274 Depth=3
	v_add_u32_e32 v2, v17, v18
	v_and_b32_e32 v2, 0xffffffc0, v2
	v_sub_u32_e32 v2, v17, v2
	v_lshlrev_b32_e32 v6, 6, v6
	v_sub_u32_e32 v2, v2, v6
	v_add_u32_e32 v1, v1, v2
	v_sub_u32_e32 v6, v7, v1
	v_cmp_lt_i32_e32 vcc, 0, v6
	s_and_b64 exec, exec, vcc
	s_cbranch_execz .LBB4_2262
; %bb.2228:                             ;   in Loop: Header=BB4_274 Depth=3
	s_trap 2
	ds_read_b128 v[8:11], v0
	v_add_u32_e32 v5, v1, v5
	ds_read_b64 v[1:2], v0
	v_ashrrev_i32_e32 v7, 31, v5
	s_mov_b64 s[94:95], 0
	s_waitcnt lgkmcnt(0)
	v_add_co_u32_e32 v8, vcc, v8, v5
	v_addc_co_u32_e32 v9, vcc, v9, v7, vcc
	v_add_co_u32_e32 v10, vcc, v10, v5
	v_addc_co_u32_e32 v11, vcc, v11, v7, vcc
	;; [unrolled: 2-line block ×3, first 2 shown]
	s_branch .LBB4_2230
.LBB4_2229:                             ;   in Loop: Header=BB4_2230 Depth=4
	s_or_b64 exec, exec, s[28:29]
	buffer_load_dword v1, off, s[0:3], s33 offset:108 ; 4-byte Folded Reload
	s_waitcnt vmcnt(0)
	v_add_co_u32_e32 v8, vcc, v8, v1
	v_addc_co_u32_e32 v9, vcc, 0, v9, vcc
	v_add_co_u32_e32 v10, vcc, v10, v1
	v_addc_co_u32_e32 v11, vcc, 0, v11, vcc
	v_sub_u32_e32 v6, v6, v1
	v_cmp_gt_i32_e32 vcc, 1, v6
	flat_store_byte v[12:13], v2 glc slc
	s_or_b64 s[94:95], vcc, s[94:95]
	v_add_co_u32_e32 v12, vcc, v12, v1
	v_addc_co_u32_e32 v13, vcc, 0, v13, vcc
	s_andn2_b64 exec, exec, s[94:95]
	s_cbranch_execz .LBB4_2262
.LBB4_2230:                             ;   Parent Loop BB4_47 Depth=1
                                        ;     Parent Loop BB4_271 Depth=2
                                        ;       Parent Loop BB4_274 Depth=3
                                        ; =>      This Inner Loop Header: Depth=4
	flat_load_ubyte v15, v[8:9] glc slc
	flat_load_ubyte v7, v[10:11] glc slc
	v_mov_b32_e32 v5, 0
	v_mov_b32_e32 v14, 0
	s_waitcnt vmcnt(0) lgkmcnt(0)
	v_cmp_ne_u16_e32 vcc, 0, v15
	s_and_saveexec_b64 s[28:29], vcc
	s_cbranch_execz .LBB4_2236
; %bb.2231:                             ;   in Loop: Header=BB4_2230 Depth=4
	v_cmp_ne_u16_e32 vcc, s70, v15
	v_bfrev_b32_e32 v14, 1
	s_and_saveexec_b64 s[30:31], vcc
	s_cbranch_execz .LBB4_2235
; %bb.2232:                             ;   in Loop: Header=BB4_2230 Depth=4
	v_and_b32_e32 v2, 0xffff, v15
	v_and_b32_e32 v1, 0x7f, v2
	v_cmp_ne_u32_e32 vcc, s71, v1
	v_mov_b32_e32 v14, 0x7f800001
	s_and_saveexec_b64 s[34:35], vcc
	s_cbranch_execz .LBB4_2234
; %bb.2233:                             ;   in Loop: Header=BB4_2230 Depth=4
	v_and_b32_e32 v14, 7, v2
	v_lshrrev_b32_e32 v16, 3, v1
	v_cmp_gt_u32_e32 vcc, 8, v1
	v_ffbh_u32_e32 v1, v14
	v_min_u32_e32 v17, 32, v1
	v_subrev_u32_e32 v1, 28, v17
	v_lshlrev_b64 v[1:2], v1, v[2:3]
	v_sub_u32_e32 v2, 29, v17
	v_and_b32_e32 v1, 7, v1
	v_cndmask_b32_e32 v2, v16, v2, vcc
	v_cndmask_b32_e32 v1, v14, v1, vcc
	v_lshlrev_b32_e32 v14, 24, v15
	v_lshlrev_b32_e32 v1, 20, v1
	v_and_b32_e32 v14, 0x80000000, v14
	v_lshl_add_u32 v2, v2, 23, v0
	v_or3_b32 v14, v14, v2, v1
.LBB4_2234:                             ;   in Loop: Header=BB4_2230 Depth=4
	s_or_b64 exec, exec, s[34:35]
.LBB4_2235:                             ;   in Loop: Header=BB4_2230 Depth=4
	s_or_b64 exec, exec, s[30:31]
.LBB4_2236:                             ;   in Loop: Header=BB4_2230 Depth=4
	s_or_b64 exec, exec, s[28:29]
	v_and_b32_e32 v2, 0xff, v7
	v_cmp_ne_u16_e32 vcc, 0, v2
	s_and_saveexec_b64 s[28:29], vcc
	s_cbranch_execz .LBB4_2242
; %bb.2237:                             ;   in Loop: Header=BB4_2230 Depth=4
	v_cmp_ne_u16_e32 vcc, s70, v2
	v_bfrev_b32_e32 v5, 1
	s_and_saveexec_b64 s[30:31], vcc
	s_cbranch_execz .LBB4_2241
; %bb.2238:                             ;   in Loop: Header=BB4_2230 Depth=4
	v_and_b32_e32 v1, 0x7f, v7
	v_cmp_ne_u32_e32 vcc, s71, v1
	v_mov_b32_e32 v5, 0x7f800001
	s_and_saveexec_b64 s[34:35], vcc
	s_cbranch_execz .LBB4_2240
; %bb.2239:                             ;   in Loop: Header=BB4_2230 Depth=4
	v_and_b32_e32 v5, 7, v2
	v_lshrrev_b32_e32 v15, 3, v1
	v_cmp_gt_u32_e32 vcc, 8, v1
	v_ffbh_u32_e32 v1, v5
	v_min_u32_e32 v16, 32, v1
	v_subrev_u32_e32 v1, 28, v16
	v_lshlrev_b64 v[1:2], v1, v[2:3]
	v_sub_u32_e32 v2, 29, v16
	v_and_b32_e32 v1, 7, v1
	v_lshlrev_b32_e32 v7, 24, v7
	v_cndmask_b32_e32 v2, v15, v2, vcc
	v_cndmask_b32_e32 v1, v5, v1, vcc
	v_and_b32_e32 v7, 0x80000000, v7
	v_lshlrev_b32_e32 v1, 20, v1
	v_lshl_add_u32 v2, v2, 23, v0
	v_or3_b32 v5, v7, v2, v1
.LBB4_2240:                             ;   in Loop: Header=BB4_2230 Depth=4
	s_or_b64 exec, exec, s[34:35]
.LBB4_2241:                             ;   in Loop: Header=BB4_2230 Depth=4
	s_or_b64 exec, exec, s[30:31]
.LBB4_2242:                             ;   in Loop: Header=BB4_2230 Depth=4
	s_or_b64 exec, exec, s[28:29]
	v_mul_f32_e32 v7, v14, v5
	v_and_b32_e32 v2, 0x7f800000, v7
	v_cmp_ne_u64_e32 vcc, s[62:63], v[2:3]
                                        ; implicit-def: $vgpr2
	s_and_saveexec_b64 s[28:29], vcc
	s_xor_b64 s[30:31], exec, s[28:29]
	s_cbranch_execz .LBB4_2260
; %bb.2243:                             ;   in Loop: Header=BB4_2230 Depth=4
	v_and_b32_e32 v2, 0x7fffffff, v7
	v_cmp_gt_u64_e32 vcc, s[72:73], v[2:3]
	v_and_b32_sdwa v5, v7, s70 dst_sel:DWORD dst_unused:UNUSED_PAD src0_sel:BYTE_3 src1_sel:DWORD
                                        ; implicit-def: $vgpr2
	s_and_saveexec_b64 s[28:29], vcc
	s_xor_b64 s[34:35], exec, s[28:29]
	s_cbranch_execz .LBB4_2257
; %bb.2244:                             ;   in Loop: Header=BB4_2230 Depth=4
	v_cmp_ne_u32_e32 vcc, 0, v7
	v_mov_b32_e32 v2, 0
	s_and_saveexec_b64 s[36:37], vcc
	s_cbranch_execz .LBB4_2256
; %bb.2245:                             ;   in Loop: Header=BB4_2230 Depth=4
	v_and_b32_e32 v2, 0x7fffff, v7
	v_bfe_u32 v7, v7, 23, 8
	v_cmp_gt_u32_e64 s[28:29], s80, v7
	v_sub_u32_e32 v1, 0x79, v7
	v_cmp_eq_u32_e32 vcc, 0, v7
	v_cndmask_b32_e64 v1, 0, v1, s[28:29]
	v_mov_b32_e32 v15, 0x78
	v_or_b32_e32 v14, 0x800000, v2
	v_cndmask_b32_e32 v1, v1, v15, vcc
	v_cndmask_b32_e32 v2, v14, v2, vcc
	v_add_u32_e32 v14, 20, v1
	v_lshlrev_b64 v[14:15], v14, -1
	v_add_u32_e32 v16, 19, v1
	v_lshlrev_b64 v[16:17], v16, 1
	v_bfi_b32 v15, v15, 0, 0
	v_bfi_b32 v14, v14, 0, v2
	v_cmp_eq_u64_e64 s[28:29], v[14:15], v[16:17]
	v_lshrrev_b64 v[14:15], v1, v[2:3]
	v_mov_b32_e32 v16, v15
	v_mov_b32_e32 v15, v14
	s_and_saveexec_b64 s[38:39], s[28:29]
; %bb.2246:                             ;   in Loop: Header=BB4_2230 Depth=4
	v_bfe_u32 v2, v14, 20, 1
	v_add_co_u32_e64 v2, s[28:29], v14, v2
	v_add_co_u32_e64 v15, s[28:29], -1, v2
; %bb.2247:                             ;   in Loop: Header=BB4_2230 Depth=4
	s_or_b64 exec, exec, s[38:39]
	v_add_u32_e32 v2, 0xffffff81, v7
	v_mov_b32_e32 v7, 0xffffff82
	v_cndmask_b32_e32 v2, v2, v7, vcc
	v_lshrrev_b32_e32 v7, 23, v14
	v_add3_u32 v16, v1, v2, v7
	v_add_u32_e32 v1, 6, v16
	v_and_b32_e32 v2, 0xfffff, v15
	v_add_u32_e32 v2, v2, v14
	v_cmp_ne_u32_e32 vcc, 0, v1
                                        ; implicit-def: $vgpr14_vgpr15
                                        ; implicit-def: $vgpr7
	s_and_saveexec_b64 s[28:29], vcc
	s_xor_b64 s[28:29], exec, s[28:29]
; %bb.2248:                             ;   in Loop: Header=BB4_2230 Depth=4
	v_cmp_lt_u64_e32 vcc, s[88:89], v[2:3]
	v_add_u32_e32 v7, 7, v16
	v_cndmask_b32_e32 v7, v1, v7, vcc
	v_cndmask_b32_e64 v1, 0, 1, vcc
	v_lshrrev_b64 v[14:15], v1, v[2:3]
; %bb.2249:                             ;   in Loop: Header=BB4_2230 Depth=4
	s_andn2_saveexec_b64 s[28:29], s[28:29]
; %bb.2250:                             ;   in Loop: Header=BB4_2230 Depth=4
	v_mov_b32_e32 v15, v3
	v_bfe_u32 v7, v2, 23, 1
	v_mov_b32_e32 v14, v2
; %bb.2251:                             ;   in Loop: Header=BB4_2230 Depth=4
	s_or_b64 exec, exec, s[28:29]
	v_lshrrev_b64 v[1:2], 20, v[14:15]
	v_cmp_gt_i32_e32 vcc, 16, v7
	v_cndmask_b32_e32 v15, 0, v2, vcc
	v_cndmask_b32_e32 v14, 7, v1, vcc
	v_cmp_ne_u64_e32 vcc, 0, v[14:15]
	v_cmp_ne_u32_e64 s[28:29], 0, v7
	s_or_b64 s[28:29], s[28:29], vcc
                                        ; implicit-def: $vgpr2
	s_and_saveexec_b64 s[44:45], s[28:29]
	s_xor_b64 s[28:29], exec, s[44:45]
; %bb.2252:                             ;   in Loop: Header=BB4_2230 Depth=4
	v_min_i32_e32 v1, 15, v7
	v_lshl_or_b32 v1, v1, 3, v5
	v_and_or_b32 v2, v14, 7, v1
                                        ; implicit-def: $vgpr5
; %bb.2253:                             ;   in Loop: Header=BB4_2230 Depth=4
	s_andn2_saveexec_b64 s[28:29], s[28:29]
; %bb.2254:                             ;   in Loop: Header=BB4_2230 Depth=4
	v_mov_b32_e32 v2, v5
; %bb.2255:                             ;   in Loop: Header=BB4_2230 Depth=4
	s_or_b64 exec, exec, s[28:29]
.LBB4_2256:                             ;   in Loop: Header=BB4_2230 Depth=4
	s_or_b64 exec, exec, s[36:37]
                                        ; implicit-def: $vgpr5
.LBB4_2257:                             ;   in Loop: Header=BB4_2230 Depth=4
	s_andn2_saveexec_b64 s[28:29], s[34:35]
; %bb.2258:                             ;   in Loop: Header=BB4_2230 Depth=4
	v_or_b32_e32 v2, 0x7e, v5
; %bb.2259:                             ;   in Loop: Header=BB4_2230 Depth=4
	s_or_b64 exec, exec, s[28:29]
                                        ; implicit-def: $vgpr7
.LBB4_2260:                             ;   in Loop: Header=BB4_2230 Depth=4
	s_andn2_saveexec_b64 s[28:29], s[30:31]
	s_cbranch_execz .LBB4_2229
; %bb.2261:                             ;   in Loop: Header=BB4_2230 Depth=4
	v_or_b32_sdwa v2, v7, s71 dst_sel:DWORD dst_unused:UNUSED_PAD src0_sel:BYTE_3 src1_sel:DWORD
	s_branch .LBB4_2229
.LBB4_2262:                             ;   in Loop: Header=BB4_274 Depth=3
	s_or_b64 exec, exec, s[40:41]
	s_waitcnt vmcnt(0)
	v_cmp_lt_i32_e64 s[28:29], 0, v21
	s_and_saveexec_b64 s[40:41], s[10:11]
	s_cbranch_execz .LBB4_349
.LBB4_2263:                             ;   in Loop: Header=BB4_274 Depth=3
	s_and_saveexec_b64 s[44:45], s[58:59]
	s_xor_b64 s[94:95], exec, s[44:45]
	s_cbranch_execz .LBB4_2278
; %bb.2264:                             ;   in Loop: Header=BB4_274 Depth=3
	s_and_saveexec_b64 s[30:31], s[16:17]
	s_cbranch_execz .LBB4_2277
; %bb.2265:                             ;   in Loop: Header=BB4_274 Depth=3
	s_mov_b64 s[36:37], exec
	v_mbcnt_lo_u32_b32 v1, s36, 0
	v_mbcnt_hi_u32_b32 v1, s37, v1
	v_cmp_eq_u32_e32 vcc, 0, v1
	s_waitcnt vmcnt(0) lgkmcnt(0)
	buffer_wbinvl1_vol
	s_and_saveexec_b64 s[34:35], vcc
	s_cbranch_execz .LBB4_2267
; %bb.2266:                             ;   in Loop: Header=BB4_274 Depth=3
	s_bcnt1_i32_b64 s44, s[36:37]
	v_mov_b32_e32 v2, s44
	ds_add_u64 v0, v[2:3]
	s_trap 2
.LBB4_2267:                             ;   in Loop: Header=BB4_274 Depth=3
	s_or_b64 exec, exec, s[34:35]
	s_trap 2
	ds_read_b64 v[1:2], v0
	s_waitcnt lgkmcnt(0)
	v_add_co_u32_e32 v38, vcc, v38, v29
	v_addc_co_u32_e32 v39, vcc, 0, v39, vcc
	v_cmp_lt_u64_e32 vcc, v[1:2], v[38:39]
	s_and_saveexec_b64 s[34:35], vcc
	s_cbranch_execz .LBB4_2276
; %bb.2268:                             ;   in Loop: Header=BB4_274 Depth=3
	s_mov_b32 s44, 0
	s_mov_b64 s[36:37], 0
                                        ; implicit-def: $sgpr38_sgpr39
                                        ; implicit-def: $sgpr48_sgpr49
	s_branch .LBB4_2270
.LBB4_2269:                             ;   in Loop: Header=BB4_2270 Depth=4
	s_or_b64 exec, exec, s[52:53]
	s_and_b64 vcc, exec, vcc
	s_or_b64 s[36:37], vcc, s[36:37]
	s_andn2_b64 vcc, s[38:39], exec
	s_and_b64 s[38:39], s[48:49], exec
	s_or_b64 s[38:39], vcc, s[38:39]
	s_andn2_b64 exec, exec, s[36:37]
	s_cbranch_execz .LBB4_2274
.LBB4_2270:                             ;   Parent Loop BB4_47 Depth=1
                                        ;     Parent Loop BB4_271 Depth=2
                                        ;       Parent Loop BB4_274 Depth=3
                                        ; =>      This Inner Loop Header: Depth=4
	s_add_i32 s44, s44, 1
	s_cmpk_lg_i32 s44, 0x2710
	s_cselect_b64 s[50:51], -1, 0
	s_and_b64 vcc, exec, s[50:51]
	s_cbranch_vccz .LBB4_2272
; %bb.2271:                             ;   in Loop: Header=BB4_2270 Depth=4
	s_mov_b64 vcc, -1
	s_or_b64 s[48:49], s[48:49], exec
	s_and_saveexec_b64 s[52:53], s[50:51]
	s_cbranch_execz .LBB4_2269
	s_branch .LBB4_2273
.LBB4_2272:                             ;   in Loop: Header=BB4_2270 Depth=4
	s_trap 2
	ds_read_b64 v[1:2], v0
	s_andn2_b64 s[50:51], s[50:51], exec
	s_mov_b32 s44, 0
	s_waitcnt lgkmcnt(0)
	flat_load_dword v1, v[1:2] glc
	s_waitcnt vmcnt(0) lgkmcnt(0)
	buffer_wbinvl1_vol
	v_cmp_eq_u32_e32 vcc, 0, v1
	s_and_b64 vcc, vcc, exec
	s_or_b64 s[50:51], s[50:51], vcc
	s_mov_b64 vcc, -1
	s_or_b64 s[48:49], s[48:49], exec
	s_and_saveexec_b64 s[52:53], s[50:51]
	s_cbranch_execz .LBB4_2269
.LBB4_2273:                             ;   in Loop: Header=BB4_2270 Depth=4
	s_sleep 1
	s_trap 2
	ds_read_b64 v[1:2], v0
	s_waitcnt lgkmcnt(0)
	s_andn2_b64 s[48:49], s[48:49], exec
	v_cmp_ge_u64_e32 vcc, v[1:2], v[38:39]
	s_orn2_b64 vcc, vcc, exec
	s_branch .LBB4_2269
.LBB4_2274:                             ;   in Loop: Header=BB4_274 Depth=3
	s_or_b64 exec, exec, s[36:37]
	s_and_saveexec_b64 s[44:45], s[38:39]
	s_xor_b64 s[44:45], exec, s[44:45]
	s_cbranch_execz .LBB4_2276
; %bb.2275:                             ;   in Loop: Header=BB4_274 Depth=3
	v_mov_b32_e32 v1, 1
	ds_write_b32 v0, v1
	s_trap 2
.LBB4_2276:                             ;   in Loop: Header=BB4_274 Depth=3
	s_or_b64 exec, exec, s[34:35]
	;;#ASMSTART
	s_wakeup
	;;#ASMEND
.LBB4_2277:                             ;   in Loop: Header=BB4_274 Depth=3
	s_or_b64 exec, exec, s[30:31]
.LBB4_2278:                             ;   in Loop: Header=BB4_274 Depth=3
	s_andn2_saveexec_b64 s[94:95], s[94:95]
	s_cbranch_execz .LBB4_2280
; %bb.2279:                             ;   in Loop: Header=BB4_274 Depth=3
	s_waitcnt vmcnt(0) lgkmcnt(0)
	buffer_wbinvl1_vol
	s_barrier
.LBB4_2280:                             ;   in Loop: Header=BB4_274 Depth=3
	s_or_b64 exec, exec, s[94:95]
	s_or_b64 exec, exec, s[40:41]
                                        ; implicit-def: $vgpr1
	s_and_saveexec_b64 s[40:41], s[24:25]
	s_xor_b64 s[40:41], exec, s[40:41]
	s_cbranch_execnz .LBB4_350
.LBB4_2281:                             ;   in Loop: Header=BB4_274 Depth=3
	s_andn2_saveexec_b64 s[28:29], s[40:41]
	s_cbranch_execz .LBB4_2300
.LBB4_2282:                             ;   in Loop: Header=BB4_274 Depth=3
	s_and_saveexec_b64 s[40:41], s[58:59]
	s_xor_b64 s[40:41], exec, s[40:41]
	s_cbranch_execz .LBB4_2297
; %bb.2283:                             ;   in Loop: Header=BB4_274 Depth=3
	s_and_saveexec_b64 s[94:95], s[16:17]
	s_cbranch_execz .LBB4_2296
; %bb.2284:                             ;   in Loop: Header=BB4_274 Depth=3
	s_mov_b64 s[34:35], exec
	v_mbcnt_lo_u32_b32 v1, s34, 0
	v_mbcnt_hi_u32_b32 v1, s35, v1
	v_cmp_eq_u32_e32 vcc, 0, v1
	;;#ASMSTART
	s_waitcnt lgkmcnt(0) vmcnt(0)
	;;#ASMEND
	s_and_saveexec_b64 s[30:31], vcc
	s_cbranch_execz .LBB4_2286
; %bb.2285:                             ;   in Loop: Header=BB4_274 Depth=3
	s_bcnt1_i32_b64 s44, s[34:35]
	v_mov_b32_e32 v2, s44
	s_waitcnt lgkmcnt(0)
	ds_add_u64 v0, v[2:3]
	s_trap 2
.LBB4_2286:                             ;   in Loop: Header=BB4_274 Depth=3
	s_or_b64 exec, exec, s[30:31]
	s_trap 2
	ds_read_b64 v[1:2], v0
	s_waitcnt lgkmcnt(0)
	v_add_co_u32_e32 v38, vcc, v38, v29
	v_addc_co_u32_e32 v39, vcc, 0, v39, vcc
	v_cmp_lt_u64_e32 vcc, v[1:2], v[38:39]
	s_and_saveexec_b64 s[30:31], vcc
	s_cbranch_execz .LBB4_2295
; %bb.2287:                             ;   in Loop: Header=BB4_274 Depth=3
	s_mov_b32 s44, 0
	s_mov_b64 s[34:35], 0
                                        ; implicit-def: $sgpr36_sgpr37
                                        ; implicit-def: $sgpr38_sgpr39
	s_branch .LBB4_2289
.LBB4_2288:                             ;   in Loop: Header=BB4_2289 Depth=4
	s_or_b64 exec, exec, s[50:51]
	s_and_b64 vcc, exec, vcc
	s_or_b64 s[34:35], vcc, s[34:35]
	s_andn2_b64 vcc, s[36:37], exec
	s_and_b64 s[36:37], s[38:39], exec
	s_or_b64 s[36:37], vcc, s[36:37]
	s_andn2_b64 exec, exec, s[34:35]
	s_cbranch_execz .LBB4_2293
.LBB4_2289:                             ;   Parent Loop BB4_47 Depth=1
                                        ;     Parent Loop BB4_271 Depth=2
                                        ;       Parent Loop BB4_274 Depth=3
                                        ; =>      This Inner Loop Header: Depth=4
	s_add_i32 s44, s44, 1
	s_cmpk_lg_i32 s44, 0x2710
	s_cselect_b64 s[48:49], -1, 0
	s_and_b64 vcc, exec, s[48:49]
	s_cbranch_vccz .LBB4_2291
; %bb.2290:                             ;   in Loop: Header=BB4_2289 Depth=4
	s_mov_b64 vcc, -1
	s_or_b64 s[38:39], s[38:39], exec
	s_and_saveexec_b64 s[50:51], s[48:49]
	s_cbranch_execz .LBB4_2288
	s_branch .LBB4_2292
.LBB4_2291:                             ;   in Loop: Header=BB4_2289 Depth=4
	s_trap 2
	ds_read_b64 v[1:2], v0
	s_andn2_b64 s[48:49], s[48:49], exec
	s_mov_b32 s44, 0
	s_waitcnt vmcnt(0) lgkmcnt(0)
	flat_load_dword v1, v[1:2] glc
	s_waitcnt vmcnt(0) lgkmcnt(0)
	buffer_wbinvl1_vol
	v_cmp_eq_u32_e32 vcc, 0, v1
	s_and_b64 vcc, vcc, exec
	s_or_b64 s[48:49], s[48:49], vcc
	s_mov_b64 vcc, -1
	s_or_b64 s[38:39], s[38:39], exec
	s_and_saveexec_b64 s[50:51], s[48:49]
	s_cbranch_execz .LBB4_2288
.LBB4_2292:                             ;   in Loop: Header=BB4_2289 Depth=4
	s_sleep 1
	s_trap 2
	ds_read_b64 v[1:2], v0
	s_waitcnt lgkmcnt(0)
	s_andn2_b64 s[38:39], s[38:39], exec
	v_cmp_ge_u64_e32 vcc, v[1:2], v[38:39]
	s_orn2_b64 vcc, vcc, exec
	s_branch .LBB4_2288
.LBB4_2293:                             ;   in Loop: Header=BB4_274 Depth=3
	s_or_b64 exec, exec, s[34:35]
	s_and_saveexec_b64 s[44:45], s[36:37]
	s_xor_b64 s[44:45], exec, s[44:45]
	s_cbranch_execz .LBB4_2295
; %bb.2294:                             ;   in Loop: Header=BB4_274 Depth=3
	v_mov_b32_e32 v1, 1
	ds_write_b32 v0, v1
	s_trap 2
.LBB4_2295:                             ;   in Loop: Header=BB4_274 Depth=3
	s_or_b64 exec, exec, s[30:31]
	;;#ASMSTART
	s_wakeup
	;;#ASMEND
.LBB4_2296:                             ;   in Loop: Header=BB4_274 Depth=3
	s_or_b64 exec, exec, s[94:95]
.LBB4_2297:                             ;   in Loop: Header=BB4_274 Depth=3
	s_andn2_saveexec_b64 s[40:41], s[40:41]
	s_cbranch_execz .LBB4_2299
; %bb.2298:                             ;   in Loop: Header=BB4_274 Depth=3
	;;#ASMSTART
	s_waitcnt lgkmcnt(0) vmcnt(0)
	;;#ASMEND
	s_waitcnt vmcnt(0) lgkmcnt(0)
	s_barrier
.LBB4_2299:                             ;   in Loop: Header=BB4_274 Depth=3
	s_or_b64 exec, exec, s[40:41]
	v_and_b32_e32 v1, 16, v4
.LBB4_2300:                             ;   in Loop: Header=BB4_274 Depth=3
	s_or_b64 exec, exec, s[28:29]
	v_cmp_ne_u32_e32 vcc, 0, v1
	s_xor_b64 s[28:29], s[12:13], -1
	s_and_b64 s[40:41], vcc, s[28:29]
	s_and_saveexec_b64 s[28:29], s[40:41]
	s_cbranch_execz .LBB4_2302
; %bb.2301:                             ;   in Loop: Header=BB4_274 Depth=3
	buffer_load_dword v1, off, s[0:3], s33 offset:100 ; 4-byte Folded Reload
	buffer_load_dword v2, off, s[0:3], s33 offset:104 ; 4-byte Folded Reload
	v_mov_b32_e32 v5, 1
	s_waitcnt vmcnt(0)
	flat_store_dword v[1:2], v5
.LBB4_2302:                             ;   in Loop: Header=BB4_274 Depth=3
	s_or_b64 exec, exec, s[28:29]
	v_and_b32_e32 v1, 48, v4
	v_cmp_ne_u32_e32 vcc, 0, v1
	s_and_saveexec_b64 s[28:29], vcc
	s_cbranch_execz .LBB4_273
; %bb.2303:                             ;   in Loop: Header=BB4_274 Depth=3
	buffer_load_dword v1, off, s[0:3], s33 offset:56 ; 4-byte Folded Reload
	buffer_load_dword v2, off, s[0:3], s33 offset:60 ; 4-byte Folded Reload
	s_waitcnt vmcnt(0)
	v_add_co_u32_e32 v1, vcc, 2, v1
	v_addc_co_u32_e32 v2, vcc, 0, v2, vcc
	buffer_store_dword v1, off, s[0:3], s33 offset:56 ; 4-byte Folded Spill
	s_nop 0
	buffer_store_dword v2, off, s[0:3], s33 offset:60 ; 4-byte Folded Spill
	flat_store_dwordx2 v[32:33], v[1:2]
	s_branch .LBB4_273
.LBB4_2304:                             ;   in Loop: Header=BB4_271 Depth=2
	s_or_b64 exec, exec, s[42:43]
	v_cmp_gt_i32_e32 vcc, 2, v2
	s_and_saveexec_b64 s[40:41], vcc
	s_cbranch_execz .LBB4_270
	s_branch .LBB4_2306
.LBB4_2305:                             ;   in Loop: Header=BB4_271 Depth=2
	s_or_b64 exec, exec, s[90:91]
	s_or_b64 exec, exec, s[42:43]
	v_cmp_gt_i32_e32 vcc, 2, v2
	s_and_saveexec_b64 s[40:41], vcc
	s_cbranch_execz .LBB4_270
.LBB4_2306:                             ;   in Loop: Header=BB4_271 Depth=2
	v_cmp_eq_u32_e64 s[90:91], 0, v2
	s_mov_b64 s[42:43], 0
	s_branch .LBB4_2308
.LBB4_2307:                             ;   in Loop: Header=BB4_2308 Depth=3
	s_or_b64 exec, exec, s[28:29]
	v_add_u32_e32 v61, v44, v61
	s_mov_b64 s[90:91], 0
	s_andn2_b64 exec, exec, s[42:43]
	s_cbranch_execz .LBB4_269
.LBB4_2308:                             ;   Parent Loop BB4_47 Depth=1
                                        ;     Parent Loop BB4_271 Depth=2
                                        ; =>    This Loop Header: Depth=3
                                        ;         Child Loop BB4_2314 Depth 4
                                        ;         Child Loop BB4_2342 Depth 4
	;; [unrolled: 1-line block ×3, first 2 shown]
	v_sub_u32_e32 v1, v20, v61
	v_min_i32_e32 v44, v44, v1
	v_and_b32_e32 v1, 12, v4
	v_cmp_ne_u32_e32 vcc, 0, v1
	s_and_saveexec_b64 s[92:93], vcc
	s_cbranch_execz .LBB4_2334
; %bb.2309:                             ;   in Loop: Header=BB4_2308 Depth=3
	buffer_load_dword v8, off, s[0:3], s33 offset:56 ; 4-byte Folded Reload
	buffer_load_dword v9, off, s[0:3], s33 offset:60 ; 4-byte Folded Reload
	v_and_b32_e32 v2, 8, v4
	s_waitcnt lgkmcnt(0)
	v_add_co_u32_e32 v5, vcc, v48, v2
	v_addc_co_u32_e32 v6, vcc, 0, v49, vcc
	s_waitcnt vmcnt(0)
	v_add_co_u32_e32 v8, vcc, 2, v8
	v_addc_co_u32_e32 v9, vcc, 0, v9, vcc
	v_cmp_lt_u64_e32 vcc, v[5:6], v[8:9]
	s_and_saveexec_b64 s[94:95], vcc
	s_cbranch_execz .LBB4_2321
; %bb.2310:                             ;   in Loop: Header=BB4_2308 Depth=3
	v_and_b32_e32 v1, 64, v4
	s_mov_b32 s44, 0
	v_cmp_eq_u32_e32 vcc, 0, v1
	s_mov_b64 s[30:31], 0
                                        ; implicit-def: $sgpr34_sgpr35
                                        ; implicit-def: $sgpr36_sgpr37
                                        ; implicit-def: $sgpr38_sgpr39
	s_branch .LBB4_2314
.LBB4_2311:                             ;   in Loop: Header=BB4_2314 Depth=4
	s_waitcnt vmcnt(0) lgkmcnt(0)
	v_add_co_u32_e64 v6, s[28:29], v48, v2
	v_addc_co_u32_e64 v7, s[28:29], 0, v49, s[28:29]
	v_cmp_ge_u64_e64 s[28:29], v[6:7], v[8:9]
	s_or_b64 s[52:53], s[52:53], exec
	s_orn2_b64 s[50:51], s[28:29], exec
.LBB4_2312:                             ;   in Loop: Header=BB4_2314 Depth=4
	s_or_b64 exec, exec, s[64:65]
	s_andn2_b64 s[28:29], s[38:39], exec
	s_and_b64 s[38:39], s[52:53], exec
	s_or_b64 s[38:39], s[28:29], s[38:39]
	s_andn2_b64 s[28:29], s[36:37], exec
	s_and_b64 s[36:37], s[50:51], exec
	s_or_b64 s[36:37], s[28:29], s[36:37]
.LBB4_2313:                             ;   in Loop: Header=BB4_2314 Depth=4
	s_or_b64 exec, exec, s[48:49]
	s_and_b64 s[28:29], exec, s[36:37]
	s_or_b64 s[30:31], s[28:29], s[30:31]
	s_andn2_b64 s[28:29], s[34:35], exec
	s_and_b64 s[34:35], s[38:39], exec
	s_or_b64 s[34:35], s[28:29], s[34:35]
	s_andn2_b64 exec, exec, s[30:31]
	s_cbranch_execz .LBB4_2318
.LBB4_2314:                             ;   Parent Loop BB4_47 Depth=1
                                        ;     Parent Loop BB4_271 Depth=2
                                        ;       Parent Loop BB4_2308 Depth=3
                                        ; =>      This Inner Loop Header: Depth=4
	s_sleep 1
	s_waitcnt vmcnt(0) lgkmcnt(0)
	flat_load_dwordx2 v[48:49], v[32:33] glc
	s_or_b64 s[38:39], s[38:39], exec
	s_or_b64 s[36:37], s[36:37], exec
                                        ; implicit-def: $vgpr5
	s_and_saveexec_b64 s[48:49], vcc
	s_cbranch_execz .LBB4_2313
; %bb.2315:                             ;   in Loop: Header=BB4_2314 Depth=4
	s_cmpk_lt_i32 s44, 0x270f
	s_cselect_b64 s[54:55], -1, 0
	s_cmpk_gt_i32 s44, 0x270e
	s_mov_b64 s[50:51], -1
	s_cbranch_scc0 .LBB4_2317
; %bb.2316:                             ;   in Loop: Header=BB4_2314 Depth=4
	s_trap 2
	ds_read_b64 v[5:6], v0
	s_andn2_b64 s[54:55], s[54:55], exec
	s_mov_b32 s44, 0
	s_mov_b64 s[52:53], 0
	s_waitcnt vmcnt(0) lgkmcnt(0)
	flat_load_dword v5, v[5:6] glc
	s_waitcnt vmcnt(0) lgkmcnt(0)
	buffer_wbinvl1_vol
	v_cmp_eq_u32_e64 s[28:29], 0, v5
	s_and_b64 s[28:29], s[28:29], exec
	s_or_b64 s[54:55], s[54:55], s[28:29]
	s_and_saveexec_b64 s[64:65], s[54:55]
	s_cbranch_execz .LBB4_2312
	s_branch .LBB4_2311
.LBB4_2317:                             ;   in Loop: Header=BB4_2314 Depth=4
	s_add_i32 s44, s44, 1
	s_mov_b64 s[52:53], -1
                                        ; implicit-def: $vgpr5
	s_and_saveexec_b64 s[64:65], s[54:55]
	s_cbranch_execz .LBB4_2312
	s_branch .LBB4_2311
.LBB4_2318:                             ;   in Loop: Header=BB4_2308 Depth=3
	s_or_b64 exec, exec, s[30:31]
	s_xor_b64 s[28:29], s[34:35], -1
	s_and_saveexec_b64 s[44:45], s[28:29]
	s_xor_b64 s[28:29], exec, s[44:45]
	s_cbranch_execz .LBB4_2320
; %bb.2319:                             ;   in Loop: Header=BB4_2308 Depth=3
	v_or_b32_e32 v4, 64, v4
	s_waitcnt lgkmcnt(0)
	ds_write_b32 v0, v5
	s_trap 2
.LBB4_2320:                             ;   in Loop: Header=BB4_2308 Depth=3
	s_or_b64 exec, exec, s[28:29]
.LBB4_2321:                             ;   in Loop: Header=BB4_2308 Depth=3
	s_or_b64 exec, exec, s[94:95]
	v_and_b32_e32 v1, 0x108, v4
	v_cmp_ne_u32_e32 vcc, s69, v1
	;;#ASMSTART
	s_wakeup
	;;#ASMEND
	s_and_saveexec_b64 s[28:29], vcc
	s_xor_b64 s[28:29], exec, s[28:29]
                                        ; implicit-def: $vgpr5
	s_cbranch_execz .LBB4_2323
; %bb.2322:                             ;   in Loop: Header=BB4_2308 Depth=3
	buffer_load_dword v5, off, s[0:3], s33 offset:56 ; 4-byte Folded Reload
	buffer_load_dword v6, off, s[0:3], s33 offset:60 ; 4-byte Folded Reload
                                        ; implicit-def: $vgpr6_vgpr7
                                        ; kill: killed $vgpr6_vgpr7
	s_waitcnt vmcnt(0)
	v_and_b32_e32 v5, 7, v5
.LBB4_2323:                             ;   in Loop: Header=BB4_2308 Depth=3
	s_andn2_saveexec_b64 s[28:29], s[28:29]
	s_cbranch_execz .LBB4_2325
; %bb.2324:                             ;   in Loop: Header=BB4_2308 Depth=3
	buffer_load_dword v5, off, s[0:3], s33 offset:56 ; 4-byte Folded Reload
	buffer_load_dword v6, off, s[0:3], s33 offset:60 ; 4-byte Folded Reload
	;; [unrolled: 1-line block ×6, first 2 shown]
	v_ashrrev_i32_e32 v45, 31, v44
	s_waitcnt vmcnt(0)
	v_and_b32_e32 v5, 7, v5
	v_mad_u64_u32 v[6:7], s[44:45], v5, 24, v[10:11]
	flat_store_dwordx2 v[6:7], v[44:45] offset:8
.LBB4_2325:                             ;   in Loop: Header=BB4_2308 Depth=3
	s_or_b64 exec, exec, s[28:29]
	v_and_b32_e32 v1, 0x100, v4
	v_cmp_ne_u32_e32 vcc, 0, v1
	s_mov_b64 s[28:29], -1
                                        ; implicit-def: $vgpr10_vgpr11
	s_and_saveexec_b64 s[94:95], vcc
	s_cbranch_execz .LBB4_2329
; %bb.2326:                             ;   in Loop: Header=BB4_2308 Depth=3
	buffer_load_dword v10, off, s[0:3], s33 offset:84 ; 4-byte Folded Reload
	buffer_load_dword v11, off, s[0:3], s33 offset:88 ; 4-byte Folded Reload
	;; [unrolled: 1-line block ×4, first 2 shown]
	s_waitcnt vmcnt(0)
	v_mad_u64_u32 v[12:13], s[28:29], v5, 24, v[10:11]
                                        ; implicit-def: $vgpr10_vgpr11
	v_mov_b32_e32 v1, v13
	v_mad_u64_u32 v[6:7], s[28:29], v3, 24, v[1:2]
	v_mov_b32_e32 v13, v6
	flat_load_dword v1, v[12:13]
	s_waitcnt vmcnt(0) lgkmcnt(0)
	v_cmp_ne_u32_e32 vcc, 1, v1
	v_cmp_eq_u32_e64 s[28:29], 1, v1
	s_and_saveexec_b64 s[30:31], s[28:29]
	s_cbranch_execz .LBB4_2328
; %bb.2327:                             ;   in Loop: Header=BB4_2308 Depth=3
	flat_load_dword v10, v[12:13] offset:4 glc
	s_waitcnt vmcnt(0) lgkmcnt(0)
	v_ashrrev_i32_e32 v11, 31, v10
.LBB4_2328:                             ;   in Loop: Header=BB4_2308 Depth=3
	s_or_b64 exec, exec, s[30:31]
	s_orn2_b64 s[28:29], vcc, exec
.LBB4_2329:                             ;   in Loop: Header=BB4_2308 Depth=3
	s_or_b64 exec, exec, s[94:95]
	s_and_saveexec_b64 s[94:95], s[28:29]
	s_cbranch_execz .LBB4_2331
; %bb.2330:                             ;   in Loop: Header=BB4_2308 Depth=3
	buffer_load_dword v7, off, s[0:3], s33 offset:116 ; 4-byte Folded Reload
	buffer_load_dword v6, off, s[0:3], s33 offset:136 ; 4-byte Folded Reload
	s_waitcnt vmcnt(0)
	v_mul_lo_u32 v1, v3, v7
	v_mul_lo_u32 v6, v5, v6
	v_mad_u64_u32 v[10:11], s[28:29], v5, v7, 0
	v_add3_u32 v11, v11, v6, v1
.LBB4_2331:                             ;   in Loop: Header=BB4_2308 Depth=3
	s_or_b64 exec, exec, s[94:95]
	v_cmp_eq_u32_e32 vcc, 0, v2
	v_mov_b32_e32 v1, 0xc8
	v_mov_b32_e32 v2, 0x90
	v_cndmask_b32_e32 v5, v1, v2, vcc
	buffer_load_dword v1, off, s[0:3], s33 offset:76 ; 4-byte Folded Reload
	buffer_load_dword v2, off, s[0:3], s33 offset:80 ; 4-byte Folded Reload
	v_add_u32_e32 v5, v0, v5
	s_waitcnt vmcnt(0)
	v_add_co_u32_e32 v1, vcc, v1, v10
	v_addc_co_u32_e32 v2, vcc, v2, v11, vcc
	ds_write_b64 v5, v[1:2] offset:584
	v_and_b32_e32 v1, 0x2000, v4
	v_cmp_ne_u32_e32 vcc, 0, v1
	s_and_saveexec_b64 s[28:29], vcc
	s_cbranch_execz .LBB4_2333
; %bb.2332:                             ;   in Loop: Header=BB4_2308 Depth=3
	ds_read_b64 v[1:2], v0 offset:872
	s_waitcnt lgkmcnt(0)
	v_add_co_u32_e32 v1, vcc, 1, v1
	v_addc_co_u32_e32 v2, vcc, 0, v2, vcc
	ds_write_b64 v0, v[1:2] offset:872
.LBB4_2333:                             ;   in Loop: Header=BB4_2308 Depth=3
	s_or_b64 exec, exec, s[28:29]
	buffer_store_dword v8, off, s[0:3], s33 offset:56 ; 4-byte Folded Spill
	s_nop 0
	buffer_store_dword v9, off, s[0:3], s33 offset:60 ; 4-byte Folded Spill
.LBB4_2334:                             ;   in Loop: Header=BB4_2308 Depth=3
	s_or_b64 exec, exec, s[92:93]
	s_xor_b64 s[28:29], s[90:91], -1
	s_and_b64 s[28:29], exec, s[28:29]
	s_or_b64 s[42:43], s[28:29], s[42:43]
	s_and_saveexec_b64 s[28:29], s[10:11]
	s_cbranch_execz .LBB4_2353
; %bb.2335:                             ;   in Loop: Header=BB4_2308 Depth=3
	s_and_saveexec_b64 s[44:45], s[58:59]
	s_xor_b64 s[90:91], exec, s[44:45]
	s_cbranch_execz .LBB4_2350
; %bb.2336:                             ;   in Loop: Header=BB4_2308 Depth=3
	s_and_saveexec_b64 s[92:93], s[16:17]
	s_cbranch_execz .LBB4_2349
; %bb.2337:                             ;   in Loop: Header=BB4_2308 Depth=3
	s_mov_b64 s[30:31], exec
	v_mbcnt_lo_u32_b32 v1, s30, 0
	v_mbcnt_hi_u32_b32 v1, s31, v1
	v_cmp_eq_u32_e32 vcc, 0, v1
	s_waitcnt vmcnt(0) lgkmcnt(0)
	buffer_wbinvl1_vol
	s_and_saveexec_b64 s[94:95], vcc
	s_cbranch_execz .LBB4_2339
; %bb.2338:                             ;   in Loop: Header=BB4_2308 Depth=3
	s_bcnt1_i32_b64 s44, s[30:31]
	v_mov_b32_e32 v2, s44
	ds_add_u64 v0, v[2:3]
	s_trap 2
.LBB4_2339:                             ;   in Loop: Header=BB4_2308 Depth=3
	s_or_b64 exec, exec, s[94:95]
	s_trap 2
	ds_read_b64 v[1:2], v0
	s_waitcnt lgkmcnt(0)
	v_add_co_u32_e32 v38, vcc, v38, v29
	v_addc_co_u32_e32 v39, vcc, 0, v39, vcc
	v_cmp_lt_u64_e32 vcc, v[1:2], v[38:39]
	s_and_saveexec_b64 s[94:95], vcc
	s_cbranch_execz .LBB4_2348
; %bb.2340:                             ;   in Loop: Header=BB4_2308 Depth=3
	s_mov_b32 s44, 0
	s_mov_b64 s[30:31], 0
                                        ; implicit-def: $sgpr34_sgpr35
                                        ; implicit-def: $sgpr36_sgpr37
	s_branch .LBB4_2342
.LBB4_2341:                             ;   in Loop: Header=BB4_2342 Depth=4
	s_or_b64 exec, exec, s[48:49]
	s_and_b64 vcc, exec, vcc
	s_or_b64 s[30:31], vcc, s[30:31]
	s_andn2_b64 vcc, s[34:35], exec
	s_and_b64 s[34:35], s[36:37], exec
	s_or_b64 s[34:35], vcc, s[34:35]
	s_andn2_b64 exec, exec, s[30:31]
	s_cbranch_execz .LBB4_2346
.LBB4_2342:                             ;   Parent Loop BB4_47 Depth=1
                                        ;     Parent Loop BB4_271 Depth=2
                                        ;       Parent Loop BB4_2308 Depth=3
                                        ; =>      This Inner Loop Header: Depth=4
	s_add_i32 s44, s44, 1
	s_cmpk_lg_i32 s44, 0x2710
	s_cselect_b64 s[38:39], -1, 0
	s_and_b64 vcc, exec, s[38:39]
	s_cbranch_vccz .LBB4_2344
; %bb.2343:                             ;   in Loop: Header=BB4_2342 Depth=4
	s_mov_b64 vcc, -1
	s_or_b64 s[36:37], s[36:37], exec
	s_and_saveexec_b64 s[48:49], s[38:39]
	s_cbranch_execz .LBB4_2341
	s_branch .LBB4_2345
.LBB4_2344:                             ;   in Loop: Header=BB4_2342 Depth=4
	s_trap 2
	ds_read_b64 v[1:2], v0
	s_andn2_b64 s[38:39], s[38:39], exec
	s_mov_b32 s44, 0
	s_waitcnt lgkmcnt(0)
	flat_load_dword v1, v[1:2] glc
	s_waitcnt vmcnt(0) lgkmcnt(0)
	buffer_wbinvl1_vol
	v_cmp_eq_u32_e32 vcc, 0, v1
	s_and_b64 vcc, vcc, exec
	s_or_b64 s[38:39], s[38:39], vcc
	s_mov_b64 vcc, -1
	s_or_b64 s[36:37], s[36:37], exec
	s_and_saveexec_b64 s[48:49], s[38:39]
	s_cbranch_execz .LBB4_2341
.LBB4_2345:                             ;   in Loop: Header=BB4_2342 Depth=4
	s_sleep 1
	s_trap 2
	ds_read_b64 v[1:2], v0
	s_waitcnt lgkmcnt(0)
	s_andn2_b64 s[36:37], s[36:37], exec
	v_cmp_ge_u64_e32 vcc, v[1:2], v[38:39]
	s_orn2_b64 vcc, vcc, exec
	s_branch .LBB4_2341
.LBB4_2346:                             ;   in Loop: Header=BB4_2308 Depth=3
	s_or_b64 exec, exec, s[30:31]
	s_and_saveexec_b64 s[44:45], s[34:35]
	s_xor_b64 s[44:45], exec, s[44:45]
	s_cbranch_execz .LBB4_2348
; %bb.2347:                             ;   in Loop: Header=BB4_2308 Depth=3
	v_mov_b32_e32 v1, 1
	ds_write_b32 v0, v1
	s_trap 2
.LBB4_2348:                             ;   in Loop: Header=BB4_2308 Depth=3
	s_or_b64 exec, exec, s[94:95]
	;;#ASMSTART
	s_wakeup
	;;#ASMEND
.LBB4_2349:                             ;   in Loop: Header=BB4_2308 Depth=3
	s_or_b64 exec, exec, s[92:93]
.LBB4_2350:                             ;   in Loop: Header=BB4_2308 Depth=3
	s_andn2_saveexec_b64 s[90:91], s[90:91]
	s_cbranch_execz .LBB4_2352
; %bb.2351:                             ;   in Loop: Header=BB4_2308 Depth=3
	s_waitcnt vmcnt(0) lgkmcnt(0)
	buffer_wbinvl1_vol
	s_barrier
.LBB4_2352:                             ;   in Loop: Header=BB4_2308 Depth=3
	s_or_b64 exec, exec, s[90:91]
.LBB4_2353:                             ;   in Loop: Header=BB4_2308 Depth=3
	s_or_b64 exec, exec, s[28:29]
                                        ; implicit-def: $vgpr2
	s_and_saveexec_b64 s[28:29], s[76:77]
	s_xor_b64 s[28:29], exec, s[28:29]
	s_cbranch_execz .LBB4_2365
; %bb.2354:                             ;   in Loop: Header=BB4_2308 Depth=3
	s_and_saveexec_b64 s[44:45], s[58:59]
	s_xor_b64 s[90:91], exec, s[44:45]
	s_cbranch_execz .LBB4_2370
; %bb.2355:                             ;   in Loop: Header=BB4_2308 Depth=3
	s_and_saveexec_b64 s[92:93], s[16:17]
	s_cbranch_execz .LBB4_2369
; %bb.2356:                             ;   in Loop: Header=BB4_2308 Depth=3
	s_mov_b64 s[30:31], exec
	v_mbcnt_lo_u32_b32 v1, s30, 0
	v_mbcnt_hi_u32_b32 v1, s31, v1
	v_cmp_eq_u32_e32 vcc, 0, v1
	;;#ASMSTART
	s_waitcnt lgkmcnt(0) vmcnt(0)
	;;#ASMEND
	s_and_saveexec_b64 s[94:95], vcc
	s_cbranch_execz .LBB4_2358
; %bb.2357:                             ;   in Loop: Header=BB4_2308 Depth=3
	s_bcnt1_i32_b64 s44, s[30:31]
	v_mov_b32_e32 v2, s44
	s_waitcnt lgkmcnt(0)
	ds_add_u64 v0, v[2:3]
	s_trap 2
.LBB4_2358:                             ;   in Loop: Header=BB4_2308 Depth=3
	s_or_b64 exec, exec, s[94:95]
	s_trap 2
	ds_read_b64 v[1:2], v0
	s_waitcnt lgkmcnt(0)
	v_add_co_u32_e32 v38, vcc, v38, v29
	v_addc_co_u32_e32 v39, vcc, 0, v39, vcc
	v_cmp_lt_u64_e32 vcc, v[1:2], v[38:39]
	s_and_saveexec_b64 s[94:95], vcc
	s_cbranch_execz .LBB4_2368
; %bb.2359:                             ;   in Loop: Header=BB4_2308 Depth=3
	s_mov_b32 s44, 0
	s_mov_b64 s[30:31], 0
                                        ; implicit-def: $sgpr34_sgpr35
                                        ; implicit-def: $sgpr36_sgpr37
	s_branch .LBB4_2361
.LBB4_2360:                             ;   in Loop: Header=BB4_2361 Depth=4
	s_or_b64 exec, exec, s[48:49]
	s_and_b64 vcc, exec, vcc
	s_or_b64 s[30:31], vcc, s[30:31]
	s_andn2_b64 vcc, s[34:35], exec
	s_and_b64 s[34:35], s[36:37], exec
	s_or_b64 s[34:35], vcc, s[34:35]
	s_andn2_b64 exec, exec, s[30:31]
	s_cbranch_execz .LBB4_2366
.LBB4_2361:                             ;   Parent Loop BB4_47 Depth=1
                                        ;     Parent Loop BB4_271 Depth=2
                                        ;       Parent Loop BB4_2308 Depth=3
                                        ; =>      This Inner Loop Header: Depth=4
	s_add_i32 s44, s44, 1
	s_cmpk_lg_i32 s44, 0x2710
	s_cselect_b64 s[38:39], -1, 0
	s_and_b64 vcc, exec, s[38:39]
	s_cbranch_vccz .LBB4_2363
; %bb.2362:                             ;   in Loop: Header=BB4_2361 Depth=4
	s_mov_b64 vcc, -1
	s_or_b64 s[36:37], s[36:37], exec
	s_and_saveexec_b64 s[48:49], s[38:39]
	s_cbranch_execz .LBB4_2360
	s_branch .LBB4_2364
.LBB4_2363:                             ;   in Loop: Header=BB4_2361 Depth=4
	s_trap 2
	ds_read_b64 v[1:2], v0
	s_andn2_b64 s[38:39], s[38:39], exec
	s_mov_b32 s44, 0
	s_waitcnt vmcnt(0) lgkmcnt(0)
	flat_load_dword v1, v[1:2] glc
	s_waitcnt vmcnt(0) lgkmcnt(0)
	buffer_wbinvl1_vol
	v_cmp_eq_u32_e32 vcc, 0, v1
	s_and_b64 vcc, vcc, exec
	s_or_b64 s[38:39], s[38:39], vcc
	s_mov_b64 vcc, -1
	s_or_b64 s[36:37], s[36:37], exec
	s_and_saveexec_b64 s[48:49], s[38:39]
	s_cbranch_execz .LBB4_2360
.LBB4_2364:                             ;   in Loop: Header=BB4_2361 Depth=4
	s_sleep 1
	s_trap 2
	ds_read_b64 v[1:2], v0
	s_waitcnt lgkmcnt(0)
	s_andn2_b64 s[36:37], s[36:37], exec
	v_cmp_ge_u64_e32 vcc, v[1:2], v[38:39]
	s_orn2_b64 vcc, vcc, exec
	s_branch .LBB4_2360
.LBB4_2365:                             ;   in Loop: Header=BB4_2308 Depth=3
	s_andn2_saveexec_b64 s[28:29], s[28:29]
	s_cbranch_execnz .LBB4_2373
	s_branch .LBB4_2376
.LBB4_2366:                             ;   in Loop: Header=BB4_2308 Depth=3
	s_or_b64 exec, exec, s[30:31]
	s_and_saveexec_b64 s[44:45], s[34:35]
	s_xor_b64 s[44:45], exec, s[44:45]
	s_cbranch_execz .LBB4_2368
; %bb.2367:                             ;   in Loop: Header=BB4_2308 Depth=3
	v_mov_b32_e32 v1, 1
	ds_write_b32 v0, v1
	s_trap 2
.LBB4_2368:                             ;   in Loop: Header=BB4_2308 Depth=3
	s_or_b64 exec, exec, s[94:95]
	;;#ASMSTART
	s_wakeup
	;;#ASMEND
.LBB4_2369:                             ;   in Loop: Header=BB4_2308 Depth=3
	s_or_b64 exec, exec, s[92:93]
.LBB4_2370:                             ;   in Loop: Header=BB4_2308 Depth=3
	s_andn2_saveexec_b64 s[90:91], s[90:91]
	s_cbranch_execz .LBB4_2372
; %bb.2371:                             ;   in Loop: Header=BB4_2308 Depth=3
	;;#ASMSTART
	s_waitcnt lgkmcnt(0) vmcnt(0)
	;;#ASMEND
	s_waitcnt vmcnt(0) lgkmcnt(0)
	s_barrier
.LBB4_2372:                             ;   in Loop: Header=BB4_2308 Depth=3
	s_or_b64 exec, exec, s[90:91]
	v_and_b32_e32 v2, 16, v4
	s_andn2_saveexec_b64 s[28:29], s[28:29]
	s_cbranch_execz .LBB4_2376
.LBB4_2373:                             ;   in Loop: Header=BB4_2308 Depth=3
	s_trap 2
	ds_read_b32 v1, v0
	v_cmp_lt_i32_e32 vcc, 0, v44
	v_and_b32_e32 v2, 16, v4
	s_waitcnt lgkmcnt(0)
	v_readfirstlane_b32 s44, v1
	s_cmp_eq_u32 s44, 0
	s_cselect_b64 s[44:45], -1, 0
	v_and_b32_e32 v1, 16, v4
	s_and_b64 s[44:45], vcc, s[44:45]
	v_cmp_ne_u32_e32 vcc, 0, v1
	s_and_b64 s[44:45], vcc, s[44:45]
	s_and_saveexec_b64 s[90:91], s[44:45]
	s_cbranch_execz .LBB4_2375
; %bb.2374:                             ;   in Loop: Header=BB4_2308 Depth=3
	v_mov_b32_e32 v2, 1
	s_waitcnt vmcnt(0)
	buffer_wbinvl1_vol
.LBB4_2375:                             ;   in Loop: Header=BB4_2308 Depth=3
	s_or_b64 exec, exec, s[90:91]
.LBB4_2376:                             ;   in Loop: Header=BB4_2308 Depth=3
	s_or_b64 exec, exec, s[28:29]
	v_cmp_ne_u32_e32 vcc, 0, v2
	s_xor_b64 s[28:29], s[12:13], -1
	s_and_b64 s[44:45], vcc, s[28:29]
	s_and_saveexec_b64 s[28:29], s[44:45]
	s_cbranch_execz .LBB4_2378
; %bb.2377:                             ;   in Loop: Header=BB4_2308 Depth=3
	buffer_load_dword v1, off, s[0:3], s33 offset:100 ; 4-byte Folded Reload
	buffer_load_dword v2, off, s[0:3], s33 offset:104 ; 4-byte Folded Reload
	v_mov_b32_e32 v5, 1
	s_waitcnt vmcnt(0)
	flat_store_dword v[1:2], v5
.LBB4_2378:                             ;   in Loop: Header=BB4_2308 Depth=3
	s_or_b64 exec, exec, s[28:29]
	v_and_b32_e32 v1, 48, v4
	v_cmp_ne_u32_e32 vcc, 0, v1
	s_and_saveexec_b64 s[28:29], vcc
	s_cbranch_execz .LBB4_2307
; %bb.2379:                             ;   in Loop: Header=BB4_2308 Depth=3
	buffer_load_dword v1, off, s[0:3], s33 offset:56 ; 4-byte Folded Reload
	buffer_load_dword v2, off, s[0:3], s33 offset:60 ; 4-byte Folded Reload
	s_waitcnt vmcnt(0)
	v_add_co_u32_e32 v1, vcc, 2, v1
	v_addc_co_u32_e32 v2, vcc, 0, v2, vcc
	buffer_store_dword v1, off, s[0:3], s33 offset:56 ; 4-byte Folded Spill
	s_nop 0
	buffer_store_dword v2, off, s[0:3], s33 offset:60 ; 4-byte Folded Spill
	flat_store_dwordx2 v[32:33], v[1:2]
	s_branch .LBB4_2307
.LBB4_2380:                             ;   in Loop: Header=BB4_47 Depth=1
	buffer_load_dword v41, off, s[0:3], s33 offset:172 ; 4-byte Folded Reload
	buffer_load_dword v47, off, s[0:3], s33 offset:108 ; 4-byte Folded Reload
.LBB4_2381:                             ;   in Loop: Header=BB4_47 Depth=1
	buffer_load_dword v5, off, s[0:3], s33 offset:220 ; 4-byte Folded Reload
	buffer_load_dword v6, off, s[0:3], s33 offset:224 ; 4-byte Folded Reload
	v_mov_b32_e32 v46, 0
	s_waitcnt vmcnt(0)
	v_mul_lo_u32 v2, v5, s67
	v_mul_lo_u32 v1, v6, s66
	v_mad_u64_u32 v[8:9], s[28:29], v5, s66, 0
	v_add3_u32 v9, v9, v2, v1
	buffer_load_dword v1, off, s[0:3], s33 offset:212 ; 4-byte Folded Reload
	buffer_load_dword v2, off, s[0:3], s33 offset:216 ; 4-byte Folded Reload
	s_waitcnt vmcnt(0)
	v_sub_co_u32_e32 v1, vcc, v1, v8
	v_subb_co_u32_e32 v2, vcc, v2, v9, vcc
	v_cmp_lt_i64_e32 vcc, v[5:6], v[1:2]
	v_mov_b32_e32 v2, 0
	v_cndmask_b32_e32 v1, v1, v5, vcc
	v_max_i32_e32 v22, 0, v1
	v_add_u32_e32 v5, 31, v22
	v_lshrrev_b32_e32 v5, 1, v5
	v_and_b32_e32 v5, 0x3ffffff0, v5
	v_cmp_lt_i32_e32 vcc, 0, v1
	v_max_i32_e32 v5, s86, v5
	s_and_b64 s[28:29], s[78:79], vcc
	buffer_store_dword v5, off, s[0:3], s33 offset:164 ; 4-byte Folded Spill
	s_nop 0
	buffer_store_dword v6, off, s[0:3], s33 offset:168 ; 4-byte Folded Spill
	s_and_saveexec_b64 s[90:91], s[28:29]
	s_cbranch_execz .LBB4_6338
; %bb.2382:                             ;   in Loop: Header=BB4_47 Depth=1
	buffer_load_dword v1, off, s[0:3], s33 offset:156 ; 4-byte Folded Reload
	s_mov_b32 s46, 1
	s_mov_b64 s[94:95], -1
	v_mov_b32_e32 v46, 0
	s_mov_b64 s[92:93], 0
	s_waitcnt vmcnt(0)
	v_add_co_u32_e32 v23, vcc, v8, v1
	buffer_load_dword v1, off, s[0:3], s33 offset:160 ; 4-byte Folded Reload
	s_waitcnt vmcnt(0)
	v_addc_co_u32_e32 v30, vcc, v9, v1, vcc
	buffer_store_dword v22, off, s[0:3], s33 offset:208 ; 4-byte Folded Spill
	buffer_store_dword v23, off, s[0:3], s33 offset:248 ; 4-byte Folded Spill
	;; [unrolled: 1-line block ×3, first 2 shown]
	s_branch .LBB4_2384
.LBB4_2383:                             ;   in Loop: Header=BB4_2384 Depth=2
	s_or_b64 exec, exec, s[28:29]
	buffer_load_dword v1, off, s[0:3], s33 offset:164 ; 4-byte Folded Reload
	buffer_load_dword v2, off, s[0:3], s33 offset:168 ; 4-byte Folded Reload
	s_xor_b64 s[28:29], s[94:95], -1
	s_mov_b64 s[94:95], 0
	s_waitcnt vmcnt(0)
	v_mov_b32_e32 v2, s46
	s_mov_b32 s46, 2
	v_add_u32_e32 v46, v1, v46
	v_cmp_ge_i32_e32 vcc, v46, v22
	s_or_b64 s[28:29], s[28:29], vcc
	s_and_b64 s[28:29], exec, s[28:29]
	s_or_b64 s[92:93], s[28:29], s[92:93]
	s_andn2_b64 exec, exec, s[92:93]
	s_cbranch_execz .LBB4_6337
.LBB4_2384:                             ;   Parent Loop BB4_47 Depth=1
                                        ; =>  This Loop Header: Depth=2
                                        ;       Child Loop BB4_2392 Depth 3
                                        ;       Child Loop BB4_2420 Depth 3
	;; [unrolled: 1-line block ×9, first 2 shown]
                                        ;         Child Loop BB4_3797 Depth 4
                                        ;       Child Loop BB4_3827 Depth 3
                                        ;       Child Loop BB4_4343 Depth 3
                                        ;         Child Loop BB4_4376 Depth 4
                                        ;       Child Loop BB4_6303 Depth 3
                                        ;       Child Loop BB4_6322 Depth 3
	s_and_saveexec_b64 s[28:29], s[4:5]
	s_cbranch_execz .LBB4_2386
; %bb.2385:                             ;   in Loop: Header=BB4_2384 Depth=2
	s_trap 2
	ds_read2_b64 v[5:8], v0 offset1:1
	s_waitcnt lgkmcnt(0)
	v_add_co_u32_e32 v1, vcc, v5, v23
	v_addc_co_u32_e32 v2, vcc, v6, v30, vcc
	v_ashrrev_i32_e32 v5, 31, v46
	v_add_co_u32_e32 v1, vcc, v1, v46
	v_addc_co_u32_e32 v2, vcc, v2, v5, vcc
	ds_write_b64 v0, v[1:2]
	v_add_co_u32_e32 v1, vcc, v7, v23
	v_addc_co_u32_e32 v2, vcc, v8, v30, vcc
	v_add_co_u32_e32 v1, vcc, v1, v46
	v_addc_co_u32_e32 v2, vcc, v2, v5, vcc
	ds_write_b64 v0, v[1:2]
	ds_read_b64 v[1:2], v0
	s_waitcnt lgkmcnt(0)
	v_add_co_u32_e32 v6, vcc, v1, v23
	v_addc_co_u32_e32 v7, vcc, v2, v30, vcc
	v_add_co_u32_e32 v6, vcc, v6, v46
	v_addc_co_u32_e32 v5, vcc, v7, v5, vcc
	v_cmp_ne_u64_e32 vcc, 0, v[1:2]
	v_cndmask_b32_e32 v2, 0, v5, vcc
	v_cndmask_b32_e32 v1, 0, v6, vcc
	ds_write_b64 v0, v[1:2]
.LBB4_2386:                             ;   in Loop: Header=BB4_2384 Depth=2
	s_or_b64 exec, exec, s[28:29]
	buffer_load_dword v5, off, s[0:3], s33 offset:164 ; 4-byte Folded Reload
	buffer_load_dword v6, off, s[0:3], s33 offset:168 ; 4-byte Folded Reload
	v_sub_u32_e32 v1, v22, v46
	s_waitcnt vmcnt(0)
	v_min_i32_e32 v5, v5, v1
	v_and_b32_e32 v1, 12, v4
	v_cmp_ne_u32_e32 vcc, 0, v1
	buffer_store_dword v5, off, s[0:3], s33 offset:164 ; 4-byte Folded Spill
	s_nop 0
	buffer_store_dword v6, off, s[0:3], s33 offset:168 ; 4-byte Folded Spill
	s_and_saveexec_b64 s[40:41], vcc
	s_cbranch_execz .LBB4_2412
; %bb.2387:                             ;   in Loop: Header=BB4_2384 Depth=2
	buffer_load_dword v8, off, s[0:3], s33 offset:56 ; 4-byte Folded Reload
	buffer_load_dword v9, off, s[0:3], s33 offset:60 ; 4-byte Folded Reload
	v_and_b32_e32 v2, 8, v4
	s_waitcnt lgkmcnt(0)
	v_add_co_u32_e32 v5, vcc, v48, v2
	v_addc_co_u32_e32 v6, vcc, 0, v49, vcc
	s_waitcnt vmcnt(1)
	v_add_co_u32_e32 v8, vcc, 2, v8
	s_waitcnt vmcnt(0)
	v_addc_co_u32_e32 v9, vcc, 0, v9, vcc
	v_cmp_lt_u64_e32 vcc, v[5:6], v[8:9]
	s_and_saveexec_b64 s[42:43], vcc
	s_cbranch_execz .LBB4_2399
; %bb.2388:                             ;   in Loop: Header=BB4_2384 Depth=2
	v_and_b32_e32 v1, 64, v4
	s_mov_b32 s47, 0
	v_cmp_eq_u32_e32 vcc, 0, v1
	s_mov_b64 s[30:31], 0
                                        ; implicit-def: $sgpr34_sgpr35
                                        ; implicit-def: $sgpr36_sgpr37
                                        ; implicit-def: $sgpr38_sgpr39
	s_branch .LBB4_2392
.LBB4_2389:                             ;   in Loop: Header=BB4_2392 Depth=3
	s_waitcnt vmcnt(0) lgkmcnt(0)
	v_add_co_u32_e64 v6, s[28:29], v48, v2
	v_addc_co_u32_e64 v7, s[28:29], 0, v49, s[28:29]
	v_cmp_ge_u64_e64 s[28:29], v[6:7], v[8:9]
	s_or_b64 s[52:53], s[52:53], exec
	s_orn2_b64 s[50:51], s[28:29], exec
.LBB4_2390:                             ;   in Loop: Header=BB4_2392 Depth=3
	s_or_b64 exec, exec, s[64:65]
	s_andn2_b64 s[28:29], s[38:39], exec
	s_and_b64 s[44:45], s[52:53], exec
	s_or_b64 s[38:39], s[28:29], s[44:45]
	s_andn2_b64 s[28:29], s[36:37], exec
	s_and_b64 s[44:45], s[50:51], exec
	s_or_b64 s[36:37], s[28:29], s[44:45]
.LBB4_2391:                             ;   in Loop: Header=BB4_2392 Depth=3
	s_or_b64 exec, exec, s[48:49]
	s_and_b64 s[28:29], exec, s[36:37]
	s_or_b64 s[30:31], s[28:29], s[30:31]
	s_andn2_b64 s[28:29], s[34:35], exec
	s_and_b64 s[44:45], s[38:39], exec
	s_or_b64 s[34:35], s[28:29], s[44:45]
	s_andn2_b64 exec, exec, s[30:31]
	s_cbranch_execz .LBB4_2396
.LBB4_2392:                             ;   Parent Loop BB4_47 Depth=1
                                        ;     Parent Loop BB4_2384 Depth=2
                                        ; =>    This Inner Loop Header: Depth=3
	s_sleep 1
	s_waitcnt vmcnt(0) lgkmcnt(0)
	flat_load_dwordx2 v[48:49], v[32:33] glc
	s_or_b64 s[38:39], s[38:39], exec
	s_or_b64 s[36:37], s[36:37], exec
                                        ; implicit-def: $vgpr5
	s_and_saveexec_b64 s[48:49], vcc
	s_cbranch_execz .LBB4_2391
; %bb.2393:                             ;   in Loop: Header=BB4_2392 Depth=3
	s_cmpk_lt_i32 s47, 0x270f
	s_cselect_b64 s[54:55], -1, 0
	s_cmpk_gt_i32 s47, 0x270e
	s_mov_b64 s[50:51], -1
	s_cbranch_scc0 .LBB4_2395
; %bb.2394:                             ;   in Loop: Header=BB4_2392 Depth=3
	s_trap 2
	ds_read_b64 v[5:6], v0
	s_andn2_b64 s[44:45], s[54:55], exec
	s_mov_b32 s47, 0
	s_mov_b64 s[52:53], 0
	s_waitcnt vmcnt(0) lgkmcnt(0)
	flat_load_dword v5, v[5:6] glc
	s_waitcnt vmcnt(0) lgkmcnt(0)
	buffer_wbinvl1_vol
	v_cmp_eq_u32_e64 s[28:29], 0, v5
	s_and_b64 s[28:29], s[28:29], exec
	s_or_b64 s[54:55], s[44:45], s[28:29]
	s_and_saveexec_b64 s[64:65], s[54:55]
	s_cbranch_execz .LBB4_2390
	s_branch .LBB4_2389
.LBB4_2395:                             ;   in Loop: Header=BB4_2392 Depth=3
	s_add_i32 s47, s47, 1
	s_mov_b64 s[52:53], -1
                                        ; implicit-def: $vgpr5
	s_and_saveexec_b64 s[64:65], s[54:55]
	s_cbranch_execz .LBB4_2390
	s_branch .LBB4_2389
.LBB4_2396:                             ;   in Loop: Header=BB4_2384 Depth=2
	s_or_b64 exec, exec, s[30:31]
	s_xor_b64 s[28:29], s[34:35], -1
	s_and_saveexec_b64 s[44:45], s[28:29]
	s_xor_b64 s[28:29], exec, s[44:45]
	s_cbranch_execz .LBB4_2398
; %bb.2397:                             ;   in Loop: Header=BB4_2384 Depth=2
	v_or_b32_e32 v4, 64, v4
	s_waitcnt lgkmcnt(0)
	ds_write_b32 v0, v5
	s_trap 2
.LBB4_2398:                             ;   in Loop: Header=BB4_2384 Depth=2
	s_or_b64 exec, exec, s[28:29]
.LBB4_2399:                             ;   in Loop: Header=BB4_2384 Depth=2
	s_or_b64 exec, exec, s[42:43]
	v_and_b32_e32 v1, 0x108, v4
	v_cmp_ne_u32_e32 vcc, s69, v1
	;;#ASMSTART
	s_wakeup
	;;#ASMEND
	s_and_saveexec_b64 s[28:29], vcc
	s_xor_b64 s[28:29], exec, s[28:29]
                                        ; implicit-def: $vgpr5
	s_cbranch_execz .LBB4_2401
; %bb.2400:                             ;   in Loop: Header=BB4_2384 Depth=2
	buffer_load_dword v5, off, s[0:3], s33 offset:56 ; 4-byte Folded Reload
	buffer_load_dword v6, off, s[0:3], s33 offset:60 ; 4-byte Folded Reload
                                        ; implicit-def: $vgpr6_vgpr7
                                        ; kill: killed $vgpr6_vgpr7
	s_waitcnt vmcnt(0)
	v_and_b32_e32 v5, 7, v5
.LBB4_2401:                             ;   in Loop: Header=BB4_2384 Depth=2
	s_andn2_saveexec_b64 s[28:29], s[28:29]
	s_cbranch_execz .LBB4_2403
; %bb.2402:                             ;   in Loop: Header=BB4_2384 Depth=2
	buffer_load_dword v5, off, s[0:3], s33 offset:56 ; 4-byte Folded Reload
	buffer_load_dword v6, off, s[0:3], s33 offset:60 ; 4-byte Folded Reload
	;; [unrolled: 1-line block ×6, first 2 shown]
	s_waitcnt vmcnt(0)
	v_and_b32_e32 v5, 7, v5
	v_mad_u64_u32 v[6:7], s[42:43], v5, 24, v[10:11]
	buffer_load_dword v10, off, s[0:3], s33 offset:164 ; 4-byte Folded Reload
	buffer_load_dword v11, off, s[0:3], s33 offset:168 ; 4-byte Folded Reload
	s_waitcnt vmcnt(0)
	v_ashrrev_i32_e32 v11, 31, v10
	v_mov_b32_e32 v1, v10
	buffer_store_dword v1, off, s[0:3], s33 offset:164 ; 4-byte Folded Spill
	s_nop 0
	buffer_store_dword v2, off, s[0:3], s33 offset:168 ; 4-byte Folded Spill
	flat_store_dwordx2 v[6:7], v[10:11] offset:8
.LBB4_2403:                             ;   in Loop: Header=BB4_2384 Depth=2
	s_or_b64 exec, exec, s[28:29]
	v_and_b32_e32 v1, 0x100, v4
	v_cmp_ne_u32_e32 vcc, 0, v1
	s_mov_b64 s[28:29], -1
                                        ; implicit-def: $vgpr10_vgpr11
	s_and_saveexec_b64 s[42:43], vcc
	s_cbranch_execz .LBB4_2407
; %bb.2404:                             ;   in Loop: Header=BB4_2384 Depth=2
	buffer_load_dword v10, off, s[0:3], s33 offset:84 ; 4-byte Folded Reload
	buffer_load_dword v11, off, s[0:3], s33 offset:88 ; 4-byte Folded Reload
	buffer_load_dword v12, off, s[0:3], s33 offset:92 ; 4-byte Folded Reload
	buffer_load_dword v13, off, s[0:3], s33 offset:96 ; 4-byte Folded Reload
	s_waitcnt vmcnt(0)
	v_mad_u64_u32 v[12:13], s[28:29], v5, 24, v[10:11]
                                        ; implicit-def: $vgpr10_vgpr11
	v_mov_b32_e32 v1, v13
	v_mad_u64_u32 v[6:7], s[28:29], v3, 24, v[1:2]
	v_mov_b32_e32 v13, v6
	flat_load_dword v1, v[12:13]
	s_waitcnt vmcnt(0) lgkmcnt(0)
	v_cmp_ne_u32_e32 vcc, 1, v1
	v_cmp_eq_u32_e64 s[28:29], 1, v1
	s_and_saveexec_b64 s[30:31], s[28:29]
	s_cbranch_execz .LBB4_2406
; %bb.2405:                             ;   in Loop: Header=BB4_2384 Depth=2
	flat_load_dword v10, v[12:13] offset:4 glc
	s_waitcnt vmcnt(0) lgkmcnt(0)
	v_ashrrev_i32_e32 v11, 31, v10
.LBB4_2406:                             ;   in Loop: Header=BB4_2384 Depth=2
	s_or_b64 exec, exec, s[30:31]
	s_orn2_b64 s[28:29], vcc, exec
.LBB4_2407:                             ;   in Loop: Header=BB4_2384 Depth=2
	s_or_b64 exec, exec, s[42:43]
	s_and_saveexec_b64 s[42:43], s[28:29]
	s_cbranch_execz .LBB4_2409
; %bb.2408:                             ;   in Loop: Header=BB4_2384 Depth=2
	buffer_load_dword v7, off, s[0:3], s33 offset:116 ; 4-byte Folded Reload
	buffer_load_dword v6, off, s[0:3], s33 offset:136 ; 4-byte Folded Reload
	s_waitcnt vmcnt(0)
	v_mul_lo_u32 v1, v3, v7
	v_mul_lo_u32 v6, v5, v6
	v_mad_u64_u32 v[10:11], s[28:29], v5, v7, 0
	v_add3_u32 v11, v11, v6, v1
.LBB4_2409:                             ;   in Loop: Header=BB4_2384 Depth=2
	s_or_b64 exec, exec, s[42:43]
	v_cmp_eq_u32_e32 vcc, 0, v2
	v_mov_b32_e32 v1, 0x90
	v_mov_b32_e32 v2, 0xd0
	v_cndmask_b32_e32 v5, v2, v1, vcc
	buffer_load_dword v1, off, s[0:3], s33 offset:76 ; 4-byte Folded Reload
	buffer_load_dword v2, off, s[0:3], s33 offset:80 ; 4-byte Folded Reload
	v_add_u32_e32 v5, v0, v5
	s_waitcnt vmcnt(0)
	v_add_co_u32_e32 v1, vcc, v1, v10
	v_addc_co_u32_e32 v2, vcc, v2, v11, vcc
	ds_write_b64 v5, v[1:2] offset:584
	v_and_b32_e32 v1, 0x2000, v4
	v_cmp_ne_u32_e32 vcc, 0, v1
	s_and_saveexec_b64 s[28:29], vcc
	s_cbranch_execz .LBB4_2411
; %bb.2410:                             ;   in Loop: Header=BB4_2384 Depth=2
	ds_read_b64 v[1:2], v0 offset:872
	s_waitcnt lgkmcnt(0)
	v_add_co_u32_e32 v1, vcc, 1, v1
	v_addc_co_u32_e32 v2, vcc, 0, v2, vcc
	ds_write_b64 v0, v[1:2] offset:872
.LBB4_2411:                             ;   in Loop: Header=BB4_2384 Depth=2
	s_or_b64 exec, exec, s[28:29]
	buffer_store_dword v8, off, s[0:3], s33 offset:56 ; 4-byte Folded Spill
	s_nop 0
	buffer_store_dword v9, off, s[0:3], s33 offset:60 ; 4-byte Folded Spill
.LBB4_2412:                             ;   in Loop: Header=BB4_2384 Depth=2
	s_or_b64 exec, exec, s[40:41]
	s_and_saveexec_b64 s[28:29], s[10:11]
	s_cbranch_execz .LBB4_2431
; %bb.2413:                             ;   in Loop: Header=BB4_2384 Depth=2
	s_and_saveexec_b64 s[40:41], s[58:59]
	s_xor_b64 s[40:41], exec, s[40:41]
	s_cbranch_execz .LBB4_2428
; %bb.2414:                             ;   in Loop: Header=BB4_2384 Depth=2
	s_and_saveexec_b64 s[42:43], s[16:17]
	s_cbranch_execz .LBB4_2427
; %bb.2415:                             ;   in Loop: Header=BB4_2384 Depth=2
	s_mov_b64 s[34:35], exec
	v_mbcnt_lo_u32_b32 v1, s34, 0
	v_mbcnt_hi_u32_b32 v1, s35, v1
	v_cmp_eq_u32_e32 vcc, 0, v1
	s_waitcnt vmcnt(0) lgkmcnt(0)
	buffer_wbinvl1_vol
	s_and_saveexec_b64 s[30:31], vcc
	s_cbranch_execz .LBB4_2417
; %bb.2416:                             ;   in Loop: Header=BB4_2384 Depth=2
	s_bcnt1_i32_b64 s44, s[34:35]
	v_mov_b32_e32 v2, s44
	ds_add_u64 v0, v[2:3]
	s_trap 2
.LBB4_2417:                             ;   in Loop: Header=BB4_2384 Depth=2
	s_or_b64 exec, exec, s[30:31]
	s_trap 2
	ds_read_b64 v[1:2], v0
	s_waitcnt lgkmcnt(0)
	v_add_co_u32_e32 v38, vcc, v38, v29
	v_addc_co_u32_e32 v39, vcc, 0, v39, vcc
	v_cmp_lt_u64_e32 vcc, v[1:2], v[38:39]
	s_and_saveexec_b64 s[30:31], vcc
	s_cbranch_execz .LBB4_2426
; %bb.2418:                             ;   in Loop: Header=BB4_2384 Depth=2
	s_mov_b32 s44, 0
	s_mov_b64 s[34:35], 0
                                        ; implicit-def: $sgpr36_sgpr37
                                        ; implicit-def: $sgpr38_sgpr39
	s_branch .LBB4_2420
.LBB4_2419:                             ;   in Loop: Header=BB4_2420 Depth=3
	s_or_b64 exec, exec, s[50:51]
	s_and_b64 vcc, exec, vcc
	s_or_b64 s[34:35], vcc, s[34:35]
	s_andn2_b64 vcc, s[36:37], exec
	s_and_b64 s[36:37], s[38:39], exec
	s_or_b64 s[36:37], vcc, s[36:37]
	s_andn2_b64 exec, exec, s[34:35]
	s_cbranch_execz .LBB4_2424
.LBB4_2420:                             ;   Parent Loop BB4_47 Depth=1
                                        ;     Parent Loop BB4_2384 Depth=2
                                        ; =>    This Inner Loop Header: Depth=3
	s_add_i32 s44, s44, 1
	s_cmpk_lg_i32 s44, 0x2710
	s_cselect_b64 s[48:49], -1, 0
	s_and_b64 vcc, exec, s[48:49]
	s_cbranch_vccz .LBB4_2422
; %bb.2421:                             ;   in Loop: Header=BB4_2420 Depth=3
	s_mov_b64 vcc, -1
	s_or_b64 s[38:39], s[38:39], exec
	s_and_saveexec_b64 s[50:51], s[48:49]
	s_cbranch_execz .LBB4_2419
	s_branch .LBB4_2423
.LBB4_2422:                             ;   in Loop: Header=BB4_2420 Depth=3
	s_trap 2
	ds_read_b64 v[1:2], v0
	s_andn2_b64 s[48:49], s[48:49], exec
	s_mov_b32 s44, 0
	s_waitcnt lgkmcnt(0)
	flat_load_dword v1, v[1:2] glc
	s_waitcnt vmcnt(0) lgkmcnt(0)
	buffer_wbinvl1_vol
	v_cmp_eq_u32_e32 vcc, 0, v1
	s_and_b64 vcc, vcc, exec
	s_or_b64 s[48:49], s[48:49], vcc
	s_mov_b64 vcc, -1
	s_or_b64 s[38:39], s[38:39], exec
	s_and_saveexec_b64 s[50:51], s[48:49]
	s_cbranch_execz .LBB4_2419
.LBB4_2423:                             ;   in Loop: Header=BB4_2420 Depth=3
	s_sleep 1
	s_trap 2
	ds_read_b64 v[1:2], v0
	s_waitcnt lgkmcnt(0)
	s_andn2_b64 s[38:39], s[38:39], exec
	v_cmp_ge_u64_e32 vcc, v[1:2], v[38:39]
	s_orn2_b64 vcc, vcc, exec
	s_branch .LBB4_2419
.LBB4_2424:                             ;   in Loop: Header=BB4_2384 Depth=2
	s_or_b64 exec, exec, s[34:35]
	s_and_saveexec_b64 s[44:45], s[36:37]
	s_xor_b64 s[44:45], exec, s[44:45]
	s_cbranch_execz .LBB4_2426
; %bb.2425:                             ;   in Loop: Header=BB4_2384 Depth=2
	v_mov_b32_e32 v1, 1
	ds_write_b32 v0, v1
	s_trap 2
.LBB4_2426:                             ;   in Loop: Header=BB4_2384 Depth=2
	s_or_b64 exec, exec, s[30:31]
	;;#ASMSTART
	s_wakeup
	;;#ASMEND
.LBB4_2427:                             ;   in Loop: Header=BB4_2384 Depth=2
	s_or_b64 exec, exec, s[42:43]
.LBB4_2428:                             ;   in Loop: Header=BB4_2384 Depth=2
	s_andn2_saveexec_b64 s[40:41], s[40:41]
	s_cbranch_execz .LBB4_2430
; %bb.2429:                             ;   in Loop: Header=BB4_2384 Depth=2
	s_waitcnt vmcnt(0) lgkmcnt(0)
	buffer_wbinvl1_vol
	s_barrier
.LBB4_2430:                             ;   in Loop: Header=BB4_2384 Depth=2
	s_or_b64 exec, exec, s[40:41]
.LBB4_2431:                             ;   in Loop: Header=BB4_2384 Depth=2
	s_or_b64 exec, exec, s[28:29]
	s_trap 2
	ds_read_b32 v5, v0
	v_and_b32_e32 v1, 0x4000, v4
	v_cmp_ne_u32_e32 vcc, 0, v1
	s_xor_b64 s[28:29], s[6:7], -1
	s_and_b64 s[40:41], s[28:29], vcc
	s_and_saveexec_b64 s[28:29], s[40:41]
	s_cbranch_execz .LBB4_2450
; %bb.2432:                             ;   in Loop: Header=BB4_2384 Depth=2
	s_and_saveexec_b64 s[40:41], s[58:59]
	s_xor_b64 s[40:41], exec, s[40:41]
	s_cbranch_execz .LBB4_2447
; %bb.2433:                             ;   in Loop: Header=BB4_2384 Depth=2
	s_and_saveexec_b64 s[42:43], s[16:17]
	s_cbranch_execz .LBB4_2446
; %bb.2434:                             ;   in Loop: Header=BB4_2384 Depth=2
	s_mov_b64 s[34:35], exec
	v_mbcnt_lo_u32_b32 v1, s34, 0
	v_mbcnt_hi_u32_b32 v1, s35, v1
	v_cmp_eq_u32_e32 vcc, 0, v1
	s_waitcnt vmcnt(0) lgkmcnt(0)
	buffer_wbinvl1_vol
	s_and_saveexec_b64 s[30:31], vcc
	s_cbranch_execz .LBB4_2436
; %bb.2435:                             ;   in Loop: Header=BB4_2384 Depth=2
	s_bcnt1_i32_b64 s44, s[34:35]
	v_mov_b32_e32 v2, s44
	ds_add_u64 v0, v[2:3]
	s_trap 2
.LBB4_2436:                             ;   in Loop: Header=BB4_2384 Depth=2
	s_or_b64 exec, exec, s[30:31]
	s_trap 2
	ds_read_b64 v[1:2], v0
	s_waitcnt lgkmcnt(0)
	v_add_co_u32_e32 v38, vcc, v38, v29
	v_addc_co_u32_e32 v39, vcc, 0, v39, vcc
	v_cmp_lt_u64_e32 vcc, v[1:2], v[38:39]
	s_and_saveexec_b64 s[30:31], vcc
	s_cbranch_execz .LBB4_2445
; %bb.2437:                             ;   in Loop: Header=BB4_2384 Depth=2
	s_mov_b32 s44, 0
	s_mov_b64 s[34:35], 0
                                        ; implicit-def: $sgpr36_sgpr37
                                        ; implicit-def: $sgpr38_sgpr39
	s_branch .LBB4_2439
.LBB4_2438:                             ;   in Loop: Header=BB4_2439 Depth=3
	s_or_b64 exec, exec, s[50:51]
	s_and_b64 vcc, exec, vcc
	s_or_b64 s[34:35], vcc, s[34:35]
	s_andn2_b64 vcc, s[36:37], exec
	s_and_b64 s[36:37], s[38:39], exec
	s_or_b64 s[36:37], vcc, s[36:37]
	s_andn2_b64 exec, exec, s[34:35]
	s_cbranch_execz .LBB4_2443
.LBB4_2439:                             ;   Parent Loop BB4_47 Depth=1
                                        ;     Parent Loop BB4_2384 Depth=2
                                        ; =>    This Inner Loop Header: Depth=3
	s_add_i32 s44, s44, 1
	s_cmpk_lg_i32 s44, 0x2710
	s_cselect_b64 s[48:49], -1, 0
	s_and_b64 vcc, exec, s[48:49]
	s_cbranch_vccz .LBB4_2441
; %bb.2440:                             ;   in Loop: Header=BB4_2439 Depth=3
	s_mov_b64 vcc, -1
	s_or_b64 s[38:39], s[38:39], exec
	s_and_saveexec_b64 s[50:51], s[48:49]
	s_cbranch_execz .LBB4_2438
	s_branch .LBB4_2442
.LBB4_2441:                             ;   in Loop: Header=BB4_2439 Depth=3
	s_trap 2
	ds_read_b64 v[1:2], v0
	s_andn2_b64 s[48:49], s[48:49], exec
	s_mov_b32 s44, 0
	s_waitcnt lgkmcnt(0)
	flat_load_dword v1, v[1:2] glc
	s_waitcnt vmcnt(0) lgkmcnt(0)
	buffer_wbinvl1_vol
	v_cmp_eq_u32_e32 vcc, 0, v1
	s_and_b64 vcc, vcc, exec
	s_or_b64 s[48:49], s[48:49], vcc
	s_mov_b64 vcc, -1
	s_or_b64 s[38:39], s[38:39], exec
	s_and_saveexec_b64 s[50:51], s[48:49]
	s_cbranch_execz .LBB4_2438
.LBB4_2442:                             ;   in Loop: Header=BB4_2439 Depth=3
	s_sleep 1
	s_trap 2
	ds_read_b64 v[1:2], v0
	s_waitcnt lgkmcnt(0)
	s_andn2_b64 s[38:39], s[38:39], exec
	v_cmp_ge_u64_e32 vcc, v[1:2], v[38:39]
	s_orn2_b64 vcc, vcc, exec
	s_branch .LBB4_2438
.LBB4_2443:                             ;   in Loop: Header=BB4_2384 Depth=2
	s_or_b64 exec, exec, s[34:35]
	s_and_saveexec_b64 s[44:45], s[36:37]
	s_xor_b64 s[44:45], exec, s[44:45]
	s_cbranch_execz .LBB4_2445
; %bb.2444:                             ;   in Loop: Header=BB4_2384 Depth=2
	v_mov_b32_e32 v1, 1
	ds_write_b32 v0, v1
	s_trap 2
.LBB4_2445:                             ;   in Loop: Header=BB4_2384 Depth=2
	s_or_b64 exec, exec, s[30:31]
	;;#ASMSTART
	s_wakeup
	;;#ASMEND
.LBB4_2446:                             ;   in Loop: Header=BB4_2384 Depth=2
	s_or_b64 exec, exec, s[42:43]
.LBB4_2447:                             ;   in Loop: Header=BB4_2384 Depth=2
	s_andn2_saveexec_b64 s[40:41], s[40:41]
	s_cbranch_execz .LBB4_2449
; %bb.2448:                             ;   in Loop: Header=BB4_2384 Depth=2
	s_waitcnt vmcnt(0) lgkmcnt(0)
	buffer_wbinvl1_vol
	s_barrier
.LBB4_2449:                             ;   in Loop: Header=BB4_2384 Depth=2
	s_or_b64 exec, exec, s[40:41]
.LBB4_2450:                             ;   in Loop: Header=BB4_2384 Depth=2
	s_or_b64 exec, exec, s[28:29]
	s_trap 2
	ds_read_b64 v[1:2], v0
	s_waitcnt lgkmcnt(0)
	v_cmp_eq_u64_e32 vcc, 0, v[1:2]
	s_cbranch_vccnz .LBB4_2459
; %bb.2451:                             ;   in Loop: Header=BB4_2384 Depth=2
	buffer_store_dword v1, off, s[0:3], s33 offset:200 ; 4-byte Folded Spill
	s_nop 0
	buffer_store_dword v2, off, s[0:3], s33 offset:204 ; 4-byte Folded Spill
	s_trap 2
	ds_read_b64 v[1:2], v0
	s_waitcnt lgkmcnt(0)
	buffer_store_dword v1, off, s[0:3], s33 offset:188 ; 4-byte Folded Spill
	s_nop 0
	buffer_store_dword v2, off, s[0:3], s33 offset:192 ; 4-byte Folded Spill
	v_cmp_eq_u64_e32 vcc, 0, v[1:2]
	s_cbranch_vccnz .LBB4_2459
; %bb.2452:                             ;   in Loop: Header=BB4_2384 Depth=2
	s_trap 2
	ds_read_b64 v[56:57], v0
	buffer_load_dword v1, off, s[0:3], s33 offset:164 ; 4-byte Folded Reload
	buffer_load_dword v2, off, s[0:3], s33 offset:168 ; 4-byte Folded Reload
	v_cmp_eq_u32_e64 s[28:29], 0, v5
	s_waitcnt lgkmcnt(0)
	v_cmp_ne_u64_e32 vcc, 0, v[56:57]
	s_waitcnt vmcnt(1)
	v_cndmask_b32_e64 v40, 0, v1, s[28:29]
	s_cbranch_vccz .LBB4_2464
; %bb.2453:                             ;   in Loop: Header=BB4_2384 Depth=2
	s_mov_b64 s[40:41], -1
	s_and_saveexec_b64 s[28:29], s[22:23]
	s_cbranch_execz .LBB4_2455
; %bb.2454:                             ;   in Loop: Header=BB4_2384 Depth=2
	ds_read_b32 v1, v0 offset:720
	s_waitcnt lgkmcnt(0)
	v_and_b32_e32 v1, 15, v1
	v_cmp_eq_u32_e32 vcc, 0, v1
	s_orn2_b64 s[40:41], vcc, exec
.LBB4_2455:                             ;   in Loop: Header=BB4_2384 Depth=2
	s_or_b64 exec, exec, s[28:29]
	s_and_saveexec_b64 s[28:29], s[22:23]
	s_cbranch_execz .LBB4_2457
; %bb.2456:                             ;   in Loop: Header=BB4_2384 Depth=2
	ds_read_b32 v1, v0 offset:784
	s_waitcnt lgkmcnt(0)
	v_and_b32_e32 v1, 15, v1
	v_cmp_eq_u32_e32 vcc, 0, v1
	s_and_b64 s[42:43], s[40:41], vcc
	s_andn2_b64 s[40:41], s[40:41], exec
	s_and_b64 s[42:43], s[42:43], exec
	s_or_b64 s[40:41], s[40:41], s[42:43]
.LBB4_2457:                             ;   in Loop: Header=BB4_2384 Depth=2
	s_or_b64 exec, exec, s[28:29]
	buffer_load_dword v2, off, s[0:3], s33 offset:112 ; 4-byte Folded Reload
	s_xor_b64 s[40:41], s[40:41], -1
	v_cndmask_b32_e64 v1, 0, 1, s[40:41]
	s_mov_b64 s[28:29], -1
	v_mov_b32_e32 v12, 0
	v_cmp_ne_u32_e32 vcc, 0, v1
	v_mov_b32_e32 v7, v40
	v_mov_b32_e32 v5, v41
	s_cbranch_vccz .LBB4_2465
; %bb.2458:                             ;   in Loop: Header=BB4_2384 Depth=2
	s_and_saveexec_b64 s[42:43], s[28:29]
	s_cbranch_execz .LBB4_4378
	s_branch .LBB4_3824
.LBB4_2459:                             ;   in Loop: Header=BB4_2384 Depth=2
	s_mov_b64 s[28:29], 0
	s_and_saveexec_b64 s[40:41], s[10:11]
	s_cbranch_execnz .LBB4_6296
.LBB4_2460:                             ;   in Loop: Header=BB4_2384 Depth=2
	s_or_b64 exec, exec, s[40:41]
                                        ; implicit-def: $vgpr1
	s_and_saveexec_b64 s[40:41], s[24:25]
	s_xor_b64 s[40:41], exec, s[40:41]
	s_cbranch_execz .LBB4_6314
.LBB4_2461:                             ;   in Loop: Header=BB4_2384 Depth=2
	s_waitcnt vmcnt(0)
	v_and_b32_e32 v2, 16, v4
	v_cmp_ne_u32_e32 vcc, 0, v2
	v_and_b32_e32 v1, 16, v4
	s_and_b64 s[42:43], vcc, s[28:29]
	s_and_saveexec_b64 s[28:29], s[42:43]
	s_cbranch_execz .LBB4_2463
; %bb.2462:                             ;   in Loop: Header=BB4_2384 Depth=2
	v_mov_b32_e32 v1, 1
	s_waitcnt lgkmcnt(0)
	buffer_wbinvl1_vol
.LBB4_2463:                             ;   in Loop: Header=BB4_2384 Depth=2
	s_or_b64 exec, exec, s[28:29]
	s_andn2_saveexec_b64 s[28:29], s[40:41]
	s_cbranch_execz .LBB4_6333
	s_branch .LBB4_6315
.LBB4_2464:                             ;   in Loop: Header=BB4_2384 Depth=2
	s_cbranch_execnz .LBB4_4379
	s_branch .LBB4_6295
.LBB4_2465:                             ;   in Loop: Header=BB4_2384 Depth=2
	v_ashrrev_i32_e32 v1, 31, v40
	v_lshrrev_b32_e32 v1, 21, v1
	v_add_u32_e32 v1, v40, v1
	s_waitcnt vmcnt(0)
	v_ashrrev_i32_e32 v2, 11, v1
	buffer_load_dword v1, off, s[0:3], s33 offset:112 ; 4-byte Folded Reload
	s_waitcnt vmcnt(0)
	v_sub_u32_e32 v45, v2, v1
	v_cmp_lt_i32_e32 vcc, 0, v45
	s_and_saveexec_b64 s[40:41], vcc
	s_cbranch_execz .LBB4_3365
; %bb.2466:                             ;   in Loop: Header=BB4_2384 Depth=2
	buffer_store_dword v2, off, s[0:3], s33 offset:272 ; 4-byte Folded Spill
	buffer_load_dword v5, off, s[0:3], s33 offset:228 ; 4-byte Folded Reload
	s_nop 0
	buffer_load_dword v1, off, s[0:3], s33 offset:188 ; 4-byte Folded Reload
	buffer_load_dword v2, off, s[0:3], s33 offset:192 ; 4-byte Folded Reload
	;; [unrolled: 1-line block ×3, first 2 shown]
	s_mov_b64 s[42:43], 0
	s_waitcnt vmcnt(2)
	v_add_co_u32_e32 v60, vcc, v1, v5
	s_waitcnt vmcnt(0)
	v_addc_co_u32_e32 v61, vcc, v2, v6, vcc
	v_add_co_u32_e32 v26, vcc, v56, v5
	buffer_store_dword v56, off, s[0:3], s33 offset:264 ; 4-byte Folded Spill
	s_nop 0
	buffer_store_dword v57, off, s[0:3], s33 offset:268 ; 4-byte Folded Spill
	s_trap 2
	ds_read_b64 v[1:2], v0
	buffer_load_dword v7, off, s[0:3], s33 offset:200 ; 4-byte Folded Reload
	buffer_load_dword v8, off, s[0:3], s33 offset:204 ; 4-byte Folded Reload
	v_addc_co_u32_e32 v27, vcc, v57, v6, vcc
	s_waitcnt vmcnt(1)
	v_add_co_u32_e32 v28, vcc, v7, v5
	s_waitcnt vmcnt(0)
	v_addc_co_u32_e32 v29, vcc, v8, v6, vcc
	s_waitcnt lgkmcnt(0)
	v_add_co_u32_e32 v30, vcc, v1, v5
	v_addc_co_u32_e32 v31, vcc, v2, v6, vcc
	s_branch .LBB4_2468
.LBB4_2467:                             ;   in Loop: Header=BB4_2468 Depth=3
	s_or_b64 exec, exec, s[28:29]
	v_lshl_or_b32 v1, v34, 8, v37
	v_lshlrev_b32_e32 v5, 16, v24
	v_lshlrev_b32_e32 v6, 24, v25
	v_or3_b32 v6, v1, v5, v6
	buffer_load_dword v1, off, s[0:3], s33 offset:176 ; 4-byte Folded Reload
	buffer_load_dword v5, off, s[0:3], s33 offset:184 ; 4-byte Folded Reload
	v_lshlrev_b32_e32 v7, 24, v55
	v_lshlrev_b32_e32 v8, 24, v56
	v_lshl_or_b32 v9, v42, 8, v57
	v_lshlrev_b32_e32 v10, 24, v17
	v_lshlrev_b32_e32 v11, 24, v54
	;; [unrolled: 1-line block ×3, first 2 shown]
	s_waitcnt vmcnt(1)
	v_lshl_or_b32 v1, v1, 8, v41
	s_waitcnt vmcnt(0)
	v_lshlrev_b32_e32 v5, 16, v5
	v_or3_b32 v5, v1, v5, v7
	v_lshl_or_b32 v1, v52, 8, v35
	v_lshlrev_b32_e32 v7, 16, v53
	v_or3_b32 v7, v1, v7, v8
	v_lshlrev_b32_e32 v1, 24, v19
	v_lshlrev_b32_e32 v8, 16, v20
	v_or3_b32 v8, v9, v8, v1
	v_lshl_or_b32 v1, v58, 8, v36
	v_lshlrev_b32_e32 v9, 16, v16
	v_or3_b32 v10, v1, v9, v10
	v_lshl_or_b32 v1, v22, 8, v21
	;; [unrolled: 3-line block ×3, first 2 shown]
	v_lshlrev_b32_e32 v11, 16, v47
	v_or3_b32 v11, v1, v11, v13
	v_lshlrev_b32_e32 v1, 24, v2
	v_lshlrev_b32_e32 v2, 16, v12
	v_lshl_or_b32 v12, v43, 8, v50
	v_or3_b32 v12, v12, v2, v1
	global_store_dwordx4 v[60:61], v[5:8], off glc slc
	global_store_dwordx4 v[60:61], v[9:12], off offset:1024 glc slc
	global_store_dwordx4 v[26:27], v[5:8], off glc slc
	global_store_dwordx4 v[26:27], v[9:12], off offset:1024 glc slc
	buffer_load_dword v2, off, s[0:3], s33 offset:72 ; 4-byte Folded Reload
	buffer_load_dword v1, off, s[0:3], s33 offset:64 ; 4-byte Folded Reload
	s_waitcnt vmcnt(1)
	v_add_co_u32_e32 v28, vcc, v28, v2
	v_addc_co_u32_e32 v29, vcc, 0, v29, vcc
	v_add_co_u32_e32 v30, vcc, v30, v2
	v_addc_co_u32_e32 v31, vcc, 0, v31, vcc
	;; [unrolled: 2-line block ×3, first 2 shown]
	s_waitcnt vmcnt(0)
	v_sub_u32_e32 v45, v45, v1
	v_cmp_gt_i32_e32 vcc, 1, v45
	s_or_b64 s[42:43], vcc, s[42:43]
	v_add_co_u32_e32 v26, vcc, v26, v2
	v_addc_co_u32_e32 v27, vcc, 0, v27, vcc
	s_andn2_b64 exec, exec, s[42:43]
	s_cbranch_execz .LBB4_3364
.LBB4_2468:                             ;   Parent Loop BB4_47 Depth=1
                                        ;     Parent Loop BB4_2384 Depth=2
                                        ; =>    This Inner Loop Header: Depth=3
	global_load_dwordx4 v[20:23], v[28:29], off glc slc
	global_load_dwordx4 v[12:15], v[28:29], off offset:1024 glc slc
	global_load_dwordx4 v[16:19], v[30:31], off glc slc
	global_load_dwordx4 v[8:11], v[30:31], off offset:1024 glc slc
	v_mov_b32_e32 v2, 0
	v_mov_b32_e32 v5, 0
	s_waitcnt vmcnt(3)
	v_cmp_ne_u16_sdwa s[44:45], v20, v3 src0_sel:BYTE_0 src1_sel:DWORD
	s_and_saveexec_b64 s[28:29], s[44:45]
	s_cbranch_execz .LBB4_2474
; %bb.2469:                             ;   in Loop: Header=BB4_2468 Depth=3
	v_cmp_ne_u16_sdwa s[44:45], v20, s70 src0_sel:BYTE_0 src1_sel:DWORD
	v_bfrev_b32_e32 v5, 1
	s_and_saveexec_b64 s[30:31], s[44:45]
	s_cbranch_execz .LBB4_2473
; %bb.2470:                             ;   in Loop: Header=BB4_2468 Depth=3
	v_and_b32_e32 v1, 0x7f, v20
	v_cmp_ne_u32_e32 vcc, s71, v1
	v_mov_b32_e32 v5, 0x7f800001
	s_and_saveexec_b64 s[34:35], vcc
	s_cbranch_execz .LBB4_2472
; %bb.2471:                             ;   in Loop: Header=BB4_2468 Depth=3
	v_and_b32_e32 v5, 7, v20
	v_lshrrev_b32_e32 v6, 3, v1
	v_cmp_gt_u32_e32 vcc, 8, v1
	v_ffbh_u32_e32 v1, v5
	v_min_u32_e32 v1, 32, v1
	v_subrev_u32_e32 v5, 28, v1
	v_sub_u32_e32 v1, 29, v1
	v_cndmask_b32_e32 v5, 0, v5, vcc
	v_cndmask_b32_e32 v1, v6, v1, vcc
	v_lshlrev_b64 v[5:6], v5, v[20:21]
	v_lshlrev_b32_e32 v6, 24, v20
	v_lshlrev_b32_e32 v5, 20, v5
	v_and_b32_e32 v5, 0x700000, v5
	v_and_b32_e32 v6, 0x80000000, v6
	v_lshl_add_u32 v1, v1, 23, v0
	v_or3_b32 v5, v6, v1, v5
.LBB4_2472:                             ;   in Loop: Header=BB4_2468 Depth=3
	s_or_b64 exec, exec, s[34:35]
.LBB4_2473:                             ;   in Loop: Header=BB4_2468 Depth=3
	s_or_b64 exec, exec, s[30:31]
.LBB4_2474:                             ;   in Loop: Header=BB4_2468 Depth=3
	s_or_b64 exec, exec, s[28:29]
	s_waitcnt vmcnt(1)
	v_cmp_ne_u16_sdwa s[44:45], v16, v3 src0_sel:BYTE_0 src1_sel:DWORD
	s_and_saveexec_b64 s[28:29], s[44:45]
	s_cbranch_execz .LBB4_2480
; %bb.2475:                             ;   in Loop: Header=BB4_2468 Depth=3
	v_cmp_ne_u16_sdwa s[44:45], v16, s70 src0_sel:BYTE_0 src1_sel:DWORD
	v_bfrev_b32_e32 v2, 1
	s_and_saveexec_b64 s[30:31], s[44:45]
	s_cbranch_execz .LBB4_2479
; %bb.2476:                             ;   in Loop: Header=BB4_2468 Depth=3
	v_and_b32_e32 v1, 0x7f, v16
	v_cmp_ne_u32_e32 vcc, s71, v1
	v_mov_b32_e32 v2, 0x7f800001
	s_and_saveexec_b64 s[34:35], vcc
	s_cbranch_execz .LBB4_2478
; %bb.2477:                             ;   in Loop: Header=BB4_2468 Depth=3
	v_and_b32_e32 v2, 7, v16
	v_lshrrev_b32_e32 v6, 3, v1
	v_cmp_gt_u32_e32 vcc, 8, v1
	v_ffbh_u32_e32 v1, v2
	v_min_u32_e32 v1, 32, v1
	v_subrev_u32_e32 v2, 28, v1
	v_sub_u32_e32 v1, 29, v1
	v_cndmask_b32_e32 v6, v6, v1, vcc
	v_cndmask_b32_e32 v1, 0, v2, vcc
	v_lshlrev_b64 v[1:2], v1, v[16:17]
	v_lshlrev_b32_e32 v2, 24, v16
	v_lshlrev_b32_e32 v1, 20, v1
	v_and_b32_e32 v1, 0x700000, v1
	v_and_b32_e32 v2, 0x80000000, v2
	v_lshl_add_u32 v6, v6, 23, v0
	v_or3_b32 v2, v2, v6, v1
.LBB4_2478:                             ;   in Loop: Header=BB4_2468 Depth=3
	s_or_b64 exec, exec, s[34:35]
.LBB4_2479:                             ;   in Loop: Header=BB4_2468 Depth=3
	s_or_b64 exec, exec, s[30:31]
.LBB4_2480:                             ;   in Loop: Header=BB4_2468 Depth=3
	s_or_b64 exec, exec, s[28:29]
	v_mul_f32_e32 v6, v5, v2
	v_and_b32_e32 v2, 0x7f800000, v6
	v_cmp_ne_u64_e32 vcc, s[62:63], v[2:3]
                                        ; implicit-def: $vgpr41
	s_and_saveexec_b64 s[28:29], vcc
	s_xor_b64 s[30:31], exec, s[28:29]
	s_cbranch_execz .LBB4_2494
; %bb.2481:                             ;   in Loop: Header=BB4_2468 Depth=3
	v_and_b32_e32 v2, 0x7fffffff, v6
	v_cmp_gt_u64_e32 vcc, s[72:73], v[2:3]
	v_and_b32_sdwa v5, v6, s70 dst_sel:DWORD dst_unused:UNUSED_PAD src0_sel:BYTE_3 src1_sel:DWORD
                                        ; implicit-def: $vgpr41
	s_and_saveexec_b64 s[28:29], vcc
	s_xor_b64 s[34:35], exec, s[28:29]
	s_cbranch_execz .LBB4_2491
; %bb.2482:                             ;   in Loop: Header=BB4_2468 Depth=3
	v_mov_b32_e32 v41, 0
	v_cmp_ne_u32_e32 vcc, 0, v6
	s_and_saveexec_b64 s[36:37], vcc
	s_cbranch_execz .LBB4_2490
; %bb.2483:                             ;   in Loop: Header=BB4_2468 Depth=3
	v_and_b32_e32 v1, 0x7fffff, v6
	v_bfe_u32 v6, v6, 23, 8
	v_cmp_gt_u32_e64 s[28:29], s80, v6
	v_sub_u32_e32 v2, 0x79, v6
	v_cmp_eq_u32_e32 vcc, 0, v6
	v_cndmask_b32_e64 v2, 0, v2, s[28:29]
	v_mov_b32_e32 v7, 0x78
	v_or_b32_e32 v24, 0x800000, v1
	v_cndmask_b32_e32 v7, v2, v7, vcc
	v_cndmask_b32_e32 v2, v24, v1, vcc
	v_add_u32_e32 v1, 20, v7
	v_lshlrev_b64 v[24:25], v1, -1
	v_add_u32_e32 v1, 19, v7
	v_lshlrev_b64 v[34:35], v1, 1
	v_bfi_b32 v25, v25, 0, 0
	v_bfi_b32 v24, v24, 0, v2
	v_cmp_eq_u64_e64 s[28:29], v[24:25], v[34:35]
	v_lshrrev_b64 v[24:25], v7, v[2:3]
	v_mov_b32_e32 v53, v25
	v_mov_b32_e32 v52, v24
	s_and_saveexec_b64 s[38:39], s[28:29]
; %bb.2484:                             ;   in Loop: Header=BB4_2468 Depth=3
	v_bfe_u32 v1, v24, 20, 1
	v_add_co_u32_e64 v1, s[28:29], v24, v1
	v_add_co_u32_e64 v52, s[28:29], -1, v1
; %bb.2485:                             ;   in Loop: Header=BB4_2468 Depth=3
	s_or_b64 exec, exec, s[38:39]
	v_add_u32_e32 v1, 0xffffff81, v6
	v_mov_b32_e32 v2, 0xffffff82
	v_cndmask_b32_e32 v1, v1, v2, vcc
	v_lshrrev_b32_e32 v2, 23, v24
	v_add3_u32 v7, v7, v1, v2
	v_add_u32_e32 v1, 6, v7
	v_and_b32_e32 v2, 0xfffff, v52
	v_add_u32_e32 v2, v2, v24
	v_cmp_ne_u32_e32 vcc, 0, v1
                                        ; implicit-def: $vgpr24_vgpr25
                                        ; implicit-def: $vgpr6
	s_and_saveexec_b64 s[28:29], vcc
	s_xor_b64 s[28:29], exec, s[28:29]
; %bb.2486:                             ;   in Loop: Header=BB4_2468 Depth=3
	v_cmp_lt_u64_e32 vcc, s[88:89], v[2:3]
	v_add_u32_e32 v6, 7, v7
	v_cndmask_b32_e32 v6, v1, v6, vcc
	v_cndmask_b32_e64 v1, 0, 1, vcc
	v_lshrrev_b64 v[24:25], v1, v[2:3]
; %bb.2487:                             ;   in Loop: Header=BB4_2468 Depth=3
	s_andn2_saveexec_b64 s[28:29], s[28:29]
; %bb.2488:                             ;   in Loop: Header=BB4_2468 Depth=3
	v_mov_b32_e32 v25, v3
	v_bfe_u32 v6, v2, 23, 1
	v_mov_b32_e32 v24, v2
; %bb.2489:                             ;   in Loop: Header=BB4_2468 Depth=3
	s_or_b64 exec, exec, s[28:29]
	v_lshrrev_b64 v[1:2], 20, v[24:25]
	v_cmp_gt_i32_e32 vcc, 16, v6
	v_cndmask_b32_e32 v2, 0, v2, vcc
	v_cndmask_b32_e32 v1, 7, v1, vcc
	v_cmp_eq_u64_e64 s[28:29], 0, v[1:2]
	v_min_i32_e32 v2, 15, v6
	v_lshlrev_b32_e32 v2, 3, v2
	v_cmp_eq_u32_e32 vcc, 0, v6
	v_and_b32_e32 v2, 0xf8, v2
	v_and_or_b32 v1, v1, 7, v2
	s_and_b64 s[28:29], vcc, s[28:29]
	v_cndmask_b32_e64 v1, v1, 0, s[28:29]
	v_or_b32_e32 v41, v1, v5
.LBB4_2490:                             ;   in Loop: Header=BB4_2468 Depth=3
	s_or_b64 exec, exec, s[36:37]
                                        ; implicit-def: $vgpr5
.LBB4_2491:                             ;   in Loop: Header=BB4_2468 Depth=3
	s_andn2_saveexec_b64 s[28:29], s[34:35]
; %bb.2492:                             ;   in Loop: Header=BB4_2468 Depth=3
	v_or_b32_e32 v41, 0x7e, v5
; %bb.2493:                             ;   in Loop: Header=BB4_2468 Depth=3
	s_or_b64 exec, exec, s[28:29]
                                        ; implicit-def: $vgpr6
.LBB4_2494:                             ;   in Loop: Header=BB4_2468 Depth=3
	s_andn2_saveexec_b64 s[28:29], s[30:31]
; %bb.2495:                             ;   in Loop: Header=BB4_2468 Depth=3
	v_or_b32_sdwa v41, v6, s71 dst_sel:DWORD dst_unused:UNUSED_PAD src0_sel:BYTE_3 src1_sel:DWORD
; %bb.2496:                             ;   in Loop: Header=BB4_2468 Depth=3
	s_or_b64 exec, exec, s[28:29]
	v_lshrrev_b16_e32 v2, 8, v20
	v_cmp_ne_u16_e32 vcc, 0, v2
	v_mov_b32_e32 v5, 0
	v_mov_b32_e32 v6, 0
	s_and_saveexec_b64 s[28:29], vcc
	s_cbranch_execz .LBB4_2502
; %bb.2497:                             ;   in Loop: Header=BB4_2468 Depth=3
	v_cmp_ne_u16_e32 vcc, s70, v2
	v_bfrev_b32_e32 v6, 1
	s_and_saveexec_b64 s[30:31], vcc
	s_cbranch_execz .LBB4_2501
; %bb.2498:                             ;   in Loop: Header=BB4_2468 Depth=3
	v_and_b32_e32 v1, 0x7f, v2
	v_cmp_ne_u32_e32 vcc, s71, v1
	v_mov_b32_e32 v6, 0x7f800001
	s_and_saveexec_b64 s[34:35], vcc
	s_cbranch_execz .LBB4_2500
; %bb.2499:                             ;   in Loop: Header=BB4_2468 Depth=3
	v_and_b32_e32 v6, 7, v2
	v_lshrrev_b32_e32 v7, 3, v1
	v_cmp_gt_u32_e32 vcc, 8, v1
	v_ffbh_u32_e32 v1, v6
	v_min_u32_e32 v24, 32, v1
	v_subrev_u32_e32 v1, 28, v24
	v_lshlrev_b64 v[1:2], v1, v[2:3]
	v_sub_u32_e32 v2, 29, v24
	v_and_b32_e32 v1, 7, v1
	v_cndmask_b32_e32 v2, v7, v2, vcc
	v_cndmask_b32_e32 v1, v6, v1, vcc
	v_lshlrev_b32_e32 v6, 16, v20
	v_lshlrev_b32_e32 v1, 20, v1
	v_and_b32_e32 v6, 0x80000000, v6
	v_lshl_add_u32 v2, v2, 23, v0
	v_or3_b32 v6, v6, v2, v1
.LBB4_2500:                             ;   in Loop: Header=BB4_2468 Depth=3
	s_or_b64 exec, exec, s[34:35]
.LBB4_2501:                             ;   in Loop: Header=BB4_2468 Depth=3
	s_or_b64 exec, exec, s[30:31]
.LBB4_2502:                             ;   in Loop: Header=BB4_2468 Depth=3
	s_or_b64 exec, exec, s[28:29]
	v_lshrrev_b16_e32 v2, 8, v16
	v_cmp_ne_u16_e32 vcc, 0, v2
	s_and_saveexec_b64 s[28:29], vcc
	s_cbranch_execz .LBB4_2508
; %bb.2503:                             ;   in Loop: Header=BB4_2468 Depth=3
	v_cmp_ne_u16_e32 vcc, s70, v2
	v_bfrev_b32_e32 v5, 1
	s_and_saveexec_b64 s[30:31], vcc
	s_cbranch_execz .LBB4_2507
; %bb.2504:                             ;   in Loop: Header=BB4_2468 Depth=3
	v_and_b32_e32 v1, 0x7f, v2
	v_cmp_ne_u32_e32 vcc, s71, v1
	v_mov_b32_e32 v5, 0x7f800001
	s_and_saveexec_b64 s[34:35], vcc
	s_cbranch_execz .LBB4_2506
; %bb.2505:                             ;   in Loop: Header=BB4_2468 Depth=3
	v_and_b32_e32 v5, 7, v2
	v_lshrrev_b32_e32 v7, 3, v1
	v_cmp_gt_u32_e32 vcc, 8, v1
	v_ffbh_u32_e32 v1, v5
	v_min_u32_e32 v24, 32, v1
	v_subrev_u32_e32 v1, 28, v24
	v_lshlrev_b64 v[1:2], v1, v[2:3]
	v_sub_u32_e32 v2, 29, v24
	v_and_b32_e32 v1, 7, v1
	v_cndmask_b32_e32 v2, v7, v2, vcc
	v_cndmask_b32_e32 v1, v5, v1, vcc
	v_lshlrev_b32_e32 v5, 16, v16
	v_lshlrev_b32_e32 v1, 20, v1
	v_and_b32_e32 v5, 0x80000000, v5
	v_lshl_add_u32 v2, v2, 23, v0
	v_or3_b32 v5, v5, v2, v1
.LBB4_2506:                             ;   in Loop: Header=BB4_2468 Depth=3
	s_or_b64 exec, exec, s[34:35]
.LBB4_2507:                             ;   in Loop: Header=BB4_2468 Depth=3
	s_or_b64 exec, exec, s[30:31]
.LBB4_2508:                             ;   in Loop: Header=BB4_2468 Depth=3
	s_or_b64 exec, exec, s[28:29]
	v_mul_f32_e32 v7, v6, v5
	v_and_b32_e32 v2, 0x7f800000, v7
	v_cmp_ne_u64_e32 vcc, s[62:63], v[2:3]
                                        ; implicit-def: $vgpr1
                                        ; kill: killed $vgpr1
	s_and_saveexec_b64 s[28:29], vcc
	s_xor_b64 s[30:31], exec, s[28:29]
	s_cbranch_execz .LBB4_2522
; %bb.2509:                             ;   in Loop: Header=BB4_2468 Depth=3
	v_and_b32_e32 v2, 0x7fffffff, v7
	v_cmp_gt_u64_e32 vcc, s[72:73], v[2:3]
	v_and_b32_sdwa v6, v7, s70 dst_sel:DWORD dst_unused:UNUSED_PAD src0_sel:BYTE_3 src1_sel:DWORD
                                        ; implicit-def: $vgpr1
                                        ; kill: killed $vgpr1
	s_and_saveexec_b64 s[28:29], vcc
	s_xor_b64 s[34:35], exec, s[28:29]
	s_cbranch_execz .LBB4_2519
; %bb.2510:                             ;   in Loop: Header=BB4_2468 Depth=3
	v_mov_b32_e32 v1, 0
	v_cmp_ne_u32_e32 vcc, 0, v7
	buffer_store_dword v1, off, s[0:3], s33 offset:176 ; 4-byte Folded Spill
	s_and_saveexec_b64 s[36:37], vcc
	s_cbranch_execz .LBB4_2518
; %bb.2511:                             ;   in Loop: Header=BB4_2468 Depth=3
	v_bfe_u32 v5, v7, 23, 8
	v_cmp_gt_u32_e64 s[28:29], s80, v5
	v_sub_u32_e32 v2, 0x79, v5
	v_and_b32_e32 v1, 0x7fffff, v7
	v_cmp_eq_u32_e32 vcc, 0, v5
	v_cndmask_b32_e64 v2, 0, v2, s[28:29]
	v_mov_b32_e32 v7, 0x78
	v_or_b32_e32 v24, 0x800000, v1
	v_cndmask_b32_e32 v7, v2, v7, vcc
	v_cndmask_b32_e32 v2, v24, v1, vcc
	v_add_u32_e32 v1, 20, v7
	v_lshlrev_b64 v[24:25], v1, -1
	v_add_u32_e32 v1, 19, v7
	v_lshlrev_b64 v[34:35], v1, 1
	v_bfi_b32 v25, v25, 0, 0
	v_bfi_b32 v24, v24, 0, v2
	v_cmp_eq_u64_e64 s[28:29], v[24:25], v[34:35]
	v_lshrrev_b64 v[24:25], v7, v[2:3]
	v_mov_b32_e32 v53, v25
	v_mov_b32_e32 v52, v24
	s_and_saveexec_b64 s[38:39], s[28:29]
; %bb.2512:                             ;   in Loop: Header=BB4_2468 Depth=3
	v_bfe_u32 v1, v24, 20, 1
	v_add_co_u32_e64 v1, s[28:29], v24, v1
	v_add_co_u32_e64 v52, s[28:29], -1, v1
; %bb.2513:                             ;   in Loop: Header=BB4_2468 Depth=3
	s_or_b64 exec, exec, s[38:39]
	v_add_u32_e32 v1, 0xffffff81, v5
	v_mov_b32_e32 v2, 0xffffff82
	v_cndmask_b32_e32 v1, v1, v2, vcc
	v_lshrrev_b32_e32 v2, 23, v24
	v_add3_u32 v7, v7, v1, v2
	v_add_u32_e32 v1, 6, v7
	v_and_b32_e32 v2, 0xfffff, v52
	v_add_u32_e32 v2, v2, v24
	v_cmp_ne_u32_e32 vcc, 0, v1
                                        ; implicit-def: $vgpr24_vgpr25
                                        ; implicit-def: $vgpr5
	s_and_saveexec_b64 s[28:29], vcc
	s_xor_b64 s[28:29], exec, s[28:29]
; %bb.2514:                             ;   in Loop: Header=BB4_2468 Depth=3
	v_cmp_lt_u64_e32 vcc, s[88:89], v[2:3]
	v_add_u32_e32 v5, 7, v7
	v_cndmask_b32_e32 v5, v1, v5, vcc
	v_cndmask_b32_e64 v1, 0, 1, vcc
	v_lshrrev_b64 v[24:25], v1, v[2:3]
; %bb.2515:                             ;   in Loop: Header=BB4_2468 Depth=3
	s_andn2_saveexec_b64 s[28:29], s[28:29]
; %bb.2516:                             ;   in Loop: Header=BB4_2468 Depth=3
	v_mov_b32_e32 v25, v3
	v_bfe_u32 v5, v2, 23, 1
	v_mov_b32_e32 v24, v2
; %bb.2517:                             ;   in Loop: Header=BB4_2468 Depth=3
	s_or_b64 exec, exec, s[28:29]
	v_lshrrev_b64 v[1:2], 20, v[24:25]
	v_cmp_gt_i32_e32 vcc, 16, v5
	v_cndmask_b32_e32 v2, 0, v2, vcc
	v_cndmask_b32_e32 v1, 7, v1, vcc
	v_cmp_eq_u64_e64 s[28:29], 0, v[1:2]
	v_min_i32_e32 v2, 15, v5
	v_lshlrev_b32_e32 v2, 3, v2
	v_cmp_eq_u32_e32 vcc, 0, v5
	v_and_b32_e32 v2, 0xf8, v2
	v_and_or_b32 v1, v1, 7, v2
	s_and_b64 s[28:29], vcc, s[28:29]
	v_cndmask_b32_e64 v1, v1, 0, s[28:29]
	v_or_b32_e32 v1, v1, v6
	buffer_store_dword v1, off, s[0:3], s33 offset:176 ; 4-byte Folded Spill
.LBB4_2518:                             ;   in Loop: Header=BB4_2468 Depth=3
	s_or_b64 exec, exec, s[36:37]
                                        ; implicit-def: $vgpr6
.LBB4_2519:                             ;   in Loop: Header=BB4_2468 Depth=3
	s_andn2_saveexec_b64 s[28:29], s[34:35]
	s_cbranch_execz .LBB4_2521
; %bb.2520:                             ;   in Loop: Header=BB4_2468 Depth=3
	v_or_b32_e32 v1, 0x7e, v6
	buffer_store_dword v1, off, s[0:3], s33 offset:176 ; 4-byte Folded Spill
.LBB4_2521:                             ;   in Loop: Header=BB4_2468 Depth=3
	s_or_b64 exec, exec, s[28:29]
                                        ; implicit-def: $vgpr7
.LBB4_2522:                             ;   in Loop: Header=BB4_2468 Depth=3
	s_andn2_saveexec_b64 s[28:29], s[30:31]
	s_cbranch_execz .LBB4_2524
; %bb.2523:                             ;   in Loop: Header=BB4_2468 Depth=3
	v_or_b32_sdwa v1, v7, s71 dst_sel:DWORD dst_unused:UNUSED_PAD src0_sel:BYTE_3 src1_sel:DWORD
	buffer_store_dword v1, off, s[0:3], s33 offset:176 ; 4-byte Folded Spill
.LBB4_2524:                             ;   in Loop: Header=BB4_2468 Depth=3
	s_or_b64 exec, exec, s[28:29]
	v_lshrrev_b32_e32 v2, 16, v20
	v_cmp_ne_u16_sdwa s[44:45], v2, v3 src0_sel:BYTE_0 src1_sel:DWORD
	v_mov_b32_e32 v6, 0
	v_mov_b32_e32 v24, 0
	s_and_saveexec_b64 s[28:29], s[44:45]
	s_cbranch_execz .LBB4_2530
; %bb.2525:                             ;   in Loop: Header=BB4_2468 Depth=3
	v_cmp_ne_u16_sdwa s[44:45], v2, s70 src0_sel:BYTE_0 src1_sel:DWORD
	v_bfrev_b32_e32 v24, 1
	s_and_saveexec_b64 s[30:31], s[44:45]
	s_cbranch_execz .LBB4_2529
; %bb.2526:                             ;   in Loop: Header=BB4_2468 Depth=3
	v_bfe_u32 v1, v20, 16, 7
	v_cmp_ne_u32_e32 vcc, s71, v1
	v_mov_b32_e32 v24, 0x7f800001
	s_and_saveexec_b64 s[34:35], vcc
	s_cbranch_execz .LBB4_2528
; %bb.2527:                             ;   in Loop: Header=BB4_2468 Depth=3
	v_and_b32_e32 v5, 7, v2
	v_lshrrev_b32_e32 v7, 3, v1
	v_cmp_gt_u32_e32 vcc, 8, v1
	v_ffbh_u32_e32 v1, v5
	v_min_u32_e32 v1, 32, v1
	v_subrev_u32_e32 v24, 28, v1
	v_lshlrev_b64 v[24:25], v24, v[2:3]
	v_sub_u32_e32 v1, 29, v1
	v_and_b32_e32 v24, 7, v24
	v_cndmask_b32_e32 v1, v7, v1, vcc
	v_cndmask_b32_e32 v5, v5, v24, vcc
	v_lshlrev_b32_e32 v2, 24, v2
	v_lshlrev_b32_e32 v5, 20, v5
	v_and_b32_e32 v2, 0x80000000, v2
	v_lshl_add_u32 v1, v1, 23, v0
	v_or3_b32 v24, v2, v1, v5
.LBB4_2528:                             ;   in Loop: Header=BB4_2468 Depth=3
	s_or_b64 exec, exec, s[34:35]
.LBB4_2529:                             ;   in Loop: Header=BB4_2468 Depth=3
	s_or_b64 exec, exec, s[30:31]
.LBB4_2530:                             ;   in Loop: Header=BB4_2468 Depth=3
	s_or_b64 exec, exec, s[28:29]
	v_lshrrev_b32_e32 v2, 16, v16
	v_cmp_ne_u16_sdwa s[44:45], v2, v3 src0_sel:BYTE_0 src1_sel:DWORD
	s_and_saveexec_b64 s[28:29], s[44:45]
	s_cbranch_execz .LBB4_2536
; %bb.2531:                             ;   in Loop: Header=BB4_2468 Depth=3
	v_cmp_ne_u16_sdwa s[44:45], v2, s70 src0_sel:BYTE_0 src1_sel:DWORD
	v_bfrev_b32_e32 v6, 1
	s_and_saveexec_b64 s[30:31], s[44:45]
	s_cbranch_execz .LBB4_2535
; %bb.2532:                             ;   in Loop: Header=BB4_2468 Depth=3
	v_bfe_u32 v1, v16, 16, 7
	v_cmp_ne_u32_e32 vcc, s71, v1
	v_mov_b32_e32 v6, 0x7f800001
	s_and_saveexec_b64 s[34:35], vcc
	s_cbranch_execz .LBB4_2534
; %bb.2533:                             ;   in Loop: Header=BB4_2468 Depth=3
	v_and_b32_e32 v5, 7, v2
	v_lshrrev_b32_e32 v6, 3, v1
	v_cmp_gt_u32_e32 vcc, 8, v1
	v_ffbh_u32_e32 v1, v5
	v_min_u32_e32 v7, 32, v1
	v_subrev_u32_e32 v1, 28, v7
	v_lshlrev_b64 v[1:2], v1, v[2:3]
	v_sub_u32_e32 v2, 29, v7
	v_and_b32_e32 v1, 7, v1
	v_cndmask_b32_e32 v2, v6, v2, vcc
	v_cndmask_b32_e32 v1, v5, v1, vcc
	v_lshlrev_b32_e32 v5, 8, v16
	v_lshlrev_b32_e32 v1, 20, v1
	v_and_b32_e32 v5, 0x80000000, v5
	v_lshl_add_u32 v2, v2, 23, v0
	v_or3_b32 v6, v5, v2, v1
.LBB4_2534:                             ;   in Loop: Header=BB4_2468 Depth=3
	s_or_b64 exec, exec, s[34:35]
.LBB4_2535:                             ;   in Loop: Header=BB4_2468 Depth=3
	s_or_b64 exec, exec, s[30:31]
.LBB4_2536:                             ;   in Loop: Header=BB4_2468 Depth=3
	s_or_b64 exec, exec, s[28:29]
	v_mul_f32_e32 v7, v24, v6
	v_and_b32_e32 v2, 0x7f800000, v7
	v_cmp_ne_u64_e32 vcc, s[62:63], v[2:3]
                                        ; implicit-def: $vgpr1
                                        ; kill: killed $vgpr1
	s_and_saveexec_b64 s[28:29], vcc
	s_xor_b64 s[30:31], exec, s[28:29]
	s_cbranch_execz .LBB4_2550
; %bb.2537:                             ;   in Loop: Header=BB4_2468 Depth=3
	v_and_b32_e32 v2, 0x7fffffff, v7
	v_cmp_gt_u64_e32 vcc, s[72:73], v[2:3]
	v_and_b32_sdwa v6, v7, s70 dst_sel:DWORD dst_unused:UNUSED_PAD src0_sel:BYTE_3 src1_sel:DWORD
                                        ; implicit-def: $vgpr1
                                        ; kill: killed $vgpr1
	s_and_saveexec_b64 s[28:29], vcc
	s_xor_b64 s[34:35], exec, s[28:29]
	s_cbranch_execz .LBB4_2547
; %bb.2538:                             ;   in Loop: Header=BB4_2468 Depth=3
	v_mov_b32_e32 v1, 0
	v_cmp_ne_u32_e32 vcc, 0, v7
	buffer_store_dword v1, off, s[0:3], s33 offset:184 ; 4-byte Folded Spill
	s_and_saveexec_b64 s[36:37], vcc
	s_cbranch_execz .LBB4_2546
; %bb.2539:                             ;   in Loop: Header=BB4_2468 Depth=3
	v_bfe_u32 v34, v7, 23, 8
	v_cmp_gt_u32_e64 s[28:29], s80, v34
	v_sub_u32_e32 v2, 0x79, v34
	v_and_b32_e32 v1, 0x7fffff, v7
	v_cmp_eq_u32_e32 vcc, 0, v34
	v_cndmask_b32_e64 v2, 0, v2, s[28:29]
	v_mov_b32_e32 v7, 0x78
	v_or_b32_e32 v5, 0x800000, v1
	v_cndmask_b32_e32 v7, v2, v7, vcc
	v_cndmask_b32_e32 v2, v5, v1, vcc
	v_add_u32_e32 v1, 20, v7
	v_lshlrev_b64 v[24:25], v1, -1
	v_add_u32_e32 v1, 19, v7
	v_lshlrev_b64 v[35:36], v1, 1
	v_bfi_b32 v25, v25, 0, 0
	v_bfi_b32 v24, v24, 0, v2
	v_cmp_eq_u64_e64 s[28:29], v[24:25], v[35:36]
	v_lshrrev_b64 v[24:25], v7, v[2:3]
	v_mov_b32_e32 v53, v25
	v_mov_b32_e32 v52, v24
	s_and_saveexec_b64 s[38:39], s[28:29]
; %bb.2540:                             ;   in Loop: Header=BB4_2468 Depth=3
	v_bfe_u32 v1, v24, 20, 1
	v_add_co_u32_e64 v1, s[28:29], v24, v1
	v_add_co_u32_e64 v52, s[28:29], -1, v1
; %bb.2541:                             ;   in Loop: Header=BB4_2468 Depth=3
	s_or_b64 exec, exec, s[38:39]
	v_add_u32_e32 v1, 0xffffff81, v34
	v_mov_b32_e32 v2, 0xffffff82
	v_cndmask_b32_e32 v1, v1, v2, vcc
	v_lshrrev_b32_e32 v2, 23, v24
	v_add3_u32 v5, v7, v1, v2
	v_add_u32_e32 v1, 6, v5
	v_and_b32_e32 v2, 0xfffff, v52
	v_add_u32_e32 v2, v2, v24
	v_cmp_ne_u32_e32 vcc, 0, v1
                                        ; implicit-def: $vgpr24_vgpr25
                                        ; implicit-def: $vgpr7
	s_and_saveexec_b64 s[28:29], vcc
	s_xor_b64 s[28:29], exec, s[28:29]
; %bb.2542:                             ;   in Loop: Header=BB4_2468 Depth=3
	v_cmp_lt_u64_e32 vcc, s[88:89], v[2:3]
	v_add_u32_e32 v5, 7, v5
	v_cndmask_b32_e32 v7, v1, v5, vcc
	v_cndmask_b32_e64 v1, 0, 1, vcc
	v_lshrrev_b64 v[24:25], v1, v[2:3]
; %bb.2543:                             ;   in Loop: Header=BB4_2468 Depth=3
	s_andn2_saveexec_b64 s[28:29], s[28:29]
; %bb.2544:                             ;   in Loop: Header=BB4_2468 Depth=3
	v_mov_b32_e32 v25, v3
	v_bfe_u32 v7, v2, 23, 1
	v_mov_b32_e32 v24, v2
; %bb.2545:                             ;   in Loop: Header=BB4_2468 Depth=3
	s_or_b64 exec, exec, s[28:29]
	v_lshrrev_b64 v[1:2], 20, v[24:25]
	v_cmp_gt_i32_e32 vcc, 16, v7
	v_cndmask_b32_e32 v2, 0, v2, vcc
	v_cndmask_b32_e32 v1, 7, v1, vcc
	v_cmp_eq_u64_e64 s[28:29], 0, v[1:2]
	v_min_i32_e32 v2, 15, v7
	v_lshlrev_b32_e32 v2, 3, v2
	v_cmp_eq_u32_e32 vcc, 0, v7
	v_and_b32_e32 v2, 0xf8, v2
	v_and_or_b32 v1, v1, 7, v2
	s_and_b64 s[28:29], vcc, s[28:29]
	v_cndmask_b32_e64 v1, v1, 0, s[28:29]
	v_or_b32_e32 v1, v1, v6
	buffer_store_dword v1, off, s[0:3], s33 offset:184 ; 4-byte Folded Spill
.LBB4_2546:                             ;   in Loop: Header=BB4_2468 Depth=3
	s_or_b64 exec, exec, s[36:37]
                                        ; implicit-def: $vgpr6
.LBB4_2547:                             ;   in Loop: Header=BB4_2468 Depth=3
	s_andn2_saveexec_b64 s[28:29], s[34:35]
	s_cbranch_execz .LBB4_2549
; %bb.2548:                             ;   in Loop: Header=BB4_2468 Depth=3
	v_or_b32_e32 v1, 0x7e, v6
	buffer_store_dword v1, off, s[0:3], s33 offset:184 ; 4-byte Folded Spill
.LBB4_2549:                             ;   in Loop: Header=BB4_2468 Depth=3
	s_or_b64 exec, exec, s[28:29]
                                        ; implicit-def: $vgpr7
.LBB4_2550:                             ;   in Loop: Header=BB4_2468 Depth=3
	s_andn2_saveexec_b64 s[28:29], s[30:31]
	s_cbranch_execz .LBB4_2552
; %bb.2551:                             ;   in Loop: Header=BB4_2468 Depth=3
	v_or_b32_sdwa v1, v7, s71 dst_sel:DWORD dst_unused:UNUSED_PAD src0_sel:BYTE_3 src1_sel:DWORD
	buffer_store_dword v1, off, s[0:3], s33 offset:184 ; 4-byte Folded Spill
.LBB4_2552:                             ;   in Loop: Header=BB4_2468 Depth=3
	s_or_b64 exec, exec, s[28:29]
	v_cmp_lt_u32_e32 vcc, s57, v20
	v_mov_b32_e32 v6, 0
	v_mov_b32_e32 v24, 0
	s_and_saveexec_b64 s[28:29], vcc
	s_cbranch_execz .LBB4_2558
; %bb.2553:                             ;   in Loop: Header=BB4_2468 Depth=3
	v_lshrrev_b32_e32 v2, 24, v20
	v_cmp_ne_u32_e32 vcc, s70, v2
	v_bfrev_b32_e32 v24, 1
	s_and_saveexec_b64 s[30:31], vcc
	s_cbranch_execz .LBB4_2557
; %bb.2554:                             ;   in Loop: Header=BB4_2468 Depth=3
	v_bfe_u32 v1, v20, 24, 7
	v_cmp_ne_u32_e32 vcc, s71, v1
	v_mov_b32_e32 v24, 0x7f800001
	s_and_saveexec_b64 s[34:35], vcc
	s_cbranch_execz .LBB4_2556
; %bb.2555:                             ;   in Loop: Header=BB4_2468 Depth=3
	v_and_b32_e32 v5, 7, v2
	v_lshrrev_b32_e32 v7, 3, v1
	v_cmp_gt_u32_e32 vcc, 8, v1
	v_ffbh_u32_e32 v1, v5
	v_min_u32_e32 v1, 32, v1
	v_subrev_u32_e32 v24, 28, v1
	v_lshlrev_b64 v[24:25], v24, v[2:3]
	v_sub_u32_e32 v1, 29, v1
	v_and_b32_e32 v24, 7, v24
	v_cndmask_b32_e32 v1, v7, v1, vcc
	v_cndmask_b32_e32 v5, v5, v24, vcc
	v_lshlrev_b32_e32 v2, 24, v2
	v_lshlrev_b32_e32 v5, 20, v5
	v_and_b32_e32 v2, 0x80000000, v2
	v_lshl_add_u32 v1, v1, 23, v0
	v_or3_b32 v24, v2, v1, v5
.LBB4_2556:                             ;   in Loop: Header=BB4_2468 Depth=3
	s_or_b64 exec, exec, s[34:35]
.LBB4_2557:                             ;   in Loop: Header=BB4_2468 Depth=3
	s_or_b64 exec, exec, s[30:31]
.LBB4_2558:                             ;   in Loop: Header=BB4_2468 Depth=3
	s_or_b64 exec, exec, s[28:29]
	v_cmp_lt_u32_e32 vcc, s57, v16
	s_and_saveexec_b64 s[28:29], vcc
	s_cbranch_execz .LBB4_2564
; %bb.2559:                             ;   in Loop: Header=BB4_2468 Depth=3
	v_lshrrev_b32_e32 v2, 24, v16
	v_cmp_ne_u32_e32 vcc, s70, v2
	v_bfrev_b32_e32 v6, 1
	s_and_saveexec_b64 s[30:31], vcc
	s_cbranch_execz .LBB4_2563
; %bb.2560:                             ;   in Loop: Header=BB4_2468 Depth=3
	v_bfe_u32 v1, v16, 24, 7
	v_cmp_ne_u32_e32 vcc, s71, v1
	v_mov_b32_e32 v6, 0x7f800001
	s_and_saveexec_b64 s[34:35], vcc
	s_cbranch_execz .LBB4_2562
; %bb.2561:                             ;   in Loop: Header=BB4_2468 Depth=3
	v_and_b32_e32 v7, 7, v2
	v_lshrrev_b32_e32 v25, 3, v1
	v_cmp_gt_u32_e32 vcc, 8, v1
	v_ffbh_u32_e32 v1, v7
	v_min_u32_e32 v1, 32, v1
	v_subrev_u32_e32 v5, 28, v1
	v_lshlrev_b64 v[5:6], v5, v[2:3]
	v_sub_u32_e32 v1, 29, v1
	v_and_b32_e32 v5, 7, v5
	v_cndmask_b32_e32 v1, v25, v1, vcc
	v_cndmask_b32_e32 v5, v7, v5, vcc
	v_lshlrev_b32_e32 v2, 24, v2
	v_lshlrev_b32_e32 v5, 20, v5
	v_and_b32_e32 v2, 0x80000000, v2
	v_lshl_add_u32 v1, v1, 23, v0
	v_or3_b32 v6, v2, v1, v5
.LBB4_2562:                             ;   in Loop: Header=BB4_2468 Depth=3
	s_or_b64 exec, exec, s[34:35]
.LBB4_2563:                             ;   in Loop: Header=BB4_2468 Depth=3
	s_or_b64 exec, exec, s[30:31]
.LBB4_2564:                             ;   in Loop: Header=BB4_2468 Depth=3
	s_or_b64 exec, exec, s[28:29]
	v_mul_f32_e32 v7, v24, v6
	v_and_b32_e32 v2, 0x7f800000, v7
	v_cmp_ne_u64_e32 vcc, s[62:63], v[2:3]
                                        ; implicit-def: $vgpr55
	s_and_saveexec_b64 s[28:29], vcc
	s_xor_b64 s[30:31], exec, s[28:29]
	s_cbranch_execz .LBB4_2578
; %bb.2565:                             ;   in Loop: Header=BB4_2468 Depth=3
	v_and_b32_e32 v2, 0x7fffffff, v7
	v_cmp_gt_u64_e32 vcc, s[72:73], v[2:3]
	v_and_b32_sdwa v6, v7, s70 dst_sel:DWORD dst_unused:UNUSED_PAD src0_sel:BYTE_3 src1_sel:DWORD
                                        ; implicit-def: $vgpr55
	s_and_saveexec_b64 s[28:29], vcc
	s_xor_b64 s[34:35], exec, s[28:29]
	s_cbranch_execz .LBB4_2575
; %bb.2566:                             ;   in Loop: Header=BB4_2468 Depth=3
	v_mov_b32_e32 v55, 0
	v_cmp_ne_u32_e32 vcc, 0, v7
	s_and_saveexec_b64 s[36:37], vcc
	s_cbranch_execz .LBB4_2574
; %bb.2567:                             ;   in Loop: Header=BB4_2468 Depth=3
	v_bfe_u32 v34, v7, 23, 8
	v_cmp_gt_u32_e64 s[28:29], s80, v34
	v_sub_u32_e32 v2, 0x79, v34
	v_and_b32_e32 v1, 0x7fffff, v7
	v_cmp_eq_u32_e32 vcc, 0, v34
	v_cndmask_b32_e64 v2, 0, v2, s[28:29]
	v_mov_b32_e32 v7, 0x78
	v_or_b32_e32 v5, 0x800000, v1
	v_cndmask_b32_e32 v7, v2, v7, vcc
	v_cndmask_b32_e32 v2, v5, v1, vcc
	v_add_u32_e32 v1, 20, v7
	v_lshlrev_b64 v[24:25], v1, -1
	v_add_u32_e32 v1, 19, v7
	v_lshlrev_b64 v[35:36], v1, 1
	v_bfi_b32 v25, v25, 0, 0
	v_bfi_b32 v24, v24, 0, v2
	v_cmp_eq_u64_e64 s[28:29], v[24:25], v[35:36]
	v_lshrrev_b64 v[24:25], v7, v[2:3]
	v_mov_b32_e32 v53, v25
	v_mov_b32_e32 v52, v24
	s_and_saveexec_b64 s[38:39], s[28:29]
; %bb.2568:                             ;   in Loop: Header=BB4_2468 Depth=3
	v_bfe_u32 v1, v24, 20, 1
	v_add_co_u32_e64 v1, s[28:29], v24, v1
	v_add_co_u32_e64 v52, s[28:29], -1, v1
; %bb.2569:                             ;   in Loop: Header=BB4_2468 Depth=3
	s_or_b64 exec, exec, s[38:39]
	v_add_u32_e32 v1, 0xffffff81, v34
	v_mov_b32_e32 v2, 0xffffff82
	v_cndmask_b32_e32 v1, v1, v2, vcc
	v_lshrrev_b32_e32 v2, 23, v24
	v_add3_u32 v5, v7, v1, v2
	v_add_u32_e32 v1, 6, v5
	v_and_b32_e32 v2, 0xfffff, v52
	v_add_u32_e32 v2, v2, v24
	v_cmp_ne_u32_e32 vcc, 0, v1
                                        ; implicit-def: $vgpr24_vgpr25
                                        ; implicit-def: $vgpr7
	s_and_saveexec_b64 s[28:29], vcc
	s_xor_b64 s[28:29], exec, s[28:29]
; %bb.2570:                             ;   in Loop: Header=BB4_2468 Depth=3
	v_cmp_lt_u64_e32 vcc, s[88:89], v[2:3]
	v_add_u32_e32 v5, 7, v5
	v_cndmask_b32_e32 v7, v1, v5, vcc
	v_cndmask_b32_e64 v1, 0, 1, vcc
	v_lshrrev_b64 v[24:25], v1, v[2:3]
; %bb.2571:                             ;   in Loop: Header=BB4_2468 Depth=3
	s_andn2_saveexec_b64 s[28:29], s[28:29]
; %bb.2572:                             ;   in Loop: Header=BB4_2468 Depth=3
	v_mov_b32_e32 v25, v3
	v_bfe_u32 v7, v2, 23, 1
	v_mov_b32_e32 v24, v2
; %bb.2573:                             ;   in Loop: Header=BB4_2468 Depth=3
	s_or_b64 exec, exec, s[28:29]
	v_lshrrev_b64 v[1:2], 20, v[24:25]
	v_cmp_gt_i32_e32 vcc, 16, v7
	v_cndmask_b32_e32 v2, 0, v2, vcc
	v_cndmask_b32_e32 v1, 7, v1, vcc
	v_cmp_eq_u64_e64 s[28:29], 0, v[1:2]
	v_min_i32_e32 v2, 15, v7
	v_lshlrev_b32_e32 v2, 3, v2
	v_cmp_eq_u32_e32 vcc, 0, v7
	v_and_b32_e32 v2, 0xf8, v2
	v_and_or_b32 v1, v1, 7, v2
	s_and_b64 s[28:29], vcc, s[28:29]
	v_cndmask_b32_e64 v1, v1, 0, s[28:29]
	v_or_b32_e32 v55, v1, v6
.LBB4_2574:                             ;   in Loop: Header=BB4_2468 Depth=3
	s_or_b64 exec, exec, s[36:37]
                                        ; implicit-def: $vgpr6
.LBB4_2575:                             ;   in Loop: Header=BB4_2468 Depth=3
	s_andn2_saveexec_b64 s[28:29], s[34:35]
; %bb.2576:                             ;   in Loop: Header=BB4_2468 Depth=3
	v_or_b32_e32 v55, 0x7e, v6
; %bb.2577:                             ;   in Loop: Header=BB4_2468 Depth=3
	s_or_b64 exec, exec, s[28:29]
                                        ; implicit-def: $vgpr7
.LBB4_2578:                             ;   in Loop: Header=BB4_2468 Depth=3
	s_andn2_saveexec_b64 s[28:29], s[30:31]
; %bb.2579:                             ;   in Loop: Header=BB4_2468 Depth=3
	v_or_b32_sdwa v55, v7, s71 dst_sel:DWORD dst_unused:UNUSED_PAD src0_sel:BYTE_3 src1_sel:DWORD
; %bb.2580:                             ;   in Loop: Header=BB4_2468 Depth=3
	s_or_b64 exec, exec, s[28:29]
	v_mov_b32_e32 v2, v21
	v_cmp_ne_u16_sdwa s[44:45], v21, v3 src0_sel:BYTE_0 src1_sel:DWORD
	v_mov_b32_e32 v24, 0
	v_mov_b32_e32 v6, 0
	s_and_saveexec_b64 s[28:29], s[44:45]
	s_cbranch_execz .LBB4_2586
; %bb.2581:                             ;   in Loop: Header=BB4_2468 Depth=3
	v_cmp_ne_u16_sdwa s[44:45], v21, s70 src0_sel:BYTE_0 src1_sel:DWORD
	v_bfrev_b32_e32 v6, 1
	s_and_saveexec_b64 s[30:31], s[44:45]
	s_cbranch_execz .LBB4_2585
; %bb.2582:                             ;   in Loop: Header=BB4_2468 Depth=3
	v_and_b32_e32 v1, 0x7f, v21
	v_cmp_ne_u32_e32 vcc, s71, v1
	v_mov_b32_e32 v6, 0x7f800001
	s_and_saveexec_b64 s[34:35], vcc
	s_cbranch_execz .LBB4_2584
; %bb.2583:                             ;   in Loop: Header=BB4_2468 Depth=3
	v_and_b32_e32 v5, 7, v21
	v_lshrrev_b32_e32 v6, 3, v1
	v_cmp_gt_u32_e32 vcc, 8, v1
	v_ffbh_u32_e32 v1, v5
	v_min_u32_e32 v1, 32, v1
	v_subrev_u32_e32 v5, 28, v1
	v_sub_u32_e32 v1, 29, v1
	v_cndmask_b32_e32 v5, 0, v5, vcc
	v_cndmask_b32_e32 v1, v6, v1, vcc
	v_lshlrev_b64 v[5:6], v5, v[2:3]
	v_lshlrev_b32_e32 v6, 24, v2
	v_lshlrev_b32_e32 v5, 20, v5
	v_and_b32_e32 v5, 0x700000, v5
	v_and_b32_e32 v6, 0x80000000, v6
	v_lshl_add_u32 v1, v1, 23, v0
	v_or3_b32 v6, v6, v1, v5
.LBB4_2584:                             ;   in Loop: Header=BB4_2468 Depth=3
	s_or_b64 exec, exec, s[34:35]
.LBB4_2585:                             ;   in Loop: Header=BB4_2468 Depth=3
	s_or_b64 exec, exec, s[30:31]
.LBB4_2586:                             ;   in Loop: Header=BB4_2468 Depth=3
	s_or_b64 exec, exec, s[28:29]
	v_cmp_ne_u16_sdwa s[44:45], v17, v3 src0_sel:BYTE_0 src1_sel:DWORD
	s_and_saveexec_b64 s[28:29], s[44:45]
	s_cbranch_execz .LBB4_2592
; %bb.2587:                             ;   in Loop: Header=BB4_2468 Depth=3
	v_cmp_ne_u16_sdwa s[44:45], v17, s70 src0_sel:BYTE_0 src1_sel:DWORD
	v_bfrev_b32_e32 v24, 1
	s_and_saveexec_b64 s[30:31], s[44:45]
	s_cbranch_execz .LBB4_2591
; %bb.2588:                             ;   in Loop: Header=BB4_2468 Depth=3
	v_and_b32_e32 v1, 0x7f, v17
	v_cmp_ne_u32_e32 vcc, s71, v1
	v_mov_b32_e32 v24, 0x7f800001
	s_and_saveexec_b64 s[34:35], vcc
	s_cbranch_execz .LBB4_2590
; %bb.2589:                             ;   in Loop: Header=BB4_2468 Depth=3
	v_and_b32_e32 v5, 7, v17
	v_lshrrev_b32_e32 v7, 3, v1
	v_cmp_gt_u32_e32 vcc, 8, v1
	v_ffbh_u32_e32 v1, v5
	v_min_u32_e32 v1, 32, v1
	v_subrev_u32_e32 v5, 28, v1
	v_mov_b32_e32 v24, v17
	v_mov_b32_e32 v25, v3
	v_cndmask_b32_e32 v5, 0, v5, vcc
	v_lshlrev_b64 v[34:35], v5, v[24:25]
	v_sub_u32_e32 v1, 29, v1
	v_cndmask_b32_e32 v1, v7, v1, vcc
	v_lshlrev_b32_e32 v5, 20, v34
	v_lshlrev_b32_e32 v7, 24, v24
	v_and_b32_e32 v5, 0x700000, v5
	v_and_b32_e32 v7, 0x80000000, v7
	v_lshl_add_u32 v1, v1, 23, v0
	v_or3_b32 v24, v7, v1, v5
.LBB4_2590:                             ;   in Loop: Header=BB4_2468 Depth=3
	s_or_b64 exec, exec, s[34:35]
.LBB4_2591:                             ;   in Loop: Header=BB4_2468 Depth=3
	s_or_b64 exec, exec, s[30:31]
.LBB4_2592:                             ;   in Loop: Header=BB4_2468 Depth=3
	s_or_b64 exec, exec, s[28:29]
	v_mul_f32_e32 v7, v6, v24
	v_and_b32_e32 v5, 0x7f800000, v7
	v_mov_b32_e32 v6, v3
	v_cmp_ne_u64_e32 vcc, s[62:63], v[5:6]
                                        ; implicit-def: $vgpr37
	s_and_saveexec_b64 s[28:29], vcc
	s_xor_b64 s[30:31], exec, s[28:29]
	s_cbranch_execz .LBB4_2606
; %bb.2593:                             ;   in Loop: Header=BB4_2468 Depth=3
	v_and_b32_e32 v5, 0x7fffffff, v7
	v_mov_b32_e32 v6, v3
	v_cmp_gt_u64_e32 vcc, s[72:73], v[5:6]
	v_and_b32_sdwa v34, v7, s70 dst_sel:DWORD dst_unused:UNUSED_PAD src0_sel:BYTE_3 src1_sel:DWORD
                                        ; implicit-def: $vgpr37
	s_and_saveexec_b64 s[28:29], vcc
	s_xor_b64 s[34:35], exec, s[28:29]
	s_cbranch_execz .LBB4_2603
; %bb.2594:                             ;   in Loop: Header=BB4_2468 Depth=3
	v_mov_b32_e32 v37, 0
	v_cmp_ne_u32_e32 vcc, 0, v7
	s_and_saveexec_b64 s[36:37], vcc
	s_cbranch_execz .LBB4_2602
; %bb.2595:                             ;   in Loop: Header=BB4_2468 Depth=3
	v_bfe_u32 v6, v7, 23, 8
	v_cmp_gt_u32_e64 s[28:29], s80, v6
	v_sub_u32_e32 v5, 0x79, v6
	v_and_b32_e32 v1, 0x7fffff, v7
	v_cmp_eq_u32_e32 vcc, 0, v6
	v_cndmask_b32_e64 v5, 0, v5, s[28:29]
	v_mov_b32_e32 v7, 0x78
	v_or_b32_e32 v24, 0x800000, v1
	v_cndmask_b32_e32 v7, v5, v7, vcc
	v_cndmask_b32_e32 v24, v24, v1, vcc
	v_add_u32_e32 v1, 20, v7
	v_lshlrev_b64 v[35:36], v1, -1
	v_mov_b32_e32 v25, v3
	v_add_u32_e32 v1, 19, v7
	v_bfi_b32 v35, v35, 0, v24
	v_lshlrev_b64 v[50:51], v1, 1
	v_lshrrev_b64 v[24:25], v7, v[24:25]
	v_bfi_b32 v36, v36, 0, 0
	v_cmp_eq_u64_e64 s[28:29], v[35:36], v[50:51]
	v_mov_b32_e32 v53, v25
	v_mov_b32_e32 v52, v24
	s_and_saveexec_b64 s[38:39], s[28:29]
; %bb.2596:                             ;   in Loop: Header=BB4_2468 Depth=3
	v_bfe_u32 v1, v24, 20, 1
	v_add_co_u32_e64 v1, s[28:29], v24, v1
	v_add_co_u32_e64 v52, s[28:29], -1, v1
; %bb.2597:                             ;   in Loop: Header=BB4_2468 Depth=3
	s_or_b64 exec, exec, s[38:39]
	v_add_u32_e32 v1, 0xffffff81, v6
	v_mov_b32_e32 v5, 0xffffff82
	v_cndmask_b32_e32 v1, v1, v5, vcc
	v_lshrrev_b32_e32 v5, 23, v24
	v_add3_u32 v5, v7, v1, v5
	v_add_u32_e32 v1, 6, v5
	v_and_b32_e32 v6, 0xfffff, v52
	v_add_u32_e32 v24, v6, v24
	v_mov_b32_e32 v25, v3
	v_cmp_ne_u32_e32 vcc, 0, v1
                                        ; implicit-def: $vgpr6
	s_and_saveexec_b64 s[28:29], vcc
	s_xor_b64 s[28:29], exec, s[28:29]
; %bb.2598:                             ;   in Loop: Header=BB4_2468 Depth=3
	v_cmp_lt_u64_e32 vcc, s[88:89], v[24:25]
	v_add_u32_e32 v5, 7, v5
	v_cndmask_b32_e32 v6, v1, v5, vcc
	v_cndmask_b32_e64 v1, 0, 1, vcc
	v_lshrrev_b64 v[24:25], v1, v[24:25]
; %bb.2599:                             ;   in Loop: Header=BB4_2468 Depth=3
	s_andn2_saveexec_b64 s[28:29], s[28:29]
; %bb.2600:                             ;   in Loop: Header=BB4_2468 Depth=3
	v_bfe_u32 v6, v24, 23, 1
; %bb.2601:                             ;   in Loop: Header=BB4_2468 Depth=3
	s_or_b64 exec, exec, s[28:29]
	v_lshrrev_b64 v[24:25], 20, v[24:25]
	v_cmp_gt_i32_e32 vcc, 16, v6
	v_cndmask_b32_e32 v25, 0, v25, vcc
	v_cndmask_b32_e32 v24, 7, v24, vcc
	v_min_i32_e32 v1, 15, v6
	v_cmp_eq_u64_e64 s[28:29], 0, v[24:25]
	v_lshlrev_b32_e32 v1, 3, v1
	v_cmp_eq_u32_e32 vcc, 0, v6
	v_and_b32_e32 v1, 0xf8, v1
	v_and_or_b32 v1, v24, 7, v1
	s_and_b64 s[28:29], vcc, s[28:29]
	v_cndmask_b32_e64 v1, v1, 0, s[28:29]
	v_or_b32_e32 v37, v1, v34
.LBB4_2602:                             ;   in Loop: Header=BB4_2468 Depth=3
	s_or_b64 exec, exec, s[36:37]
                                        ; implicit-def: $vgpr34
.LBB4_2603:                             ;   in Loop: Header=BB4_2468 Depth=3
	s_andn2_saveexec_b64 s[28:29], s[34:35]
; %bb.2604:                             ;   in Loop: Header=BB4_2468 Depth=3
	v_or_b32_e32 v37, 0x7e, v34
; %bb.2605:                             ;   in Loop: Header=BB4_2468 Depth=3
	s_or_b64 exec, exec, s[28:29]
                                        ; implicit-def: $vgpr7
.LBB4_2606:                             ;   in Loop: Header=BB4_2468 Depth=3
	s_andn2_saveexec_b64 s[28:29], s[30:31]
; %bb.2607:                             ;   in Loop: Header=BB4_2468 Depth=3
	v_or_b32_sdwa v37, v7, s71 dst_sel:DWORD dst_unused:UNUSED_PAD src0_sel:BYTE_3 src1_sel:DWORD
; %bb.2608:                             ;   in Loop: Header=BB4_2468 Depth=3
	s_or_b64 exec, exec, s[28:29]
	v_lshrrev_b16_e32 v24, 8, v2
	v_cmp_ne_u16_e32 vcc, 0, v24
	v_mov_b32_e32 v25, 0
	v_mov_b32_e32 v34, 0
	s_and_saveexec_b64 s[28:29], vcc
	s_cbranch_execz .LBB4_2614
; %bb.2609:                             ;   in Loop: Header=BB4_2468 Depth=3
	v_cmp_ne_u16_e32 vcc, s70, v24
	v_bfrev_b32_e32 v34, 1
	s_and_saveexec_b64 s[30:31], vcc
	s_cbranch_execz .LBB4_2613
; %bb.2610:                             ;   in Loop: Header=BB4_2468 Depth=3
	v_and_b32_e32 v1, 0x7f, v24
	v_cmp_ne_u32_e32 vcc, s71, v1
	v_mov_b32_e32 v34, 0x7f800001
	s_and_saveexec_b64 s[34:35], vcc
	s_cbranch_execz .LBB4_2612
; %bb.2611:                             ;   in Loop: Header=BB4_2468 Depth=3
	v_and_b32_e32 v5, 7, v24
	v_lshrrev_b32_e32 v6, 3, v1
	v_cmp_gt_u32_e32 vcc, 8, v1
	v_ffbh_u32_e32 v1, v5
	v_min_u32_e32 v1, 32, v1
	v_subrev_u32_e32 v7, 28, v1
	v_lshlrev_b64 v[34:35], v7, v[24:25]
	v_sub_u32_e32 v1, 29, v1
	v_and_b32_e32 v7, 7, v34
	v_cndmask_b32_e32 v1, v6, v1, vcc
	v_cndmask_b32_e32 v5, v5, v7, vcc
	v_lshlrev_b32_e32 v2, 16, v2
	v_lshlrev_b32_e32 v5, 20, v5
	v_and_b32_e32 v2, 0x80000000, v2
	v_lshl_add_u32 v1, v1, 23, v0
	v_or3_b32 v34, v2, v1, v5
.LBB4_2612:                             ;   in Loop: Header=BB4_2468 Depth=3
	s_or_b64 exec, exec, s[34:35]
.LBB4_2613:                             ;   in Loop: Header=BB4_2468 Depth=3
	s_or_b64 exec, exec, s[30:31]
.LBB4_2614:                             ;   in Loop: Header=BB4_2468 Depth=3
	s_or_b64 exec, exec, s[28:29]
	v_lshrrev_b16_e32 v2, 8, v17
	v_cmp_ne_u16_e32 vcc, 0, v2
	s_and_saveexec_b64 s[28:29], vcc
	s_cbranch_execz .LBB4_2620
; %bb.2615:                             ;   in Loop: Header=BB4_2468 Depth=3
	v_cmp_ne_u16_e32 vcc, s70, v2
	v_bfrev_b32_e32 v25, 1
	s_and_saveexec_b64 s[30:31], vcc
	s_cbranch_execz .LBB4_2619
; %bb.2616:                             ;   in Loop: Header=BB4_2468 Depth=3
	v_and_b32_e32 v1, 0x7f, v2
	v_cmp_ne_u32_e32 vcc, s71, v1
	v_mov_b32_e32 v25, 0x7f800001
	s_and_saveexec_b64 s[34:35], vcc
	s_cbranch_execz .LBB4_2618
; %bb.2617:                             ;   in Loop: Header=BB4_2468 Depth=3
	v_and_b32_e32 v5, 7, v2
	v_lshrrev_b32_e32 v6, 3, v1
	v_cmp_gt_u32_e32 vcc, 8, v1
	v_ffbh_u32_e32 v1, v5
	v_min_u32_e32 v7, 32, v1
	v_subrev_u32_e32 v1, 28, v7
	v_lshlrev_b64 v[1:2], v1, v[2:3]
	v_sub_u32_e32 v2, 29, v7
	v_and_b32_e32 v1, 7, v1
	v_cndmask_b32_e32 v2, v6, v2, vcc
	v_cndmask_b32_e32 v1, v5, v1, vcc
	v_lshlrev_b32_e32 v5, 16, v17
	v_lshlrev_b32_e32 v1, 20, v1
	v_and_b32_e32 v5, 0x80000000, v5
	v_lshl_add_u32 v2, v2, 23, v0
	v_or3_b32 v25, v5, v2, v1
.LBB4_2618:                             ;   in Loop: Header=BB4_2468 Depth=3
	s_or_b64 exec, exec, s[34:35]
.LBB4_2619:                             ;   in Loop: Header=BB4_2468 Depth=3
	s_or_b64 exec, exec, s[30:31]
.LBB4_2620:                             ;   in Loop: Header=BB4_2468 Depth=3
	s_or_b64 exec, exec, s[28:29]
	v_mul_f32_e32 v7, v34, v25
	v_and_b32_e32 v2, 0x7f800000, v7
	v_cmp_ne_u64_e32 vcc, s[62:63], v[2:3]
                                        ; implicit-def: $vgpr34
	s_and_saveexec_b64 s[28:29], vcc
	s_xor_b64 s[30:31], exec, s[28:29]
	s_cbranch_execz .LBB4_2634
; %bb.2621:                             ;   in Loop: Header=BB4_2468 Depth=3
	v_and_b32_e32 v2, 0x7fffffff, v7
	v_cmp_gt_u64_e32 vcc, s[72:73], v[2:3]
	v_and_b32_sdwa v35, v7, s70 dst_sel:DWORD dst_unused:UNUSED_PAD src0_sel:BYTE_3 src1_sel:DWORD
                                        ; implicit-def: $vgpr34
	s_and_saveexec_b64 s[28:29], vcc
	s_xor_b64 s[34:35], exec, s[28:29]
	s_cbranch_execz .LBB4_2631
; %bb.2622:                             ;   in Loop: Header=BB4_2468 Depth=3
	v_mov_b32_e32 v34, 0
	v_cmp_ne_u32_e32 vcc, 0, v7
	s_and_saveexec_b64 s[36:37], vcc
	s_cbranch_execz .LBB4_2630
; %bb.2623:                             ;   in Loop: Header=BB4_2468 Depth=3
	v_bfe_u32 v34, v7, 23, 8
	v_cmp_gt_u32_e64 s[28:29], s80, v34
	v_sub_u32_e32 v2, 0x79, v34
	v_and_b32_e32 v1, 0x7fffff, v7
	v_cmp_eq_u32_e32 vcc, 0, v34
	v_cndmask_b32_e64 v2, 0, v2, s[28:29]
	v_mov_b32_e32 v6, 0x78
	v_or_b32_e32 v5, 0x800000, v1
	v_cndmask_b32_e32 v7, v2, v6, vcc
	v_cndmask_b32_e32 v2, v5, v1, vcc
	v_add_u32_e32 v1, 20, v7
	v_lshlrev_b64 v[24:25], v1, -1
	v_add_u32_e32 v1, 19, v7
	v_lshlrev_b64 v[50:51], v1, 1
	v_bfi_b32 v25, v25, 0, 0
	v_bfi_b32 v24, v24, 0, v2
	v_cmp_eq_u64_e64 s[28:29], v[24:25], v[50:51]
	v_lshrrev_b64 v[24:25], v7, v[2:3]
	v_mov_b32_e32 v53, v25
	v_mov_b32_e32 v52, v24
	s_and_saveexec_b64 s[38:39], s[28:29]
; %bb.2624:                             ;   in Loop: Header=BB4_2468 Depth=3
	v_bfe_u32 v1, v24, 20, 1
	v_add_co_u32_e64 v1, s[28:29], v24, v1
	v_add_co_u32_e64 v52, s[28:29], -1, v1
; %bb.2625:                             ;   in Loop: Header=BB4_2468 Depth=3
	s_or_b64 exec, exec, s[38:39]
	v_add_u32_e32 v1, 0xffffff81, v34
	v_mov_b32_e32 v2, 0xffffff82
	v_cndmask_b32_e32 v1, v1, v2, vcc
	v_lshrrev_b32_e32 v2, 23, v24
	v_add3_u32 v5, v7, v1, v2
	v_add_u32_e32 v1, 6, v5
	v_and_b32_e32 v2, 0xfffff, v52
	v_add_u32_e32 v2, v2, v24
	v_cmp_ne_u32_e32 vcc, 0, v1
                                        ; implicit-def: $vgpr24_vgpr25
                                        ; implicit-def: $vgpr7
	s_and_saveexec_b64 s[28:29], vcc
	s_xor_b64 s[28:29], exec, s[28:29]
; %bb.2626:                             ;   in Loop: Header=BB4_2468 Depth=3
	v_cmp_lt_u64_e32 vcc, s[88:89], v[2:3]
	v_add_u32_e32 v5, 7, v5
	v_cndmask_b32_e32 v7, v1, v5, vcc
	v_cndmask_b32_e64 v1, 0, 1, vcc
	v_lshrrev_b64 v[24:25], v1, v[2:3]
; %bb.2627:                             ;   in Loop: Header=BB4_2468 Depth=3
	s_andn2_saveexec_b64 s[28:29], s[28:29]
; %bb.2628:                             ;   in Loop: Header=BB4_2468 Depth=3
	v_mov_b32_e32 v25, v3
	v_bfe_u32 v7, v2, 23, 1
	v_mov_b32_e32 v24, v2
; %bb.2629:                             ;   in Loop: Header=BB4_2468 Depth=3
	s_or_b64 exec, exec, s[28:29]
	v_lshrrev_b64 v[1:2], 20, v[24:25]
	v_cmp_gt_i32_e32 vcc, 16, v7
	v_cndmask_b32_e32 v2, 0, v2, vcc
	v_cndmask_b32_e32 v1, 7, v1, vcc
	v_cmp_eq_u64_e64 s[28:29], 0, v[1:2]
	v_min_i32_e32 v2, 15, v7
	v_lshlrev_b32_e32 v2, 3, v2
	v_cmp_eq_u32_e32 vcc, 0, v7
	v_and_b32_e32 v2, 0xf8, v2
	v_and_or_b32 v1, v1, 7, v2
	s_and_b64 s[28:29], vcc, s[28:29]
	v_cndmask_b32_e64 v1, v1, 0, s[28:29]
	v_or_b32_e32 v34, v1, v35
.LBB4_2630:                             ;   in Loop: Header=BB4_2468 Depth=3
	s_or_b64 exec, exec, s[36:37]
                                        ; implicit-def: $vgpr35
.LBB4_2631:                             ;   in Loop: Header=BB4_2468 Depth=3
	s_andn2_saveexec_b64 s[28:29], s[34:35]
; %bb.2632:                             ;   in Loop: Header=BB4_2468 Depth=3
	v_or_b32_e32 v34, 0x7e, v35
; %bb.2633:                             ;   in Loop: Header=BB4_2468 Depth=3
	s_or_b64 exec, exec, s[28:29]
                                        ; implicit-def: $vgpr7
.LBB4_2634:                             ;   in Loop: Header=BB4_2468 Depth=3
	s_andn2_saveexec_b64 s[28:29], s[30:31]
; %bb.2635:                             ;   in Loop: Header=BB4_2468 Depth=3
	v_or_b32_sdwa v34, v7, s71 dst_sel:DWORD dst_unused:UNUSED_PAD src0_sel:BYTE_3 src1_sel:DWORD
; %bb.2636:                             ;   in Loop: Header=BB4_2468 Depth=3
	s_or_b64 exec, exec, s[28:29]
	v_lshrrev_b32_e32 v2, 16, v21
	v_cmp_ne_u16_sdwa s[44:45], v2, v3 src0_sel:BYTE_0 src1_sel:DWORD
	v_mov_b32_e32 v24, 0
	v_mov_b32_e32 v25, 0
	s_and_saveexec_b64 s[28:29], s[44:45]
	s_cbranch_execz .LBB4_2642
; %bb.2637:                             ;   in Loop: Header=BB4_2468 Depth=3
	v_cmp_ne_u16_sdwa s[44:45], v2, s70 src0_sel:BYTE_0 src1_sel:DWORD
	v_bfrev_b32_e32 v25, 1
	s_and_saveexec_b64 s[30:31], s[44:45]
	s_cbranch_execz .LBB4_2641
; %bb.2638:                             ;   in Loop: Header=BB4_2468 Depth=3
	v_bfe_u32 v1, v21, 16, 7
	v_cmp_ne_u32_e32 vcc, s71, v1
	v_mov_b32_e32 v25, 0x7f800001
	s_and_saveexec_b64 s[34:35], vcc
	s_cbranch_execz .LBB4_2640
; %bb.2639:                             ;   in Loop: Header=BB4_2468 Depth=3
	v_and_b32_e32 v5, 7, v2
	v_lshrrev_b32_e32 v6, 3, v1
	v_cmp_gt_u32_e32 vcc, 8, v1
	v_ffbh_u32_e32 v1, v5
	v_min_u32_e32 v1, 32, v1
	v_subrev_u32_e32 v7, 28, v1
	v_lshlrev_b64 v[35:36], v7, v[2:3]
	v_sub_u32_e32 v1, 29, v1
	v_and_b32_e32 v7, 7, v35
	v_cndmask_b32_e32 v1, v6, v1, vcc
	v_cndmask_b32_e32 v5, v5, v7, vcc
	v_lshlrev_b32_e32 v2, 24, v2
	v_lshlrev_b32_e32 v5, 20, v5
	v_and_b32_e32 v2, 0x80000000, v2
	v_lshl_add_u32 v1, v1, 23, v0
	v_or3_b32 v25, v2, v1, v5
.LBB4_2640:                             ;   in Loop: Header=BB4_2468 Depth=3
	s_or_b64 exec, exec, s[34:35]
.LBB4_2641:                             ;   in Loop: Header=BB4_2468 Depth=3
	s_or_b64 exec, exec, s[30:31]
.LBB4_2642:                             ;   in Loop: Header=BB4_2468 Depth=3
	s_or_b64 exec, exec, s[28:29]
	v_lshrrev_b32_e32 v2, 16, v17
	v_cmp_ne_u16_sdwa s[44:45], v2, v3 src0_sel:BYTE_0 src1_sel:DWORD
	s_and_saveexec_b64 s[28:29], s[44:45]
	s_cbranch_execz .LBB4_2648
; %bb.2643:                             ;   in Loop: Header=BB4_2468 Depth=3
	v_cmp_ne_u16_sdwa s[44:45], v2, s70 src0_sel:BYTE_0 src1_sel:DWORD
	v_bfrev_b32_e32 v24, 1
	s_and_saveexec_b64 s[30:31], s[44:45]
	s_cbranch_execz .LBB4_2647
; %bb.2644:                             ;   in Loop: Header=BB4_2468 Depth=3
	v_bfe_u32 v1, v17, 16, 7
	v_cmp_ne_u32_e32 vcc, s71, v1
	v_mov_b32_e32 v24, 0x7f800001
	s_and_saveexec_b64 s[34:35], vcc
	s_cbranch_execz .LBB4_2646
; %bb.2645:                             ;   in Loop: Header=BB4_2468 Depth=3
	v_and_b32_e32 v5, 7, v2
	v_lshrrev_b32_e32 v6, 3, v1
	v_cmp_gt_u32_e32 vcc, 8, v1
	v_ffbh_u32_e32 v1, v5
	v_min_u32_e32 v7, 32, v1
	v_subrev_u32_e32 v1, 28, v7
	v_lshlrev_b64 v[1:2], v1, v[2:3]
	v_sub_u32_e32 v2, 29, v7
	v_and_b32_e32 v1, 7, v1
	v_cndmask_b32_e32 v2, v6, v2, vcc
	v_cndmask_b32_e32 v1, v5, v1, vcc
	v_lshlrev_b32_e32 v5, 8, v17
	v_lshlrev_b32_e32 v1, 20, v1
	v_and_b32_e32 v5, 0x80000000, v5
	v_lshl_add_u32 v2, v2, 23, v0
	v_or3_b32 v24, v5, v2, v1
.LBB4_2646:                             ;   in Loop: Header=BB4_2468 Depth=3
	s_or_b64 exec, exec, s[34:35]
.LBB4_2647:                             ;   in Loop: Header=BB4_2468 Depth=3
	s_or_b64 exec, exec, s[30:31]
.LBB4_2648:                             ;   in Loop: Header=BB4_2468 Depth=3
	s_or_b64 exec, exec, s[28:29]
	v_mul_f32_e32 v7, v25, v24
	v_and_b32_e32 v2, 0x7f800000, v7
	v_cmp_ne_u64_e32 vcc, s[62:63], v[2:3]
                                        ; implicit-def: $vgpr24
	s_and_saveexec_b64 s[28:29], vcc
	s_xor_b64 s[30:31], exec, s[28:29]
	s_cbranch_execz .LBB4_2662
; %bb.2649:                             ;   in Loop: Header=BB4_2468 Depth=3
	v_and_b32_e32 v2, 0x7fffffff, v7
	v_cmp_gt_u64_e32 vcc, s[72:73], v[2:3]
	v_and_b32_sdwa v35, v7, s70 dst_sel:DWORD dst_unused:UNUSED_PAD src0_sel:BYTE_3 src1_sel:DWORD
                                        ; implicit-def: $vgpr24
	s_and_saveexec_b64 s[28:29], vcc
	s_xor_b64 s[34:35], exec, s[28:29]
	s_cbranch_execz .LBB4_2659
; %bb.2650:                             ;   in Loop: Header=BB4_2468 Depth=3
	v_mov_b32_e32 v24, 0
	v_cmp_ne_u32_e32 vcc, 0, v7
	s_and_saveexec_b64 s[36:37], vcc
	s_cbranch_execz .LBB4_2658
; %bb.2651:                             ;   in Loop: Header=BB4_2468 Depth=3
	v_bfe_u32 v36, v7, 23, 8
	v_cmp_gt_u32_e64 s[28:29], s80, v36
	v_sub_u32_e32 v2, 0x79, v36
	v_and_b32_e32 v1, 0x7fffff, v7
	v_cmp_eq_u32_e32 vcc, 0, v36
	v_cndmask_b32_e64 v2, 0, v2, s[28:29]
	v_mov_b32_e32 v6, 0x78
	v_or_b32_e32 v5, 0x800000, v1
	v_cndmask_b32_e32 v7, v2, v6, vcc
	v_cndmask_b32_e32 v2, v5, v1, vcc
	v_add_u32_e32 v1, 20, v7
	v_lshlrev_b64 v[24:25], v1, -1
	v_add_u32_e32 v1, 19, v7
	v_lshlrev_b64 v[50:51], v1, 1
	v_bfi_b32 v25, v25, 0, 0
	v_bfi_b32 v24, v24, 0, v2
	v_cmp_eq_u64_e64 s[28:29], v[24:25], v[50:51]
	v_lshrrev_b64 v[24:25], v7, v[2:3]
	v_mov_b32_e32 v53, v25
	v_mov_b32_e32 v52, v24
	s_and_saveexec_b64 s[38:39], s[28:29]
; %bb.2652:                             ;   in Loop: Header=BB4_2468 Depth=3
	v_bfe_u32 v1, v24, 20, 1
	v_add_co_u32_e64 v1, s[28:29], v24, v1
	v_add_co_u32_e64 v52, s[28:29], -1, v1
; %bb.2653:                             ;   in Loop: Header=BB4_2468 Depth=3
	s_or_b64 exec, exec, s[38:39]
	v_add_u32_e32 v1, 0xffffff81, v36
	v_mov_b32_e32 v2, 0xffffff82
	v_cndmask_b32_e32 v1, v1, v2, vcc
	v_lshrrev_b32_e32 v2, 23, v24
	v_add3_u32 v5, v7, v1, v2
	v_add_u32_e32 v1, 6, v5
	v_and_b32_e32 v2, 0xfffff, v52
	v_add_u32_e32 v2, v2, v24
	v_cmp_ne_u32_e32 vcc, 0, v1
                                        ; implicit-def: $vgpr24_vgpr25
                                        ; implicit-def: $vgpr7
	s_and_saveexec_b64 s[28:29], vcc
	s_xor_b64 s[28:29], exec, s[28:29]
; %bb.2654:                             ;   in Loop: Header=BB4_2468 Depth=3
	v_cmp_lt_u64_e32 vcc, s[88:89], v[2:3]
	v_add_u32_e32 v5, 7, v5
	v_cndmask_b32_e32 v7, v1, v5, vcc
	v_cndmask_b32_e64 v1, 0, 1, vcc
	v_lshrrev_b64 v[24:25], v1, v[2:3]
; %bb.2655:                             ;   in Loop: Header=BB4_2468 Depth=3
	s_andn2_saveexec_b64 s[28:29], s[28:29]
; %bb.2656:                             ;   in Loop: Header=BB4_2468 Depth=3
	v_mov_b32_e32 v25, v3
	v_bfe_u32 v7, v2, 23, 1
	v_mov_b32_e32 v24, v2
; %bb.2657:                             ;   in Loop: Header=BB4_2468 Depth=3
	s_or_b64 exec, exec, s[28:29]
	v_lshrrev_b64 v[1:2], 20, v[24:25]
	v_cmp_gt_i32_e32 vcc, 16, v7
	v_cndmask_b32_e32 v2, 0, v2, vcc
	v_cndmask_b32_e32 v1, 7, v1, vcc
	v_cmp_eq_u64_e64 s[28:29], 0, v[1:2]
	v_min_i32_e32 v2, 15, v7
	v_lshlrev_b32_e32 v2, 3, v2
	v_cmp_eq_u32_e32 vcc, 0, v7
	v_and_b32_e32 v2, 0xf8, v2
	v_and_or_b32 v1, v1, 7, v2
	s_and_b64 s[28:29], vcc, s[28:29]
	v_cndmask_b32_e64 v1, v1, 0, s[28:29]
	v_or_b32_e32 v24, v1, v35
.LBB4_2658:                             ;   in Loop: Header=BB4_2468 Depth=3
	s_or_b64 exec, exec, s[36:37]
                                        ; implicit-def: $vgpr35
.LBB4_2659:                             ;   in Loop: Header=BB4_2468 Depth=3
	s_andn2_saveexec_b64 s[28:29], s[34:35]
; %bb.2660:                             ;   in Loop: Header=BB4_2468 Depth=3
	v_or_b32_e32 v24, 0x7e, v35
; %bb.2661:                             ;   in Loop: Header=BB4_2468 Depth=3
	s_or_b64 exec, exec, s[28:29]
                                        ; implicit-def: $vgpr7
.LBB4_2662:                             ;   in Loop: Header=BB4_2468 Depth=3
	s_andn2_saveexec_b64 s[28:29], s[30:31]
; %bb.2663:                             ;   in Loop: Header=BB4_2468 Depth=3
	v_or_b32_sdwa v24, v7, s71 dst_sel:DWORD dst_unused:UNUSED_PAD src0_sel:BYTE_3 src1_sel:DWORD
; %bb.2664:                             ;   in Loop: Header=BB4_2468 Depth=3
	s_or_b64 exec, exec, s[28:29]
	v_cmp_lt_u64_e32 vcc, s[56:57], v[20:21]
	v_mov_b32_e32 v20, 0
	v_mov_b32_e32 v25, 0
	s_and_saveexec_b64 s[28:29], vcc
	s_cbranch_execz .LBB4_2670
; %bb.2665:                             ;   in Loop: Header=BB4_2468 Depth=3
	v_lshrrev_b32_e32 v2, 24, v21
	v_cmp_ne_u32_e32 vcc, s70, v2
	v_bfrev_b32_e32 v25, 1
	s_and_saveexec_b64 s[30:31], vcc
	s_cbranch_execz .LBB4_2669
; %bb.2666:                             ;   in Loop: Header=BB4_2468 Depth=3
	v_bfe_u32 v1, v21, 24, 7
	v_cmp_ne_u32_e32 vcc, s71, v1
	v_mov_b32_e32 v25, 0x7f800001
	s_and_saveexec_b64 s[34:35], vcc
	s_cbranch_execz .LBB4_2668
; %bb.2667:                             ;   in Loop: Header=BB4_2468 Depth=3
	v_and_b32_e32 v5, 7, v2
	v_lshrrev_b32_e32 v6, 3, v1
	v_cmp_gt_u32_e32 vcc, 8, v1
	v_ffbh_u32_e32 v1, v5
	v_min_u32_e32 v1, 32, v1
	v_subrev_u32_e32 v7, 28, v1
	v_lshlrev_b64 v[35:36], v7, v[2:3]
	v_sub_u32_e32 v1, 29, v1
	v_and_b32_e32 v7, 7, v35
	v_cndmask_b32_e32 v1, v6, v1, vcc
	v_cndmask_b32_e32 v5, v5, v7, vcc
	v_lshlrev_b32_e32 v2, 24, v2
	v_lshlrev_b32_e32 v5, 20, v5
	v_and_b32_e32 v2, 0x80000000, v2
	v_lshl_add_u32 v1, v1, 23, v0
	v_or3_b32 v25, v2, v1, v5
.LBB4_2668:                             ;   in Loop: Header=BB4_2468 Depth=3
	s_or_b64 exec, exec, s[34:35]
.LBB4_2669:                             ;   in Loop: Header=BB4_2468 Depth=3
	s_or_b64 exec, exec, s[30:31]
.LBB4_2670:                             ;   in Loop: Header=BB4_2468 Depth=3
	s_or_b64 exec, exec, s[28:29]
	v_cmp_lt_u64_e32 vcc, s[56:57], v[16:17]
	s_and_saveexec_b64 s[28:29], vcc
	s_cbranch_execz .LBB4_2676
; %bb.2671:                             ;   in Loop: Header=BB4_2468 Depth=3
	v_lshrrev_b32_e32 v2, 24, v17
	v_cmp_ne_u32_e32 vcc, s70, v2
	v_bfrev_b32_e32 v20, 1
	s_and_saveexec_b64 s[30:31], vcc
	s_cbranch_execz .LBB4_2675
; %bb.2672:                             ;   in Loop: Header=BB4_2468 Depth=3
	v_bfe_u32 v1, v17, 24, 7
	v_cmp_ne_u32_e32 vcc, s71, v1
	v_mov_b32_e32 v20, 0x7f800001
	s_and_saveexec_b64 s[34:35], vcc
	s_cbranch_execz .LBB4_2674
; %bb.2673:                             ;   in Loop: Header=BB4_2468 Depth=3
	v_and_b32_e32 v5, 7, v2
	v_lshrrev_b32_e32 v6, 3, v1
	v_cmp_gt_u32_e32 vcc, 8, v1
	v_ffbh_u32_e32 v1, v5
	v_min_u32_e32 v1, 32, v1
	v_subrev_u32_e32 v7, 28, v1
	v_lshlrev_b64 v[16:17], v7, v[2:3]
	v_sub_u32_e32 v1, 29, v1
	v_and_b32_e32 v7, 7, v16
	v_cndmask_b32_e32 v1, v6, v1, vcc
	v_cndmask_b32_e32 v5, v5, v7, vcc
	v_lshlrev_b32_e32 v2, 24, v2
	v_lshlrev_b32_e32 v5, 20, v5
	v_and_b32_e32 v2, 0x80000000, v2
	v_lshl_add_u32 v1, v1, 23, v0
	v_or3_b32 v20, v2, v1, v5
.LBB4_2674:                             ;   in Loop: Header=BB4_2468 Depth=3
	s_or_b64 exec, exec, s[34:35]
.LBB4_2675:                             ;   in Loop: Header=BB4_2468 Depth=3
	s_or_b64 exec, exec, s[30:31]
.LBB4_2676:                             ;   in Loop: Header=BB4_2468 Depth=3
	s_or_b64 exec, exec, s[28:29]
	v_mul_f32_e32 v7, v25, v20
	v_and_b32_e32 v2, 0x7f800000, v7
	v_cmp_ne_u64_e32 vcc, s[62:63], v[2:3]
                                        ; implicit-def: $vgpr25
	s_and_saveexec_b64 s[28:29], vcc
	s_xor_b64 s[30:31], exec, s[28:29]
	s_cbranch_execz .LBB4_2690
; %bb.2677:                             ;   in Loop: Header=BB4_2468 Depth=3
	v_and_b32_e32 v2, 0x7fffffff, v7
	v_cmp_gt_u64_e32 vcc, s[72:73], v[2:3]
	v_and_b32_sdwa v35, v7, s70 dst_sel:DWORD dst_unused:UNUSED_PAD src0_sel:BYTE_3 src1_sel:DWORD
                                        ; implicit-def: $vgpr25
	s_and_saveexec_b64 s[28:29], vcc
	s_xor_b64 s[34:35], exec, s[28:29]
	s_cbranch_execz .LBB4_2687
; %bb.2678:                             ;   in Loop: Header=BB4_2468 Depth=3
	v_mov_b32_e32 v25, 0
	v_cmp_ne_u32_e32 vcc, 0, v7
	s_and_saveexec_b64 s[36:37], vcc
	s_cbranch_execz .LBB4_2686
; %bb.2679:                             ;   in Loop: Header=BB4_2468 Depth=3
	v_bfe_u32 v25, v7, 23, 8
	v_cmp_gt_u32_e64 s[28:29], s80, v25
	v_sub_u32_e32 v2, 0x79, v25
	v_and_b32_e32 v1, 0x7fffff, v7
	v_cmp_eq_u32_e32 vcc, 0, v25
	v_cndmask_b32_e64 v2, 0, v2, s[28:29]
	v_mov_b32_e32 v6, 0x78
	v_or_b32_e32 v5, 0x800000, v1
	v_cndmask_b32_e32 v7, v2, v6, vcc
	v_cndmask_b32_e32 v2, v5, v1, vcc
	v_add_u32_e32 v1, 20, v7
	v_lshlrev_b64 v[16:17], v1, -1
	v_add_u32_e32 v1, 19, v7
	v_lshlrev_b64 v[20:21], v1, 1
	v_bfi_b32 v17, v17, 0, 0
	v_bfi_b32 v16, v16, 0, v2
	v_cmp_eq_u64_e64 s[28:29], v[16:17], v[20:21]
	v_lshrrev_b64 v[16:17], v7, v[2:3]
	v_mov_b32_e32 v21, v17
	v_mov_b32_e32 v20, v16
	s_and_saveexec_b64 s[38:39], s[28:29]
; %bb.2680:                             ;   in Loop: Header=BB4_2468 Depth=3
	v_bfe_u32 v1, v16, 20, 1
	v_add_co_u32_e64 v1, s[28:29], v16, v1
	v_add_co_u32_e64 v20, s[28:29], -1, v1
; %bb.2681:                             ;   in Loop: Header=BB4_2468 Depth=3
	s_or_b64 exec, exec, s[38:39]
	v_add_u32_e32 v1, 0xffffff81, v25
	v_mov_b32_e32 v2, 0xffffff82
	v_cndmask_b32_e32 v1, v1, v2, vcc
	v_lshrrev_b32_e32 v2, 23, v16
	v_add3_u32 v5, v7, v1, v2
	v_add_u32_e32 v1, 6, v5
	v_and_b32_e32 v2, 0xfffff, v20
	v_add_u32_e32 v2, v2, v16
	v_cmp_ne_u32_e32 vcc, 0, v1
                                        ; implicit-def: $vgpr16_vgpr17
                                        ; implicit-def: $vgpr7
	s_and_saveexec_b64 s[28:29], vcc
	s_xor_b64 s[28:29], exec, s[28:29]
; %bb.2682:                             ;   in Loop: Header=BB4_2468 Depth=3
	v_cmp_lt_u64_e32 vcc, s[88:89], v[2:3]
	v_add_u32_e32 v5, 7, v5
	v_cndmask_b32_e32 v7, v1, v5, vcc
	v_cndmask_b32_e64 v1, 0, 1, vcc
	v_lshrrev_b64 v[16:17], v1, v[2:3]
; %bb.2683:                             ;   in Loop: Header=BB4_2468 Depth=3
	s_andn2_saveexec_b64 s[28:29], s[28:29]
; %bb.2684:                             ;   in Loop: Header=BB4_2468 Depth=3
	v_mov_b32_e32 v17, v3
	v_bfe_u32 v7, v2, 23, 1
	v_mov_b32_e32 v16, v2
; %bb.2685:                             ;   in Loop: Header=BB4_2468 Depth=3
	s_or_b64 exec, exec, s[28:29]
	v_lshrrev_b64 v[1:2], 20, v[16:17]
	v_cmp_gt_i32_e32 vcc, 16, v7
	v_cndmask_b32_e32 v2, 0, v2, vcc
	v_cndmask_b32_e32 v1, 7, v1, vcc
	v_cmp_eq_u64_e64 s[28:29], 0, v[1:2]
	v_min_i32_e32 v2, 15, v7
	v_lshlrev_b32_e32 v2, 3, v2
	v_cmp_eq_u32_e32 vcc, 0, v7
	v_and_b32_e32 v2, 0xf8, v2
	v_and_or_b32 v1, v1, 7, v2
	s_and_b64 s[28:29], vcc, s[28:29]
	v_cndmask_b32_e64 v1, v1, 0, s[28:29]
	v_or_b32_e32 v25, v1, v35
.LBB4_2686:                             ;   in Loop: Header=BB4_2468 Depth=3
	s_or_b64 exec, exec, s[36:37]
                                        ; implicit-def: $vgpr35
.LBB4_2687:                             ;   in Loop: Header=BB4_2468 Depth=3
	s_andn2_saveexec_b64 s[28:29], s[34:35]
; %bb.2688:                             ;   in Loop: Header=BB4_2468 Depth=3
	v_or_b32_e32 v25, 0x7e, v35
; %bb.2689:                             ;   in Loop: Header=BB4_2468 Depth=3
	s_or_b64 exec, exec, s[28:29]
                                        ; implicit-def: $vgpr7
.LBB4_2690:                             ;   in Loop: Header=BB4_2468 Depth=3
	s_andn2_saveexec_b64 s[28:29], s[30:31]
; %bb.2691:                             ;   in Loop: Header=BB4_2468 Depth=3
	v_or_b32_sdwa v25, v7, s71 dst_sel:DWORD dst_unused:UNUSED_PAD src0_sel:BYTE_3 src1_sel:DWORD
; %bb.2692:                             ;   in Loop: Header=BB4_2468 Depth=3
	s_or_b64 exec, exec, s[28:29]
	v_cmp_ne_u16_sdwa s[44:45], v22, v3 src0_sel:BYTE_0 src1_sel:DWORD
	v_mov_b32_e32 v2, 0
	v_mov_b32_e32 v16, 0
	s_and_saveexec_b64 s[28:29], s[44:45]
	s_cbranch_execz .LBB4_2698
; %bb.2693:                             ;   in Loop: Header=BB4_2468 Depth=3
	v_cmp_ne_u16_sdwa s[44:45], v22, s70 src0_sel:BYTE_0 src1_sel:DWORD
	v_bfrev_b32_e32 v16, 1
	s_and_saveexec_b64 s[30:31], s[44:45]
	s_cbranch_execz .LBB4_2697
; %bb.2694:                             ;   in Loop: Header=BB4_2468 Depth=3
	v_and_b32_e32 v1, 0x7f, v22
	v_cmp_ne_u32_e32 vcc, s71, v1
	v_mov_b32_e32 v16, 0x7f800001
	s_and_saveexec_b64 s[34:35], vcc
	s_cbranch_execz .LBB4_2696
; %bb.2695:                             ;   in Loop: Header=BB4_2468 Depth=3
	v_and_b32_e32 v5, 7, v22
	v_lshrrev_b32_e32 v6, 3, v1
	v_cmp_gt_u32_e32 vcc, 8, v1
	v_ffbh_u32_e32 v1, v5
	v_min_u32_e32 v1, 32, v1
	v_subrev_u32_e32 v5, 28, v1
	v_cndmask_b32_e32 v5, 0, v5, vcc
	v_lshlrev_b64 v[16:17], v5, v[22:23]
	v_sub_u32_e32 v1, 29, v1
	v_cndmask_b32_e32 v1, v6, v1, vcc
	v_lshlrev_b32_e32 v5, 20, v16
	v_lshlrev_b32_e32 v6, 24, v22
	v_and_b32_e32 v5, 0x700000, v5
	v_and_b32_e32 v6, 0x80000000, v6
	v_lshl_add_u32 v1, v1, 23, v0
	v_or3_b32 v16, v6, v1, v5
.LBB4_2696:                             ;   in Loop: Header=BB4_2468 Depth=3
	s_or_b64 exec, exec, s[34:35]
.LBB4_2697:                             ;   in Loop: Header=BB4_2468 Depth=3
	s_or_b64 exec, exec, s[30:31]
.LBB4_2698:                             ;   in Loop: Header=BB4_2468 Depth=3
	s_or_b64 exec, exec, s[28:29]
	v_cmp_ne_u16_sdwa s[44:45], v18, v3 src0_sel:BYTE_0 src1_sel:DWORD
	s_and_saveexec_b64 s[28:29], s[44:45]
	s_cbranch_execz .LBB4_2704
; %bb.2699:                             ;   in Loop: Header=BB4_2468 Depth=3
	v_cmp_ne_u16_sdwa s[44:45], v18, s70 src0_sel:BYTE_0 src1_sel:DWORD
	v_bfrev_b32_e32 v2, 1
	s_and_saveexec_b64 s[30:31], s[44:45]
	s_cbranch_execz .LBB4_2703
; %bb.2700:                             ;   in Loop: Header=BB4_2468 Depth=3
	v_and_b32_e32 v1, 0x7f, v18
	v_cmp_ne_u32_e32 vcc, s71, v1
	v_mov_b32_e32 v2, 0x7f800001
	s_and_saveexec_b64 s[34:35], vcc
	s_cbranch_execz .LBB4_2702
; %bb.2701:                             ;   in Loop: Header=BB4_2468 Depth=3
	v_and_b32_e32 v2, 7, v18
	v_lshrrev_b32_e32 v5, 3, v1
	v_cmp_gt_u32_e32 vcc, 8, v1
	v_ffbh_u32_e32 v1, v2
	v_min_u32_e32 v1, 32, v1
	v_subrev_u32_e32 v2, 28, v1
	v_sub_u32_e32 v1, 29, v1
	v_cndmask_b32_e32 v5, v5, v1, vcc
	v_cndmask_b32_e32 v1, 0, v2, vcc
	v_lshlrev_b64 v[1:2], v1, v[18:19]
	v_lshlrev_b32_e32 v2, 24, v18
	v_lshlrev_b32_e32 v1, 20, v1
	v_and_b32_e32 v1, 0x700000, v1
	v_and_b32_e32 v2, 0x80000000, v2
	v_lshl_add_u32 v5, v5, 23, v0
	v_or3_b32 v2, v2, v5, v1
.LBB4_2702:                             ;   in Loop: Header=BB4_2468 Depth=3
	s_or_b64 exec, exec, s[34:35]
.LBB4_2703:                             ;   in Loop: Header=BB4_2468 Depth=3
	s_or_b64 exec, exec, s[30:31]
.LBB4_2704:                             ;   in Loop: Header=BB4_2468 Depth=3
	s_or_b64 exec, exec, s[28:29]
	v_mul_f32_e32 v7, v16, v2
	v_and_b32_e32 v2, 0x7f800000, v7
	v_cmp_ne_u64_e32 vcc, s[62:63], v[2:3]
                                        ; implicit-def: $vgpr35
	s_and_saveexec_b64 s[28:29], vcc
	s_xor_b64 s[30:31], exec, s[28:29]
	s_cbranch_execz .LBB4_2718
; %bb.2705:                             ;   in Loop: Header=BB4_2468 Depth=3
	v_and_b32_e32 v2, 0x7fffffff, v7
	v_cmp_gt_u64_e32 vcc, s[72:73], v[2:3]
	v_and_b32_sdwa v36, v7, s70 dst_sel:DWORD dst_unused:UNUSED_PAD src0_sel:BYTE_3 src1_sel:DWORD
                                        ; implicit-def: $vgpr35
	s_and_saveexec_b64 s[28:29], vcc
	s_xor_b64 s[34:35], exec, s[28:29]
	s_cbranch_execz .LBB4_2715
; %bb.2706:                             ;   in Loop: Header=BB4_2468 Depth=3
	v_mov_b32_e32 v35, 0
	v_cmp_ne_u32_e32 vcc, 0, v7
	s_and_saveexec_b64 s[36:37], vcc
	s_cbranch_execz .LBB4_2714
; %bb.2707:                             ;   in Loop: Header=BB4_2468 Depth=3
	v_bfe_u32 v35, v7, 23, 8
	v_cmp_gt_u32_e64 s[28:29], s80, v35
	v_sub_u32_e32 v2, 0x79, v35
	v_and_b32_e32 v1, 0x7fffff, v7
	v_cmp_eq_u32_e32 vcc, 0, v35
	v_cndmask_b32_e64 v2, 0, v2, s[28:29]
	v_mov_b32_e32 v6, 0x78
	v_or_b32_e32 v5, 0x800000, v1
	v_cndmask_b32_e32 v7, v2, v6, vcc
	v_cndmask_b32_e32 v2, v5, v1, vcc
	v_add_u32_e32 v1, 20, v7
	v_lshlrev_b64 v[16:17], v1, -1
	v_add_u32_e32 v1, 19, v7
	v_lshlrev_b64 v[20:21], v1, 1
	v_bfi_b32 v17, v17, 0, 0
	v_bfi_b32 v16, v16, 0, v2
	v_cmp_eq_u64_e64 s[28:29], v[16:17], v[20:21]
	v_lshrrev_b64 v[16:17], v7, v[2:3]
	v_mov_b32_e32 v21, v17
	v_mov_b32_e32 v20, v16
	s_and_saveexec_b64 s[38:39], s[28:29]
; %bb.2708:                             ;   in Loop: Header=BB4_2468 Depth=3
	v_bfe_u32 v1, v16, 20, 1
	v_add_co_u32_e64 v1, s[28:29], v16, v1
	v_add_co_u32_e64 v20, s[28:29], -1, v1
; %bb.2709:                             ;   in Loop: Header=BB4_2468 Depth=3
	s_or_b64 exec, exec, s[38:39]
	v_add_u32_e32 v1, 0xffffff81, v35
	v_mov_b32_e32 v2, 0xffffff82
	v_cndmask_b32_e32 v1, v1, v2, vcc
	v_lshrrev_b32_e32 v2, 23, v16
	v_add3_u32 v5, v7, v1, v2
	v_add_u32_e32 v1, 6, v5
	v_and_b32_e32 v2, 0xfffff, v20
	v_add_u32_e32 v2, v2, v16
	v_cmp_ne_u32_e32 vcc, 0, v1
                                        ; implicit-def: $vgpr16_vgpr17
                                        ; implicit-def: $vgpr7
	s_and_saveexec_b64 s[28:29], vcc
	s_xor_b64 s[28:29], exec, s[28:29]
; %bb.2710:                             ;   in Loop: Header=BB4_2468 Depth=3
	v_cmp_lt_u64_e32 vcc, s[88:89], v[2:3]
	v_add_u32_e32 v5, 7, v5
	v_cndmask_b32_e32 v7, v1, v5, vcc
	v_cndmask_b32_e64 v1, 0, 1, vcc
	v_lshrrev_b64 v[16:17], v1, v[2:3]
; %bb.2711:                             ;   in Loop: Header=BB4_2468 Depth=3
	s_andn2_saveexec_b64 s[28:29], s[28:29]
; %bb.2712:                             ;   in Loop: Header=BB4_2468 Depth=3
	v_mov_b32_e32 v17, v3
	v_bfe_u32 v7, v2, 23, 1
	v_mov_b32_e32 v16, v2
; %bb.2713:                             ;   in Loop: Header=BB4_2468 Depth=3
	s_or_b64 exec, exec, s[28:29]
	v_lshrrev_b64 v[1:2], 20, v[16:17]
	v_cmp_gt_i32_e32 vcc, 16, v7
	v_cndmask_b32_e32 v2, 0, v2, vcc
	v_cndmask_b32_e32 v1, 7, v1, vcc
	v_cmp_eq_u64_e64 s[28:29], 0, v[1:2]
	v_min_i32_e32 v2, 15, v7
	v_lshlrev_b32_e32 v2, 3, v2
	v_cmp_eq_u32_e32 vcc, 0, v7
	v_and_b32_e32 v2, 0xf8, v2
	v_and_or_b32 v1, v1, 7, v2
	s_and_b64 s[28:29], vcc, s[28:29]
	v_cndmask_b32_e64 v1, v1, 0, s[28:29]
	v_or_b32_e32 v35, v1, v36
.LBB4_2714:                             ;   in Loop: Header=BB4_2468 Depth=3
	s_or_b64 exec, exec, s[36:37]
                                        ; implicit-def: $vgpr36
.LBB4_2715:                             ;   in Loop: Header=BB4_2468 Depth=3
	s_andn2_saveexec_b64 s[28:29], s[34:35]
; %bb.2716:                             ;   in Loop: Header=BB4_2468 Depth=3
	v_or_b32_e32 v35, 0x7e, v36
; %bb.2717:                             ;   in Loop: Header=BB4_2468 Depth=3
	s_or_b64 exec, exec, s[28:29]
                                        ; implicit-def: $vgpr7
.LBB4_2718:                             ;   in Loop: Header=BB4_2468 Depth=3
	s_andn2_saveexec_b64 s[28:29], s[30:31]
; %bb.2719:                             ;   in Loop: Header=BB4_2468 Depth=3
	v_or_b32_sdwa v35, v7, s71 dst_sel:DWORD dst_unused:UNUSED_PAD src0_sel:BYTE_3 src1_sel:DWORD
; %bb.2720:                             ;   in Loop: Header=BB4_2468 Depth=3
	s_or_b64 exec, exec, s[28:29]
	v_lshrrev_b16_e32 v2, 8, v22
	v_cmp_ne_u16_e32 vcc, 0, v2
	v_mov_b32_e32 v16, 0
	v_mov_b32_e32 v17, 0
	s_and_saveexec_b64 s[28:29], vcc
	s_cbranch_execz .LBB4_2726
; %bb.2721:                             ;   in Loop: Header=BB4_2468 Depth=3
	v_cmp_ne_u16_e32 vcc, s70, v2
	v_bfrev_b32_e32 v17, 1
	s_and_saveexec_b64 s[30:31], vcc
	s_cbranch_execz .LBB4_2725
; %bb.2722:                             ;   in Loop: Header=BB4_2468 Depth=3
	v_and_b32_e32 v1, 0x7f, v2
	v_cmp_ne_u32_e32 vcc, s71, v1
	v_mov_b32_e32 v17, 0x7f800001
	s_and_saveexec_b64 s[34:35], vcc
	s_cbranch_execz .LBB4_2724
; %bb.2723:                             ;   in Loop: Header=BB4_2468 Depth=3
	v_and_b32_e32 v5, 7, v2
	v_lshrrev_b32_e32 v6, 3, v1
	v_cmp_gt_u32_e32 vcc, 8, v1
	v_ffbh_u32_e32 v1, v5
	v_min_u32_e32 v7, 32, v1
	v_subrev_u32_e32 v1, 28, v7
	v_lshlrev_b64 v[1:2], v1, v[2:3]
	v_sub_u32_e32 v2, 29, v7
	v_and_b32_e32 v1, 7, v1
	v_cndmask_b32_e32 v2, v6, v2, vcc
	v_cndmask_b32_e32 v1, v5, v1, vcc
	v_lshlrev_b32_e32 v5, 16, v22
	v_lshlrev_b32_e32 v1, 20, v1
	v_and_b32_e32 v5, 0x80000000, v5
	v_lshl_add_u32 v2, v2, 23, v0
	v_or3_b32 v17, v5, v2, v1
.LBB4_2724:                             ;   in Loop: Header=BB4_2468 Depth=3
	s_or_b64 exec, exec, s[34:35]
.LBB4_2725:                             ;   in Loop: Header=BB4_2468 Depth=3
	s_or_b64 exec, exec, s[30:31]
.LBB4_2726:                             ;   in Loop: Header=BB4_2468 Depth=3
	s_or_b64 exec, exec, s[28:29]
	v_lshrrev_b16_e32 v2, 8, v18
	v_cmp_ne_u16_e32 vcc, 0, v2
	s_and_saveexec_b64 s[28:29], vcc
	s_cbranch_execz .LBB4_2732
; %bb.2727:                             ;   in Loop: Header=BB4_2468 Depth=3
	v_cmp_ne_u16_e32 vcc, s70, v2
	v_bfrev_b32_e32 v16, 1
	s_and_saveexec_b64 s[30:31], vcc
	s_cbranch_execz .LBB4_2731
; %bb.2728:                             ;   in Loop: Header=BB4_2468 Depth=3
	v_and_b32_e32 v1, 0x7f, v2
	v_cmp_ne_u32_e32 vcc, s71, v1
	v_mov_b32_e32 v16, 0x7f800001
	s_and_saveexec_b64 s[34:35], vcc
	s_cbranch_execz .LBB4_2730
; %bb.2729:                             ;   in Loop: Header=BB4_2468 Depth=3
	v_and_b32_e32 v5, 7, v2
	v_lshrrev_b32_e32 v6, 3, v1
	v_cmp_gt_u32_e32 vcc, 8, v1
	v_ffbh_u32_e32 v1, v5
	v_min_u32_e32 v7, 32, v1
	v_subrev_u32_e32 v1, 28, v7
	v_lshlrev_b64 v[1:2], v1, v[2:3]
	v_sub_u32_e32 v2, 29, v7
	v_and_b32_e32 v1, 7, v1
	v_cndmask_b32_e32 v2, v6, v2, vcc
	v_cndmask_b32_e32 v1, v5, v1, vcc
	v_lshlrev_b32_e32 v5, 16, v18
	v_lshlrev_b32_e32 v1, 20, v1
	v_and_b32_e32 v5, 0x80000000, v5
	v_lshl_add_u32 v2, v2, 23, v0
	v_or3_b32 v16, v5, v2, v1
.LBB4_2730:                             ;   in Loop: Header=BB4_2468 Depth=3
	s_or_b64 exec, exec, s[34:35]
.LBB4_2731:                             ;   in Loop: Header=BB4_2468 Depth=3
	s_or_b64 exec, exec, s[30:31]
.LBB4_2732:                             ;   in Loop: Header=BB4_2468 Depth=3
	s_or_b64 exec, exec, s[28:29]
	v_mul_f32_e32 v7, v17, v16
	v_and_b32_e32 v2, 0x7f800000, v7
	v_cmp_ne_u64_e32 vcc, s[62:63], v[2:3]
                                        ; implicit-def: $vgpr52
	s_and_saveexec_b64 s[28:29], vcc
	s_xor_b64 s[30:31], exec, s[28:29]
	s_cbranch_execz .LBB4_2746
; %bb.2733:                             ;   in Loop: Header=BB4_2468 Depth=3
	v_and_b32_e32 v2, 0x7fffffff, v7
	v_cmp_gt_u64_e32 vcc, s[72:73], v[2:3]
	v_and_b32_sdwa v36, v7, s70 dst_sel:DWORD dst_unused:UNUSED_PAD src0_sel:BYTE_3 src1_sel:DWORD
                                        ; implicit-def: $vgpr52
	s_and_saveexec_b64 s[28:29], vcc
	s_xor_b64 s[34:35], exec, s[28:29]
	s_cbranch_execz .LBB4_2743
; %bb.2734:                             ;   in Loop: Header=BB4_2468 Depth=3
	v_mov_b32_e32 v52, 0
	v_cmp_ne_u32_e32 vcc, 0, v7
	s_and_saveexec_b64 s[36:37], vcc
	s_cbranch_execz .LBB4_2742
; %bb.2735:                             ;   in Loop: Header=BB4_2468 Depth=3
	v_bfe_u32 v50, v7, 23, 8
	v_cmp_gt_u32_e64 s[28:29], s80, v50
	v_sub_u32_e32 v2, 0x79, v50
	v_and_b32_e32 v1, 0x7fffff, v7
	v_cmp_eq_u32_e32 vcc, 0, v50
	v_cndmask_b32_e64 v2, 0, v2, s[28:29]
	v_mov_b32_e32 v6, 0x78
	v_or_b32_e32 v5, 0x800000, v1
	v_cndmask_b32_e32 v7, v2, v6, vcc
	v_cndmask_b32_e32 v2, v5, v1, vcc
	v_add_u32_e32 v1, 20, v7
	v_lshlrev_b64 v[16:17], v1, -1
	v_add_u32_e32 v1, 19, v7
	v_lshlrev_b64 v[20:21], v1, 1
	v_bfi_b32 v17, v17, 0, 0
	v_bfi_b32 v16, v16, 0, v2
	v_cmp_eq_u64_e64 s[28:29], v[16:17], v[20:21]
	v_lshrrev_b64 v[16:17], v7, v[2:3]
	v_mov_b32_e32 v21, v17
	v_mov_b32_e32 v20, v16
	s_and_saveexec_b64 s[38:39], s[28:29]
; %bb.2736:                             ;   in Loop: Header=BB4_2468 Depth=3
	v_bfe_u32 v1, v16, 20, 1
	v_add_co_u32_e64 v1, s[28:29], v16, v1
	v_add_co_u32_e64 v20, s[28:29], -1, v1
; %bb.2737:                             ;   in Loop: Header=BB4_2468 Depth=3
	s_or_b64 exec, exec, s[38:39]
	v_add_u32_e32 v1, 0xffffff81, v50
	v_mov_b32_e32 v2, 0xffffff82
	v_cndmask_b32_e32 v1, v1, v2, vcc
	v_lshrrev_b32_e32 v2, 23, v16
	v_add3_u32 v5, v7, v1, v2
	v_add_u32_e32 v1, 6, v5
	v_and_b32_e32 v2, 0xfffff, v20
	v_add_u32_e32 v2, v2, v16
	v_cmp_ne_u32_e32 vcc, 0, v1
                                        ; implicit-def: $vgpr16_vgpr17
                                        ; implicit-def: $vgpr7
	s_and_saveexec_b64 s[28:29], vcc
	s_xor_b64 s[28:29], exec, s[28:29]
; %bb.2738:                             ;   in Loop: Header=BB4_2468 Depth=3
	v_cmp_lt_u64_e32 vcc, s[88:89], v[2:3]
	v_add_u32_e32 v5, 7, v5
	v_cndmask_b32_e32 v7, v1, v5, vcc
	v_cndmask_b32_e64 v1, 0, 1, vcc
	v_lshrrev_b64 v[16:17], v1, v[2:3]
; %bb.2739:                             ;   in Loop: Header=BB4_2468 Depth=3
	s_andn2_saveexec_b64 s[28:29], s[28:29]
; %bb.2740:                             ;   in Loop: Header=BB4_2468 Depth=3
	v_mov_b32_e32 v17, v3
	v_bfe_u32 v7, v2, 23, 1
	v_mov_b32_e32 v16, v2
; %bb.2741:                             ;   in Loop: Header=BB4_2468 Depth=3
	s_or_b64 exec, exec, s[28:29]
	v_lshrrev_b64 v[1:2], 20, v[16:17]
	v_cmp_gt_i32_e32 vcc, 16, v7
	v_cndmask_b32_e32 v2, 0, v2, vcc
	v_cndmask_b32_e32 v1, 7, v1, vcc
	v_cmp_eq_u64_e64 s[28:29], 0, v[1:2]
	v_min_i32_e32 v2, 15, v7
	v_lshlrev_b32_e32 v2, 3, v2
	v_cmp_eq_u32_e32 vcc, 0, v7
	v_and_b32_e32 v2, 0xf8, v2
	v_and_or_b32 v1, v1, 7, v2
	s_and_b64 s[28:29], vcc, s[28:29]
	v_cndmask_b32_e64 v1, v1, 0, s[28:29]
	v_or_b32_e32 v52, v1, v36
.LBB4_2742:                             ;   in Loop: Header=BB4_2468 Depth=3
	s_or_b64 exec, exec, s[36:37]
                                        ; implicit-def: $vgpr36
.LBB4_2743:                             ;   in Loop: Header=BB4_2468 Depth=3
	s_andn2_saveexec_b64 s[28:29], s[34:35]
; %bb.2744:                             ;   in Loop: Header=BB4_2468 Depth=3
	v_or_b32_e32 v52, 0x7e, v36
; %bb.2745:                             ;   in Loop: Header=BB4_2468 Depth=3
	s_or_b64 exec, exec, s[28:29]
                                        ; implicit-def: $vgpr7
.LBB4_2746:                             ;   in Loop: Header=BB4_2468 Depth=3
	s_andn2_saveexec_b64 s[28:29], s[30:31]
; %bb.2747:                             ;   in Loop: Header=BB4_2468 Depth=3
	v_or_b32_sdwa v52, v7, s71 dst_sel:DWORD dst_unused:UNUSED_PAD src0_sel:BYTE_3 src1_sel:DWORD
; %bb.2748:                             ;   in Loop: Header=BB4_2468 Depth=3
	s_or_b64 exec, exec, s[28:29]
	v_lshrrev_b32_e32 v2, 16, v22
	v_cmp_ne_u16_sdwa s[44:45], v2, v3 src0_sel:BYTE_0 src1_sel:DWORD
	v_mov_b32_e32 v16, 0
	v_mov_b32_e32 v17, 0
	s_and_saveexec_b64 s[28:29], s[44:45]
	s_cbranch_execz .LBB4_2754
; %bb.2749:                             ;   in Loop: Header=BB4_2468 Depth=3
	v_cmp_ne_u16_sdwa s[44:45], v2, s70 src0_sel:BYTE_0 src1_sel:DWORD
	v_bfrev_b32_e32 v17, 1
	s_and_saveexec_b64 s[30:31], s[44:45]
	s_cbranch_execz .LBB4_2753
; %bb.2750:                             ;   in Loop: Header=BB4_2468 Depth=3
	v_bfe_u32 v1, v22, 16, 7
	v_cmp_ne_u32_e32 vcc, s71, v1
	v_mov_b32_e32 v17, 0x7f800001
	s_and_saveexec_b64 s[34:35], vcc
	s_cbranch_execz .LBB4_2752
; %bb.2751:                             ;   in Loop: Header=BB4_2468 Depth=3
	v_and_b32_e32 v5, 7, v2
	v_lshrrev_b32_e32 v6, 3, v1
	v_cmp_gt_u32_e32 vcc, 8, v1
	v_ffbh_u32_e32 v1, v5
	v_min_u32_e32 v1, 32, v1
	v_subrev_u32_e32 v7, 28, v1
	v_lshlrev_b64 v[20:21], v7, v[2:3]
	v_sub_u32_e32 v1, 29, v1
	v_and_b32_e32 v7, 7, v20
	v_cndmask_b32_e32 v1, v6, v1, vcc
	v_cndmask_b32_e32 v5, v5, v7, vcc
	v_lshlrev_b32_e32 v2, 24, v2
	v_lshlrev_b32_e32 v5, 20, v5
	v_and_b32_e32 v2, 0x80000000, v2
	v_lshl_add_u32 v1, v1, 23, v0
	v_or3_b32 v17, v2, v1, v5
.LBB4_2752:                             ;   in Loop: Header=BB4_2468 Depth=3
	s_or_b64 exec, exec, s[34:35]
.LBB4_2753:                             ;   in Loop: Header=BB4_2468 Depth=3
	s_or_b64 exec, exec, s[30:31]
.LBB4_2754:                             ;   in Loop: Header=BB4_2468 Depth=3
	s_or_b64 exec, exec, s[28:29]
	v_lshrrev_b32_e32 v2, 16, v18
	v_cmp_ne_u16_sdwa s[44:45], v2, v3 src0_sel:BYTE_0 src1_sel:DWORD
	s_and_saveexec_b64 s[28:29], s[44:45]
	s_cbranch_execz .LBB4_2760
; %bb.2755:                             ;   in Loop: Header=BB4_2468 Depth=3
	v_cmp_ne_u16_sdwa s[44:45], v2, s70 src0_sel:BYTE_0 src1_sel:DWORD
	v_bfrev_b32_e32 v16, 1
	s_and_saveexec_b64 s[30:31], s[44:45]
	s_cbranch_execz .LBB4_2759
; %bb.2756:                             ;   in Loop: Header=BB4_2468 Depth=3
	v_bfe_u32 v1, v18, 16, 7
	v_cmp_ne_u32_e32 vcc, s71, v1
	v_mov_b32_e32 v16, 0x7f800001
	s_and_saveexec_b64 s[34:35], vcc
	s_cbranch_execz .LBB4_2758
; %bb.2757:                             ;   in Loop: Header=BB4_2468 Depth=3
	v_and_b32_e32 v5, 7, v2
	v_lshrrev_b32_e32 v6, 3, v1
	v_cmp_gt_u32_e32 vcc, 8, v1
	v_ffbh_u32_e32 v1, v5
	v_min_u32_e32 v7, 32, v1
	v_subrev_u32_e32 v1, 28, v7
	v_lshlrev_b64 v[1:2], v1, v[2:3]
	v_sub_u32_e32 v2, 29, v7
	v_and_b32_e32 v1, 7, v1
	v_cndmask_b32_e32 v2, v6, v2, vcc
	v_cndmask_b32_e32 v1, v5, v1, vcc
	v_lshlrev_b32_e32 v5, 8, v18
	v_lshlrev_b32_e32 v1, 20, v1
	v_and_b32_e32 v5, 0x80000000, v5
	v_lshl_add_u32 v2, v2, 23, v0
	v_or3_b32 v16, v5, v2, v1
.LBB4_2758:                             ;   in Loop: Header=BB4_2468 Depth=3
	s_or_b64 exec, exec, s[34:35]
.LBB4_2759:                             ;   in Loop: Header=BB4_2468 Depth=3
	s_or_b64 exec, exec, s[30:31]
.LBB4_2760:                             ;   in Loop: Header=BB4_2468 Depth=3
	s_or_b64 exec, exec, s[28:29]
	v_mul_f32_e32 v7, v17, v16
	v_and_b32_e32 v2, 0x7f800000, v7
	v_cmp_ne_u64_e32 vcc, s[62:63], v[2:3]
                                        ; implicit-def: $vgpr53
	s_and_saveexec_b64 s[28:29], vcc
	s_xor_b64 s[30:31], exec, s[28:29]
	s_cbranch_execz .LBB4_2774
; %bb.2761:                             ;   in Loop: Header=BB4_2468 Depth=3
	v_and_b32_e32 v2, 0x7fffffff, v7
	v_cmp_gt_u64_e32 vcc, s[72:73], v[2:3]
	v_and_b32_sdwa v36, v7, s70 dst_sel:DWORD dst_unused:UNUSED_PAD src0_sel:BYTE_3 src1_sel:DWORD
                                        ; implicit-def: $vgpr53
	s_and_saveexec_b64 s[28:29], vcc
	s_xor_b64 s[34:35], exec, s[28:29]
	s_cbranch_execz .LBB4_2771
; %bb.2762:                             ;   in Loop: Header=BB4_2468 Depth=3
	v_mov_b32_e32 v53, 0
	v_cmp_ne_u32_e32 vcc, 0, v7
	s_and_saveexec_b64 s[36:37], vcc
	s_cbranch_execz .LBB4_2770
; %bb.2763:                             ;   in Loop: Header=BB4_2468 Depth=3
	v_bfe_u32 v50, v7, 23, 8
	v_cmp_gt_u32_e64 s[28:29], s80, v50
	v_sub_u32_e32 v2, 0x79, v50
	v_and_b32_e32 v1, 0x7fffff, v7
	v_cmp_eq_u32_e32 vcc, 0, v50
	v_cndmask_b32_e64 v2, 0, v2, s[28:29]
	v_mov_b32_e32 v6, 0x78
	v_or_b32_e32 v5, 0x800000, v1
	v_cndmask_b32_e32 v7, v2, v6, vcc
	v_cndmask_b32_e32 v2, v5, v1, vcc
	v_add_u32_e32 v1, 20, v7
	v_lshlrev_b64 v[16:17], v1, -1
	v_add_u32_e32 v1, 19, v7
	v_lshlrev_b64 v[20:21], v1, 1
	v_bfi_b32 v17, v17, 0, 0
	v_bfi_b32 v16, v16, 0, v2
	v_cmp_eq_u64_e64 s[28:29], v[16:17], v[20:21]
	v_lshrrev_b64 v[16:17], v7, v[2:3]
	v_mov_b32_e32 v21, v17
	v_mov_b32_e32 v20, v16
	s_and_saveexec_b64 s[38:39], s[28:29]
; %bb.2764:                             ;   in Loop: Header=BB4_2468 Depth=3
	v_bfe_u32 v1, v16, 20, 1
	v_add_co_u32_e64 v1, s[28:29], v16, v1
	v_add_co_u32_e64 v20, s[28:29], -1, v1
; %bb.2765:                             ;   in Loop: Header=BB4_2468 Depth=3
	s_or_b64 exec, exec, s[38:39]
	v_add_u32_e32 v1, 0xffffff81, v50
	v_mov_b32_e32 v2, 0xffffff82
	v_cndmask_b32_e32 v1, v1, v2, vcc
	v_lshrrev_b32_e32 v2, 23, v16
	v_add3_u32 v5, v7, v1, v2
	v_add_u32_e32 v1, 6, v5
	v_and_b32_e32 v2, 0xfffff, v20
	v_add_u32_e32 v2, v2, v16
	v_cmp_ne_u32_e32 vcc, 0, v1
                                        ; implicit-def: $vgpr16_vgpr17
                                        ; implicit-def: $vgpr7
	s_and_saveexec_b64 s[28:29], vcc
	s_xor_b64 s[28:29], exec, s[28:29]
; %bb.2766:                             ;   in Loop: Header=BB4_2468 Depth=3
	v_cmp_lt_u64_e32 vcc, s[88:89], v[2:3]
	v_add_u32_e32 v5, 7, v5
	v_cndmask_b32_e32 v7, v1, v5, vcc
	v_cndmask_b32_e64 v1, 0, 1, vcc
	v_lshrrev_b64 v[16:17], v1, v[2:3]
; %bb.2767:                             ;   in Loop: Header=BB4_2468 Depth=3
	s_andn2_saveexec_b64 s[28:29], s[28:29]
; %bb.2768:                             ;   in Loop: Header=BB4_2468 Depth=3
	v_mov_b32_e32 v17, v3
	v_bfe_u32 v7, v2, 23, 1
	v_mov_b32_e32 v16, v2
; %bb.2769:                             ;   in Loop: Header=BB4_2468 Depth=3
	s_or_b64 exec, exec, s[28:29]
	v_lshrrev_b64 v[1:2], 20, v[16:17]
	v_cmp_gt_i32_e32 vcc, 16, v7
	v_cndmask_b32_e32 v2, 0, v2, vcc
	v_cndmask_b32_e32 v1, 7, v1, vcc
	v_cmp_eq_u64_e64 s[28:29], 0, v[1:2]
	v_min_i32_e32 v2, 15, v7
	v_lshlrev_b32_e32 v2, 3, v2
	v_cmp_eq_u32_e32 vcc, 0, v7
	v_and_b32_e32 v2, 0xf8, v2
	v_and_or_b32 v1, v1, 7, v2
	s_and_b64 s[28:29], vcc, s[28:29]
	v_cndmask_b32_e64 v1, v1, 0, s[28:29]
	v_or_b32_e32 v53, v1, v36
.LBB4_2770:                             ;   in Loop: Header=BB4_2468 Depth=3
	s_or_b64 exec, exec, s[36:37]
                                        ; implicit-def: $vgpr36
.LBB4_2771:                             ;   in Loop: Header=BB4_2468 Depth=3
	s_andn2_saveexec_b64 s[28:29], s[34:35]
; %bb.2772:                             ;   in Loop: Header=BB4_2468 Depth=3
	v_or_b32_e32 v53, 0x7e, v36
; %bb.2773:                             ;   in Loop: Header=BB4_2468 Depth=3
	s_or_b64 exec, exec, s[28:29]
                                        ; implicit-def: $vgpr7
.LBB4_2774:                             ;   in Loop: Header=BB4_2468 Depth=3
	s_andn2_saveexec_b64 s[28:29], s[30:31]
; %bb.2775:                             ;   in Loop: Header=BB4_2468 Depth=3
	v_or_b32_sdwa v53, v7, s71 dst_sel:DWORD dst_unused:UNUSED_PAD src0_sel:BYTE_3 src1_sel:DWORD
; %bb.2776:                             ;   in Loop: Header=BB4_2468 Depth=3
	s_or_b64 exec, exec, s[28:29]
	v_cmp_lt_u32_e32 vcc, s57, v22
	v_mov_b32_e32 v16, 0
	v_mov_b32_e32 v17, 0
	s_and_saveexec_b64 s[28:29], vcc
	s_cbranch_execz .LBB4_2782
; %bb.2777:                             ;   in Loop: Header=BB4_2468 Depth=3
	v_lshrrev_b32_e32 v2, 24, v22
	v_cmp_ne_u32_e32 vcc, s70, v2
	v_bfrev_b32_e32 v17, 1
	s_and_saveexec_b64 s[30:31], vcc
	s_cbranch_execz .LBB4_2781
; %bb.2778:                             ;   in Loop: Header=BB4_2468 Depth=3
	v_bfe_u32 v1, v22, 24, 7
	v_cmp_ne_u32_e32 vcc, s71, v1
	v_mov_b32_e32 v17, 0x7f800001
	s_and_saveexec_b64 s[34:35], vcc
	s_cbranch_execz .LBB4_2780
; %bb.2779:                             ;   in Loop: Header=BB4_2468 Depth=3
	v_and_b32_e32 v5, 7, v2
	v_lshrrev_b32_e32 v6, 3, v1
	v_cmp_gt_u32_e32 vcc, 8, v1
	v_ffbh_u32_e32 v1, v5
	v_min_u32_e32 v1, 32, v1
	v_subrev_u32_e32 v7, 28, v1
	v_lshlrev_b64 v[20:21], v7, v[2:3]
	v_sub_u32_e32 v1, 29, v1
	v_and_b32_e32 v7, 7, v20
	v_cndmask_b32_e32 v1, v6, v1, vcc
	v_cndmask_b32_e32 v5, v5, v7, vcc
	v_lshlrev_b32_e32 v2, 24, v2
	v_lshlrev_b32_e32 v5, 20, v5
	v_and_b32_e32 v2, 0x80000000, v2
	v_lshl_add_u32 v1, v1, 23, v0
	v_or3_b32 v17, v2, v1, v5
.LBB4_2780:                             ;   in Loop: Header=BB4_2468 Depth=3
	s_or_b64 exec, exec, s[34:35]
.LBB4_2781:                             ;   in Loop: Header=BB4_2468 Depth=3
	s_or_b64 exec, exec, s[30:31]
.LBB4_2782:                             ;   in Loop: Header=BB4_2468 Depth=3
	s_or_b64 exec, exec, s[28:29]
	v_cmp_lt_u32_e32 vcc, s57, v18
	s_and_saveexec_b64 s[28:29], vcc
	s_cbranch_execz .LBB4_2788
; %bb.2783:                             ;   in Loop: Header=BB4_2468 Depth=3
	v_lshrrev_b32_e32 v2, 24, v18
	v_cmp_ne_u32_e32 vcc, s70, v2
	v_bfrev_b32_e32 v16, 1
	s_and_saveexec_b64 s[30:31], vcc
	s_cbranch_execz .LBB4_2787
; %bb.2784:                             ;   in Loop: Header=BB4_2468 Depth=3
	v_bfe_u32 v1, v18, 24, 7
	v_cmp_ne_u32_e32 vcc, s71, v1
	v_mov_b32_e32 v16, 0x7f800001
	s_and_saveexec_b64 s[34:35], vcc
	s_cbranch_execz .LBB4_2786
; %bb.2785:                             ;   in Loop: Header=BB4_2468 Depth=3
	v_and_b32_e32 v5, 7, v2
	v_lshrrev_b32_e32 v6, 3, v1
	v_cmp_gt_u32_e32 vcc, 8, v1
	v_ffbh_u32_e32 v1, v5
	v_min_u32_e32 v1, 32, v1
	v_subrev_u32_e32 v7, 28, v1
	v_lshlrev_b64 v[20:21], v7, v[2:3]
	v_sub_u32_e32 v1, 29, v1
	v_and_b32_e32 v7, 7, v20
	v_cndmask_b32_e32 v1, v6, v1, vcc
	v_cndmask_b32_e32 v5, v5, v7, vcc
	v_lshlrev_b32_e32 v2, 24, v2
	v_lshlrev_b32_e32 v5, 20, v5
	v_and_b32_e32 v2, 0x80000000, v2
	v_lshl_add_u32 v1, v1, 23, v0
	v_or3_b32 v16, v2, v1, v5
.LBB4_2786:                             ;   in Loop: Header=BB4_2468 Depth=3
	s_or_b64 exec, exec, s[34:35]
.LBB4_2787:                             ;   in Loop: Header=BB4_2468 Depth=3
	s_or_b64 exec, exec, s[30:31]
.LBB4_2788:                             ;   in Loop: Header=BB4_2468 Depth=3
	s_or_b64 exec, exec, s[28:29]
	v_mul_f32_e32 v7, v17, v16
	v_and_b32_e32 v2, 0x7f800000, v7
	v_cmp_ne_u64_e32 vcc, s[62:63], v[2:3]
                                        ; implicit-def: $vgpr56
	s_and_saveexec_b64 s[28:29], vcc
	s_xor_b64 s[30:31], exec, s[28:29]
	s_cbranch_execz .LBB4_2802
; %bb.2789:                             ;   in Loop: Header=BB4_2468 Depth=3
	v_and_b32_e32 v2, 0x7fffffff, v7
	v_cmp_gt_u64_e32 vcc, s[72:73], v[2:3]
	v_and_b32_sdwa v36, v7, s70 dst_sel:DWORD dst_unused:UNUSED_PAD src0_sel:BYTE_3 src1_sel:DWORD
                                        ; implicit-def: $vgpr56
	s_and_saveexec_b64 s[28:29], vcc
	s_xor_b64 s[34:35], exec, s[28:29]
	s_cbranch_execz .LBB4_2799
; %bb.2790:                             ;   in Loop: Header=BB4_2468 Depth=3
	v_mov_b32_e32 v56, 0
	v_cmp_ne_u32_e32 vcc, 0, v7
	s_and_saveexec_b64 s[36:37], vcc
	s_cbranch_execz .LBB4_2798
; %bb.2791:                             ;   in Loop: Header=BB4_2468 Depth=3
	v_bfe_u32 v50, v7, 23, 8
	v_cmp_gt_u32_e64 s[28:29], s80, v50
	v_sub_u32_e32 v2, 0x79, v50
	v_and_b32_e32 v1, 0x7fffff, v7
	v_cmp_eq_u32_e32 vcc, 0, v50
	v_cndmask_b32_e64 v2, 0, v2, s[28:29]
	v_mov_b32_e32 v6, 0x78
	v_or_b32_e32 v5, 0x800000, v1
	v_cndmask_b32_e32 v7, v2, v6, vcc
	v_cndmask_b32_e32 v2, v5, v1, vcc
	v_add_u32_e32 v1, 20, v7
	v_lshlrev_b64 v[16:17], v1, -1
	v_add_u32_e32 v1, 19, v7
	v_lshlrev_b64 v[20:21], v1, 1
	v_bfi_b32 v17, v17, 0, 0
	v_bfi_b32 v16, v16, 0, v2
	v_cmp_eq_u64_e64 s[28:29], v[16:17], v[20:21]
	v_lshrrev_b64 v[16:17], v7, v[2:3]
	v_mov_b32_e32 v21, v17
	v_mov_b32_e32 v20, v16
	s_and_saveexec_b64 s[38:39], s[28:29]
; %bb.2792:                             ;   in Loop: Header=BB4_2468 Depth=3
	v_bfe_u32 v1, v16, 20, 1
	v_add_co_u32_e64 v1, s[28:29], v16, v1
	v_add_co_u32_e64 v20, s[28:29], -1, v1
; %bb.2793:                             ;   in Loop: Header=BB4_2468 Depth=3
	s_or_b64 exec, exec, s[38:39]
	v_add_u32_e32 v1, 0xffffff81, v50
	v_mov_b32_e32 v2, 0xffffff82
	v_cndmask_b32_e32 v1, v1, v2, vcc
	v_lshrrev_b32_e32 v2, 23, v16
	v_add3_u32 v5, v7, v1, v2
	v_add_u32_e32 v1, 6, v5
	v_and_b32_e32 v2, 0xfffff, v20
	v_add_u32_e32 v2, v2, v16
	v_cmp_ne_u32_e32 vcc, 0, v1
                                        ; implicit-def: $vgpr16_vgpr17
                                        ; implicit-def: $vgpr7
	s_and_saveexec_b64 s[28:29], vcc
	s_xor_b64 s[28:29], exec, s[28:29]
; %bb.2794:                             ;   in Loop: Header=BB4_2468 Depth=3
	v_cmp_lt_u64_e32 vcc, s[88:89], v[2:3]
	v_add_u32_e32 v5, 7, v5
	v_cndmask_b32_e32 v7, v1, v5, vcc
	v_cndmask_b32_e64 v1, 0, 1, vcc
	v_lshrrev_b64 v[16:17], v1, v[2:3]
; %bb.2795:                             ;   in Loop: Header=BB4_2468 Depth=3
	s_andn2_saveexec_b64 s[28:29], s[28:29]
; %bb.2796:                             ;   in Loop: Header=BB4_2468 Depth=3
	v_mov_b32_e32 v17, v3
	v_bfe_u32 v7, v2, 23, 1
	v_mov_b32_e32 v16, v2
; %bb.2797:                             ;   in Loop: Header=BB4_2468 Depth=3
	s_or_b64 exec, exec, s[28:29]
	v_lshrrev_b64 v[1:2], 20, v[16:17]
	v_cmp_gt_i32_e32 vcc, 16, v7
	v_cndmask_b32_e32 v2, 0, v2, vcc
	v_cndmask_b32_e32 v1, 7, v1, vcc
	v_cmp_eq_u64_e64 s[28:29], 0, v[1:2]
	v_min_i32_e32 v2, 15, v7
	v_lshlrev_b32_e32 v2, 3, v2
	v_cmp_eq_u32_e32 vcc, 0, v7
	v_and_b32_e32 v2, 0xf8, v2
	v_and_or_b32 v1, v1, 7, v2
	s_and_b64 s[28:29], vcc, s[28:29]
	v_cndmask_b32_e64 v1, v1, 0, s[28:29]
	v_or_b32_e32 v56, v1, v36
.LBB4_2798:                             ;   in Loop: Header=BB4_2468 Depth=3
	s_or_b64 exec, exec, s[36:37]
                                        ; implicit-def: $vgpr36
.LBB4_2799:                             ;   in Loop: Header=BB4_2468 Depth=3
	s_andn2_saveexec_b64 s[28:29], s[34:35]
; %bb.2800:                             ;   in Loop: Header=BB4_2468 Depth=3
	v_or_b32_e32 v56, 0x7e, v36
; %bb.2801:                             ;   in Loop: Header=BB4_2468 Depth=3
	s_or_b64 exec, exec, s[28:29]
                                        ; implicit-def: $vgpr7
.LBB4_2802:                             ;   in Loop: Header=BB4_2468 Depth=3
	s_andn2_saveexec_b64 s[28:29], s[30:31]
; %bb.2803:                             ;   in Loop: Header=BB4_2468 Depth=3
	v_or_b32_sdwa v56, v7, s71 dst_sel:DWORD dst_unused:UNUSED_PAD src0_sel:BYTE_3 src1_sel:DWORD
; %bb.2804:                             ;   in Loop: Header=BB4_2468 Depth=3
	s_or_b64 exec, exec, s[28:29]
	v_mov_b32_e32 v2, v23
	v_cmp_ne_u16_sdwa s[44:45], v23, v3 src0_sel:BYTE_0 src1_sel:DWORD
	v_mov_b32_e32 v17, 0
	v_mov_b32_e32 v16, 0
	s_and_saveexec_b64 s[28:29], s[44:45]
	s_cbranch_execz .LBB4_2810
; %bb.2805:                             ;   in Loop: Header=BB4_2468 Depth=3
	v_cmp_ne_u16_sdwa s[44:45], v23, s70 src0_sel:BYTE_0 src1_sel:DWORD
	v_bfrev_b32_e32 v16, 1
	s_and_saveexec_b64 s[30:31], s[44:45]
	s_cbranch_execz .LBB4_2809
; %bb.2806:                             ;   in Loop: Header=BB4_2468 Depth=3
	v_and_b32_e32 v1, 0x7f, v23
	v_cmp_ne_u32_e32 vcc, s71, v1
	v_mov_b32_e32 v16, 0x7f800001
	s_and_saveexec_b64 s[34:35], vcc
	s_cbranch_execz .LBB4_2808
; %bb.2807:                             ;   in Loop: Header=BB4_2468 Depth=3
	v_and_b32_e32 v5, 7, v23
	v_lshrrev_b32_e32 v6, 3, v1
	v_cmp_gt_u32_e32 vcc, 8, v1
	v_ffbh_u32_e32 v1, v5
	v_min_u32_e32 v1, 32, v1
	v_subrev_u32_e32 v5, 28, v1
	v_cndmask_b32_e32 v5, 0, v5, vcc
	v_lshlrev_b64 v[20:21], v5, v[2:3]
	v_sub_u32_e32 v1, 29, v1
	v_cndmask_b32_e32 v1, v6, v1, vcc
	v_lshlrev_b32_e32 v5, 20, v20
	v_lshlrev_b32_e32 v6, 24, v2
	v_and_b32_e32 v5, 0x700000, v5
	v_and_b32_e32 v6, 0x80000000, v6
	v_lshl_add_u32 v1, v1, 23, v0
	v_or3_b32 v16, v6, v1, v5
.LBB4_2808:                             ;   in Loop: Header=BB4_2468 Depth=3
	s_or_b64 exec, exec, s[34:35]
.LBB4_2809:                             ;   in Loop: Header=BB4_2468 Depth=3
	s_or_b64 exec, exec, s[30:31]
.LBB4_2810:                             ;   in Loop: Header=BB4_2468 Depth=3
	s_or_b64 exec, exec, s[28:29]
	v_cmp_ne_u16_sdwa s[44:45], v19, v3 src0_sel:BYTE_0 src1_sel:DWORD
	s_and_saveexec_b64 s[28:29], s[44:45]
	s_cbranch_execz .LBB4_2816
; %bb.2811:                             ;   in Loop: Header=BB4_2468 Depth=3
	v_cmp_ne_u16_sdwa s[44:45], v19, s70 src0_sel:BYTE_0 src1_sel:DWORD
	v_bfrev_b32_e32 v17, 1
	s_and_saveexec_b64 s[30:31], s[44:45]
	s_cbranch_execz .LBB4_2815
; %bb.2812:                             ;   in Loop: Header=BB4_2468 Depth=3
	v_and_b32_e32 v1, 0x7f, v19
	v_cmp_ne_u32_e32 vcc, s71, v1
	v_mov_b32_e32 v17, 0x7f800001
	s_and_saveexec_b64 s[34:35], vcc
	s_cbranch_execz .LBB4_2814
; %bb.2813:                             ;   in Loop: Header=BB4_2468 Depth=3
	v_and_b32_e32 v5, 7, v19
	v_lshrrev_b32_e32 v6, 3, v1
	v_cmp_gt_u32_e32 vcc, 8, v1
	v_ffbh_u32_e32 v1, v5
	v_min_u32_e32 v1, 32, v1
	v_subrev_u32_e32 v5, 28, v1
	v_mov_b32_e32 v20, v19
	v_mov_b32_e32 v21, v3
	v_cndmask_b32_e32 v5, 0, v5, vcc
	v_lshlrev_b64 v[50:51], v5, v[20:21]
	v_sub_u32_e32 v1, 29, v1
	v_cndmask_b32_e32 v1, v6, v1, vcc
	v_lshlrev_b32_e32 v5, 20, v50
	v_lshlrev_b32_e32 v6, 24, v20
	v_and_b32_e32 v5, 0x700000, v5
	v_and_b32_e32 v6, 0x80000000, v6
	v_lshl_add_u32 v1, v1, 23, v0
	v_or3_b32 v17, v6, v1, v5
.LBB4_2814:                             ;   in Loop: Header=BB4_2468 Depth=3
	s_or_b64 exec, exec, s[34:35]
.LBB4_2815:                             ;   in Loop: Header=BB4_2468 Depth=3
	s_or_b64 exec, exec, s[30:31]
.LBB4_2816:                             ;   in Loop: Header=BB4_2468 Depth=3
	s_or_b64 exec, exec, s[28:29]
	v_mul_f32_e32 v7, v16, v17
	v_and_b32_e32 v16, 0x7f800000, v7
	v_mov_b32_e32 v17, v3
	v_cmp_ne_u64_e32 vcc, s[62:63], v[16:17]
                                        ; implicit-def: $vgpr57
	s_and_saveexec_b64 s[28:29], vcc
	s_xor_b64 s[30:31], exec, s[28:29]
	s_cbranch_execz .LBB4_2830
; %bb.2817:                             ;   in Loop: Header=BB4_2468 Depth=3
	v_and_b32_e32 v16, 0x7fffffff, v7
	v_mov_b32_e32 v17, v3
	v_cmp_gt_u64_e32 vcc, s[72:73], v[16:17]
	v_and_b32_sdwa v36, v7, s70 dst_sel:DWORD dst_unused:UNUSED_PAD src0_sel:BYTE_3 src1_sel:DWORD
                                        ; implicit-def: $vgpr57
	s_and_saveexec_b64 s[28:29], vcc
	s_xor_b64 s[34:35], exec, s[28:29]
	s_cbranch_execz .LBB4_2827
; %bb.2818:                             ;   in Loop: Header=BB4_2468 Depth=3
	v_mov_b32_e32 v57, 0
	v_cmp_ne_u32_e32 vcc, 0, v7
	s_and_saveexec_b64 s[36:37], vcc
	s_cbranch_execz .LBB4_2826
; %bb.2819:                             ;   in Loop: Header=BB4_2468 Depth=3
	v_bfe_u32 v50, v7, 23, 8
	v_cmp_gt_u32_e64 s[28:29], s80, v50
	v_sub_u32_e32 v5, 0x79, v50
	v_and_b32_e32 v1, 0x7fffff, v7
	v_cmp_eq_u32_e32 vcc, 0, v50
	v_cndmask_b32_e64 v5, 0, v5, s[28:29]
	v_mov_b32_e32 v7, 0x78
	v_or_b32_e32 v6, 0x800000, v1
	v_cndmask_b32_e32 v7, v5, v7, vcc
	v_cndmask_b32_e32 v16, v6, v1, vcc
	v_add_u32_e32 v1, 20, v7
	v_lshlrev_b64 v[20:21], v1, -1
	v_mov_b32_e32 v17, v3
	v_add_u32_e32 v1, 19, v7
	v_bfi_b32 v20, v20, 0, v16
	v_lshlrev_b64 v[42:43], v1, 1
	v_lshrrev_b64 v[16:17], v7, v[16:17]
	v_bfi_b32 v21, v21, 0, 0
	v_cmp_eq_u64_e64 s[28:29], v[20:21], v[42:43]
	v_mov_b32_e32 v21, v17
	v_mov_b32_e32 v20, v16
	s_and_saveexec_b64 s[38:39], s[28:29]
; %bb.2820:                             ;   in Loop: Header=BB4_2468 Depth=3
	v_bfe_u32 v1, v16, 20, 1
	v_add_co_u32_e64 v1, s[28:29], v16, v1
	v_add_co_u32_e64 v20, s[28:29], -1, v1
; %bb.2821:                             ;   in Loop: Header=BB4_2468 Depth=3
	s_or_b64 exec, exec, s[38:39]
	v_add_u32_e32 v1, 0xffffff81, v50
	v_mov_b32_e32 v5, 0xffffff82
	v_cndmask_b32_e32 v1, v1, v5, vcc
	v_lshrrev_b32_e32 v5, 23, v16
	v_add3_u32 v5, v7, v1, v5
	v_add_u32_e32 v1, 6, v5
	v_and_b32_e32 v6, 0xfffff, v20
	v_add_u32_e32 v16, v6, v16
	v_mov_b32_e32 v17, v3
	v_cmp_ne_u32_e32 vcc, 0, v1
                                        ; implicit-def: $vgpr7
	s_and_saveexec_b64 s[28:29], vcc
	s_xor_b64 s[28:29], exec, s[28:29]
; %bb.2822:                             ;   in Loop: Header=BB4_2468 Depth=3
	v_cmp_lt_u64_e32 vcc, s[88:89], v[16:17]
	v_add_u32_e32 v5, 7, v5
	v_cndmask_b32_e32 v7, v1, v5, vcc
	v_cndmask_b32_e64 v1, 0, 1, vcc
	v_lshrrev_b64 v[16:17], v1, v[16:17]
; %bb.2823:                             ;   in Loop: Header=BB4_2468 Depth=3
	s_andn2_saveexec_b64 s[28:29], s[28:29]
; %bb.2824:                             ;   in Loop: Header=BB4_2468 Depth=3
	v_bfe_u32 v7, v16, 23, 1
; %bb.2825:                             ;   in Loop: Header=BB4_2468 Depth=3
	s_or_b64 exec, exec, s[28:29]
	v_lshrrev_b64 v[16:17], 20, v[16:17]
	v_cmp_gt_i32_e32 vcc, 16, v7
	v_cndmask_b32_e32 v17, 0, v17, vcc
	v_cndmask_b32_e32 v16, 7, v16, vcc
	v_min_i32_e32 v1, 15, v7
	v_cmp_eq_u64_e64 s[28:29], 0, v[16:17]
	v_lshlrev_b32_e32 v1, 3, v1
	v_cmp_eq_u32_e32 vcc, 0, v7
	v_and_b32_e32 v1, 0xf8, v1
	v_and_or_b32 v1, v16, 7, v1
	s_and_b64 s[28:29], vcc, s[28:29]
	v_cndmask_b32_e64 v1, v1, 0, s[28:29]
	v_or_b32_e32 v57, v1, v36
.LBB4_2826:                             ;   in Loop: Header=BB4_2468 Depth=3
	s_or_b64 exec, exec, s[36:37]
                                        ; implicit-def: $vgpr36
.LBB4_2827:                             ;   in Loop: Header=BB4_2468 Depth=3
	s_andn2_saveexec_b64 s[28:29], s[34:35]
; %bb.2828:                             ;   in Loop: Header=BB4_2468 Depth=3
	v_or_b32_e32 v57, 0x7e, v36
; %bb.2829:                             ;   in Loop: Header=BB4_2468 Depth=3
	s_or_b64 exec, exec, s[28:29]
                                        ; implicit-def: $vgpr7
.LBB4_2830:                             ;   in Loop: Header=BB4_2468 Depth=3
	s_andn2_saveexec_b64 s[28:29], s[30:31]
; %bb.2831:                             ;   in Loop: Header=BB4_2468 Depth=3
	v_or_b32_sdwa v57, v7, s71 dst_sel:DWORD dst_unused:UNUSED_PAD src0_sel:BYTE_3 src1_sel:DWORD
; %bb.2832:                             ;   in Loop: Header=BB4_2468 Depth=3
	s_or_b64 exec, exec, s[28:29]
	v_lshrrev_b16_e32 v16, 8, v2
	v_cmp_ne_u16_e32 vcc, 0, v16
	v_mov_b32_e32 v17, 0
	v_mov_b32_e32 v20, 0
	s_and_saveexec_b64 s[28:29], vcc
	s_cbranch_execz .LBB4_2838
; %bb.2833:                             ;   in Loop: Header=BB4_2468 Depth=3
	v_cmp_ne_u16_e32 vcc, s70, v16
	v_bfrev_b32_e32 v20, 1
	s_and_saveexec_b64 s[30:31], vcc
	s_cbranch_execz .LBB4_2837
; %bb.2834:                             ;   in Loop: Header=BB4_2468 Depth=3
	v_and_b32_e32 v1, 0x7f, v16
	v_cmp_ne_u32_e32 vcc, s71, v1
	v_mov_b32_e32 v20, 0x7f800001
	s_and_saveexec_b64 s[34:35], vcc
	s_cbranch_execz .LBB4_2836
; %bb.2835:                             ;   in Loop: Header=BB4_2468 Depth=3
	v_and_b32_e32 v5, 7, v16
	v_lshrrev_b32_e32 v6, 3, v1
	v_cmp_gt_u32_e32 vcc, 8, v1
	v_ffbh_u32_e32 v1, v5
	v_min_u32_e32 v1, 32, v1
	v_subrev_u32_e32 v7, 28, v1
	v_lshlrev_b64 v[20:21], v7, v[16:17]
	v_sub_u32_e32 v1, 29, v1
	v_and_b32_e32 v7, 7, v20
	v_cndmask_b32_e32 v1, v6, v1, vcc
	v_cndmask_b32_e32 v5, v5, v7, vcc
	v_lshlrev_b32_e32 v2, 16, v2
	v_lshlrev_b32_e32 v5, 20, v5
	v_and_b32_e32 v2, 0x80000000, v2
	v_lshl_add_u32 v1, v1, 23, v0
	v_or3_b32 v20, v2, v1, v5
.LBB4_2836:                             ;   in Loop: Header=BB4_2468 Depth=3
	s_or_b64 exec, exec, s[34:35]
.LBB4_2837:                             ;   in Loop: Header=BB4_2468 Depth=3
	s_or_b64 exec, exec, s[30:31]
.LBB4_2838:                             ;   in Loop: Header=BB4_2468 Depth=3
	s_or_b64 exec, exec, s[28:29]
	v_lshrrev_b16_e32 v2, 8, v19
	v_cmp_ne_u16_e32 vcc, 0, v2
	s_and_saveexec_b64 s[28:29], vcc
	s_cbranch_execz .LBB4_2844
; %bb.2839:                             ;   in Loop: Header=BB4_2468 Depth=3
	v_cmp_ne_u16_e32 vcc, s70, v2
	v_bfrev_b32_e32 v17, 1
	s_and_saveexec_b64 s[30:31], vcc
	s_cbranch_execz .LBB4_2843
; %bb.2840:                             ;   in Loop: Header=BB4_2468 Depth=3
	v_and_b32_e32 v1, 0x7f, v2
	v_cmp_ne_u32_e32 vcc, s71, v1
	v_mov_b32_e32 v17, 0x7f800001
	s_and_saveexec_b64 s[34:35], vcc
	s_cbranch_execz .LBB4_2842
; %bb.2841:                             ;   in Loop: Header=BB4_2468 Depth=3
	v_and_b32_e32 v5, 7, v2
	v_lshrrev_b32_e32 v6, 3, v1
	v_cmp_gt_u32_e32 vcc, 8, v1
	v_ffbh_u32_e32 v1, v5
	v_min_u32_e32 v7, 32, v1
	v_subrev_u32_e32 v1, 28, v7
	v_lshlrev_b64 v[1:2], v1, v[2:3]
	v_sub_u32_e32 v2, 29, v7
	v_and_b32_e32 v1, 7, v1
	v_cndmask_b32_e32 v2, v6, v2, vcc
	v_cndmask_b32_e32 v1, v5, v1, vcc
	v_lshlrev_b32_e32 v5, 16, v19
	v_lshlrev_b32_e32 v1, 20, v1
	v_and_b32_e32 v5, 0x80000000, v5
	v_lshl_add_u32 v2, v2, 23, v0
	v_or3_b32 v17, v5, v2, v1
.LBB4_2842:                             ;   in Loop: Header=BB4_2468 Depth=3
	s_or_b64 exec, exec, s[34:35]
.LBB4_2843:                             ;   in Loop: Header=BB4_2468 Depth=3
	s_or_b64 exec, exec, s[30:31]
.LBB4_2844:                             ;   in Loop: Header=BB4_2468 Depth=3
	s_or_b64 exec, exec, s[28:29]
	v_mul_f32_e32 v7, v20, v17
	v_and_b32_e32 v2, 0x7f800000, v7
	v_cmp_ne_u64_e32 vcc, s[62:63], v[2:3]
                                        ; implicit-def: $vgpr42
	s_and_saveexec_b64 s[28:29], vcc
	s_xor_b64 s[30:31], exec, s[28:29]
	s_cbranch_execz .LBB4_2858
; %bb.2845:                             ;   in Loop: Header=BB4_2468 Depth=3
	v_and_b32_e32 v2, 0x7fffffff, v7
	v_cmp_gt_u64_e32 vcc, s[72:73], v[2:3]
	v_and_b32_sdwa v36, v7, s70 dst_sel:DWORD dst_unused:UNUSED_PAD src0_sel:BYTE_3 src1_sel:DWORD
                                        ; implicit-def: $vgpr42
	s_and_saveexec_b64 s[28:29], vcc
	s_xor_b64 s[34:35], exec, s[28:29]
	s_cbranch_execz .LBB4_2855
; %bb.2846:                             ;   in Loop: Header=BB4_2468 Depth=3
	v_mov_b32_e32 v42, 0
	v_cmp_ne_u32_e32 vcc, 0, v7
	s_and_saveexec_b64 s[36:37], vcc
	s_cbranch_execz .LBB4_2854
; %bb.2847:                             ;   in Loop: Header=BB4_2468 Depth=3
	v_bfe_u32 v50, v7, 23, 8
	v_cmp_gt_u32_e64 s[28:29], s80, v50
	v_sub_u32_e32 v2, 0x79, v50
	v_and_b32_e32 v1, 0x7fffff, v7
	v_cmp_eq_u32_e32 vcc, 0, v50
	v_cndmask_b32_e64 v2, 0, v2, s[28:29]
	v_mov_b32_e32 v6, 0x78
	v_or_b32_e32 v5, 0x800000, v1
	v_cndmask_b32_e32 v7, v2, v6, vcc
	v_cndmask_b32_e32 v2, v5, v1, vcc
	v_add_u32_e32 v1, 20, v7
	v_lshlrev_b64 v[16:17], v1, -1
	v_add_u32_e32 v1, 19, v7
	v_lshlrev_b64 v[20:21], v1, 1
	v_bfi_b32 v17, v17, 0, 0
	v_bfi_b32 v16, v16, 0, v2
	v_cmp_eq_u64_e64 s[28:29], v[16:17], v[20:21]
	v_lshrrev_b64 v[16:17], v7, v[2:3]
	v_mov_b32_e32 v21, v17
	v_mov_b32_e32 v20, v16
	s_and_saveexec_b64 s[38:39], s[28:29]
; %bb.2848:                             ;   in Loop: Header=BB4_2468 Depth=3
	v_bfe_u32 v1, v16, 20, 1
	v_add_co_u32_e64 v1, s[28:29], v16, v1
	v_add_co_u32_e64 v20, s[28:29], -1, v1
; %bb.2849:                             ;   in Loop: Header=BB4_2468 Depth=3
	s_or_b64 exec, exec, s[38:39]
	v_add_u32_e32 v1, 0xffffff81, v50
	v_mov_b32_e32 v2, 0xffffff82
	v_cndmask_b32_e32 v1, v1, v2, vcc
	v_lshrrev_b32_e32 v2, 23, v16
	v_add3_u32 v5, v7, v1, v2
	v_add_u32_e32 v1, 6, v5
	v_and_b32_e32 v2, 0xfffff, v20
	v_add_u32_e32 v2, v2, v16
	v_cmp_ne_u32_e32 vcc, 0, v1
                                        ; implicit-def: $vgpr16_vgpr17
                                        ; implicit-def: $vgpr7
	s_and_saveexec_b64 s[28:29], vcc
	s_xor_b64 s[28:29], exec, s[28:29]
; %bb.2850:                             ;   in Loop: Header=BB4_2468 Depth=3
	v_cmp_lt_u64_e32 vcc, s[88:89], v[2:3]
	v_add_u32_e32 v5, 7, v5
	v_cndmask_b32_e32 v7, v1, v5, vcc
	v_cndmask_b32_e64 v1, 0, 1, vcc
	v_lshrrev_b64 v[16:17], v1, v[2:3]
; %bb.2851:                             ;   in Loop: Header=BB4_2468 Depth=3
	s_andn2_saveexec_b64 s[28:29], s[28:29]
; %bb.2852:                             ;   in Loop: Header=BB4_2468 Depth=3
	v_mov_b32_e32 v17, v3
	v_bfe_u32 v7, v2, 23, 1
	v_mov_b32_e32 v16, v2
; %bb.2853:                             ;   in Loop: Header=BB4_2468 Depth=3
	s_or_b64 exec, exec, s[28:29]
	v_lshrrev_b64 v[1:2], 20, v[16:17]
	v_cmp_gt_i32_e32 vcc, 16, v7
	v_cndmask_b32_e32 v2, 0, v2, vcc
	v_cndmask_b32_e32 v1, 7, v1, vcc
	v_cmp_eq_u64_e64 s[28:29], 0, v[1:2]
	v_min_i32_e32 v2, 15, v7
	v_lshlrev_b32_e32 v2, 3, v2
	v_cmp_eq_u32_e32 vcc, 0, v7
	v_and_b32_e32 v2, 0xf8, v2
	v_and_or_b32 v1, v1, 7, v2
	s_and_b64 s[28:29], vcc, s[28:29]
	v_cndmask_b32_e64 v1, v1, 0, s[28:29]
	v_or_b32_e32 v42, v1, v36
.LBB4_2854:                             ;   in Loop: Header=BB4_2468 Depth=3
	s_or_b64 exec, exec, s[36:37]
                                        ; implicit-def: $vgpr36
.LBB4_2855:                             ;   in Loop: Header=BB4_2468 Depth=3
	s_andn2_saveexec_b64 s[28:29], s[34:35]
; %bb.2856:                             ;   in Loop: Header=BB4_2468 Depth=3
	v_or_b32_e32 v42, 0x7e, v36
; %bb.2857:                             ;   in Loop: Header=BB4_2468 Depth=3
	s_or_b64 exec, exec, s[28:29]
                                        ; implicit-def: $vgpr7
.LBB4_2858:                             ;   in Loop: Header=BB4_2468 Depth=3
	s_andn2_saveexec_b64 s[28:29], s[30:31]
; %bb.2859:                             ;   in Loop: Header=BB4_2468 Depth=3
	v_or_b32_sdwa v42, v7, s71 dst_sel:DWORD dst_unused:UNUSED_PAD src0_sel:BYTE_3 src1_sel:DWORD
; %bb.2860:                             ;   in Loop: Header=BB4_2468 Depth=3
	s_or_b64 exec, exec, s[28:29]
	v_lshrrev_b32_e32 v2, 16, v23
	v_cmp_ne_u16_sdwa s[44:45], v2, v3 src0_sel:BYTE_0 src1_sel:DWORD
	v_mov_b32_e32 v16, 0
	v_mov_b32_e32 v17, 0
	s_and_saveexec_b64 s[28:29], s[44:45]
	s_cbranch_execz .LBB4_2866
; %bb.2861:                             ;   in Loop: Header=BB4_2468 Depth=3
	v_cmp_ne_u16_sdwa s[44:45], v2, s70 src0_sel:BYTE_0 src1_sel:DWORD
	v_bfrev_b32_e32 v17, 1
	s_and_saveexec_b64 s[30:31], s[44:45]
	s_cbranch_execz .LBB4_2865
; %bb.2862:                             ;   in Loop: Header=BB4_2468 Depth=3
	v_bfe_u32 v1, v23, 16, 7
	v_cmp_ne_u32_e32 vcc, s71, v1
	v_mov_b32_e32 v17, 0x7f800001
	s_and_saveexec_b64 s[34:35], vcc
	s_cbranch_execz .LBB4_2864
; %bb.2863:                             ;   in Loop: Header=BB4_2468 Depth=3
	v_and_b32_e32 v5, 7, v2
	v_lshrrev_b32_e32 v6, 3, v1
	v_cmp_gt_u32_e32 vcc, 8, v1
	v_ffbh_u32_e32 v1, v5
	v_min_u32_e32 v1, 32, v1
	v_subrev_u32_e32 v7, 28, v1
	v_lshlrev_b64 v[20:21], v7, v[2:3]
	v_sub_u32_e32 v1, 29, v1
	v_and_b32_e32 v7, 7, v20
	v_cndmask_b32_e32 v1, v6, v1, vcc
	v_cndmask_b32_e32 v5, v5, v7, vcc
	v_lshlrev_b32_e32 v2, 24, v2
	v_lshlrev_b32_e32 v5, 20, v5
	v_and_b32_e32 v2, 0x80000000, v2
	v_lshl_add_u32 v1, v1, 23, v0
	v_or3_b32 v17, v2, v1, v5
.LBB4_2864:                             ;   in Loop: Header=BB4_2468 Depth=3
	s_or_b64 exec, exec, s[34:35]
.LBB4_2865:                             ;   in Loop: Header=BB4_2468 Depth=3
	s_or_b64 exec, exec, s[30:31]
.LBB4_2866:                             ;   in Loop: Header=BB4_2468 Depth=3
	s_or_b64 exec, exec, s[28:29]
	v_lshrrev_b32_e32 v2, 16, v19
	v_cmp_ne_u16_sdwa s[44:45], v2, v3 src0_sel:BYTE_0 src1_sel:DWORD
	s_and_saveexec_b64 s[28:29], s[44:45]
	s_cbranch_execz .LBB4_2872
; %bb.2867:                             ;   in Loop: Header=BB4_2468 Depth=3
	v_cmp_ne_u16_sdwa s[44:45], v2, s70 src0_sel:BYTE_0 src1_sel:DWORD
	v_bfrev_b32_e32 v16, 1
	s_and_saveexec_b64 s[30:31], s[44:45]
	s_cbranch_execz .LBB4_2871
; %bb.2868:                             ;   in Loop: Header=BB4_2468 Depth=3
	v_bfe_u32 v1, v19, 16, 7
	v_cmp_ne_u32_e32 vcc, s71, v1
	v_mov_b32_e32 v16, 0x7f800001
	s_and_saveexec_b64 s[34:35], vcc
	s_cbranch_execz .LBB4_2870
; %bb.2869:                             ;   in Loop: Header=BB4_2468 Depth=3
	v_and_b32_e32 v5, 7, v2
	v_lshrrev_b32_e32 v6, 3, v1
	v_cmp_gt_u32_e32 vcc, 8, v1
	v_ffbh_u32_e32 v1, v5
	v_min_u32_e32 v7, 32, v1
	v_subrev_u32_e32 v1, 28, v7
	v_lshlrev_b64 v[1:2], v1, v[2:3]
	v_sub_u32_e32 v2, 29, v7
	v_and_b32_e32 v1, 7, v1
	v_cndmask_b32_e32 v2, v6, v2, vcc
	v_cndmask_b32_e32 v1, v5, v1, vcc
	v_lshlrev_b32_e32 v5, 8, v19
	v_lshlrev_b32_e32 v1, 20, v1
	v_and_b32_e32 v5, 0x80000000, v5
	v_lshl_add_u32 v2, v2, 23, v0
	v_or3_b32 v16, v5, v2, v1
.LBB4_2870:                             ;   in Loop: Header=BB4_2468 Depth=3
	s_or_b64 exec, exec, s[34:35]
.LBB4_2871:                             ;   in Loop: Header=BB4_2468 Depth=3
	s_or_b64 exec, exec, s[30:31]
.LBB4_2872:                             ;   in Loop: Header=BB4_2468 Depth=3
	s_or_b64 exec, exec, s[28:29]
	v_mul_f32_e32 v7, v17, v16
	v_and_b32_e32 v2, 0x7f800000, v7
	v_cmp_ne_u64_e32 vcc, s[62:63], v[2:3]
                                        ; implicit-def: $vgpr20
	s_and_saveexec_b64 s[28:29], vcc
	s_xor_b64 s[30:31], exec, s[28:29]
	s_cbranch_execz .LBB4_2886
; %bb.2873:                             ;   in Loop: Header=BB4_2468 Depth=3
	v_and_b32_e32 v2, 0x7fffffff, v7
	v_cmp_gt_u64_e32 vcc, s[72:73], v[2:3]
	v_and_b32_sdwa v36, v7, s70 dst_sel:DWORD dst_unused:UNUSED_PAD src0_sel:BYTE_3 src1_sel:DWORD
                                        ; implicit-def: $vgpr20
	s_and_saveexec_b64 s[28:29], vcc
	s_xor_b64 s[34:35], exec, s[28:29]
	s_cbranch_execz .LBB4_2883
; %bb.2874:                             ;   in Loop: Header=BB4_2468 Depth=3
	v_mov_b32_e32 v20, 0
	v_cmp_ne_u32_e32 vcc, 0, v7
	s_and_saveexec_b64 s[36:37], vcc
	s_cbranch_execz .LBB4_2882
; %bb.2875:                             ;   in Loop: Header=BB4_2468 Depth=3
	v_bfe_u32 v50, v7, 23, 8
	v_cmp_gt_u32_e64 s[28:29], s80, v50
	v_sub_u32_e32 v2, 0x79, v50
	v_and_b32_e32 v1, 0x7fffff, v7
	v_cmp_eq_u32_e32 vcc, 0, v50
	v_cndmask_b32_e64 v2, 0, v2, s[28:29]
	v_mov_b32_e32 v6, 0x78
	v_or_b32_e32 v5, 0x800000, v1
	v_cndmask_b32_e32 v7, v2, v6, vcc
	v_cndmask_b32_e32 v2, v5, v1, vcc
	v_add_u32_e32 v1, 20, v7
	v_lshlrev_b64 v[16:17], v1, -1
	v_add_u32_e32 v1, 19, v7
	v_lshlrev_b64 v[20:21], v1, 1
	v_bfi_b32 v17, v17, 0, 0
	v_bfi_b32 v16, v16, 0, v2
	v_cmp_eq_u64_e64 s[28:29], v[16:17], v[20:21]
	v_lshrrev_b64 v[16:17], v7, v[2:3]
	v_mov_b32_e32 v21, v17
	v_mov_b32_e32 v20, v16
	s_and_saveexec_b64 s[38:39], s[28:29]
; %bb.2876:                             ;   in Loop: Header=BB4_2468 Depth=3
	v_bfe_u32 v1, v16, 20, 1
	v_add_co_u32_e64 v1, s[28:29], v16, v1
	v_add_co_u32_e64 v20, s[28:29], -1, v1
; %bb.2877:                             ;   in Loop: Header=BB4_2468 Depth=3
	s_or_b64 exec, exec, s[38:39]
	v_add_u32_e32 v1, 0xffffff81, v50
	v_mov_b32_e32 v2, 0xffffff82
	v_cndmask_b32_e32 v1, v1, v2, vcc
	v_lshrrev_b32_e32 v2, 23, v16
	v_add3_u32 v5, v7, v1, v2
	v_add_u32_e32 v1, 6, v5
	v_and_b32_e32 v2, 0xfffff, v20
	v_add_u32_e32 v2, v2, v16
	v_cmp_ne_u32_e32 vcc, 0, v1
                                        ; implicit-def: $vgpr16_vgpr17
                                        ; implicit-def: $vgpr7
	s_and_saveexec_b64 s[28:29], vcc
	s_xor_b64 s[28:29], exec, s[28:29]
; %bb.2878:                             ;   in Loop: Header=BB4_2468 Depth=3
	v_cmp_lt_u64_e32 vcc, s[88:89], v[2:3]
	v_add_u32_e32 v5, 7, v5
	v_cndmask_b32_e32 v7, v1, v5, vcc
	v_cndmask_b32_e64 v1, 0, 1, vcc
	v_lshrrev_b64 v[16:17], v1, v[2:3]
; %bb.2879:                             ;   in Loop: Header=BB4_2468 Depth=3
	s_andn2_saveexec_b64 s[28:29], s[28:29]
; %bb.2880:                             ;   in Loop: Header=BB4_2468 Depth=3
	v_mov_b32_e32 v17, v3
	v_bfe_u32 v7, v2, 23, 1
	v_mov_b32_e32 v16, v2
; %bb.2881:                             ;   in Loop: Header=BB4_2468 Depth=3
	s_or_b64 exec, exec, s[28:29]
	v_lshrrev_b64 v[1:2], 20, v[16:17]
	v_cmp_gt_i32_e32 vcc, 16, v7
	v_cndmask_b32_e32 v2, 0, v2, vcc
	v_cndmask_b32_e32 v1, 7, v1, vcc
	v_cmp_eq_u64_e64 s[28:29], 0, v[1:2]
	v_min_i32_e32 v2, 15, v7
	v_lshlrev_b32_e32 v2, 3, v2
	v_cmp_eq_u32_e32 vcc, 0, v7
	v_and_b32_e32 v2, 0xf8, v2
	v_and_or_b32 v1, v1, 7, v2
	s_and_b64 s[28:29], vcc, s[28:29]
	v_cndmask_b32_e64 v1, v1, 0, s[28:29]
	v_or_b32_e32 v20, v1, v36
.LBB4_2882:                             ;   in Loop: Header=BB4_2468 Depth=3
	s_or_b64 exec, exec, s[36:37]
                                        ; implicit-def: $vgpr36
.LBB4_2883:                             ;   in Loop: Header=BB4_2468 Depth=3
	s_andn2_saveexec_b64 s[28:29], s[34:35]
; %bb.2884:                             ;   in Loop: Header=BB4_2468 Depth=3
	v_or_b32_e32 v20, 0x7e, v36
; %bb.2885:                             ;   in Loop: Header=BB4_2468 Depth=3
	s_or_b64 exec, exec, s[28:29]
                                        ; implicit-def: $vgpr7
.LBB4_2886:                             ;   in Loop: Header=BB4_2468 Depth=3
	s_andn2_saveexec_b64 s[28:29], s[30:31]
; %bb.2887:                             ;   in Loop: Header=BB4_2468 Depth=3
	v_or_b32_sdwa v20, v7, s71 dst_sel:DWORD dst_unused:UNUSED_PAD src0_sel:BYTE_3 src1_sel:DWORD
; %bb.2888:                             ;   in Loop: Header=BB4_2468 Depth=3
	s_or_b64 exec, exec, s[28:29]
	v_cmp_lt_u64_e32 vcc, s[56:57], v[22:23]
	v_mov_b32_e32 v16, 0
	v_mov_b32_e32 v17, 0
	s_and_saveexec_b64 s[28:29], vcc
	s_cbranch_execz .LBB4_2894
; %bb.2889:                             ;   in Loop: Header=BB4_2468 Depth=3
	v_lshrrev_b32_e32 v2, 24, v23
	v_cmp_ne_u32_e32 vcc, s70, v2
	v_bfrev_b32_e32 v17, 1
	s_and_saveexec_b64 s[30:31], vcc
	s_cbranch_execz .LBB4_2893
; %bb.2890:                             ;   in Loop: Header=BB4_2468 Depth=3
	v_bfe_u32 v1, v23, 24, 7
	v_cmp_ne_u32_e32 vcc, s71, v1
	v_mov_b32_e32 v17, 0x7f800001
	s_and_saveexec_b64 s[34:35], vcc
	s_cbranch_execz .LBB4_2892
; %bb.2891:                             ;   in Loop: Header=BB4_2468 Depth=3
	v_and_b32_e32 v5, 7, v2
	v_lshrrev_b32_e32 v6, 3, v1
	v_cmp_gt_u32_e32 vcc, 8, v1
	v_ffbh_u32_e32 v1, v5
	v_min_u32_e32 v1, 32, v1
	v_subrev_u32_e32 v7, 28, v1
	v_lshlrev_b64 v[21:22], v7, v[2:3]
	v_sub_u32_e32 v1, 29, v1
	v_and_b32_e32 v7, 7, v21
	v_cndmask_b32_e32 v1, v6, v1, vcc
	v_cndmask_b32_e32 v5, v5, v7, vcc
	v_lshlrev_b32_e32 v2, 24, v2
	v_lshlrev_b32_e32 v5, 20, v5
	v_and_b32_e32 v2, 0x80000000, v2
	v_lshl_add_u32 v1, v1, 23, v0
	v_or3_b32 v17, v2, v1, v5
.LBB4_2892:                             ;   in Loop: Header=BB4_2468 Depth=3
	s_or_b64 exec, exec, s[34:35]
.LBB4_2893:                             ;   in Loop: Header=BB4_2468 Depth=3
	s_or_b64 exec, exec, s[30:31]
.LBB4_2894:                             ;   in Loop: Header=BB4_2468 Depth=3
	s_or_b64 exec, exec, s[28:29]
	v_cmp_lt_u64_e32 vcc, s[56:57], v[18:19]
	s_and_saveexec_b64 s[28:29], vcc
	s_cbranch_execz .LBB4_2900
; %bb.2895:                             ;   in Loop: Header=BB4_2468 Depth=3
	v_lshrrev_b32_e32 v2, 24, v19
	v_cmp_ne_u32_e32 vcc, s70, v2
	v_bfrev_b32_e32 v16, 1
	s_and_saveexec_b64 s[30:31], vcc
	s_cbranch_execz .LBB4_2899
; %bb.2896:                             ;   in Loop: Header=BB4_2468 Depth=3
	v_bfe_u32 v1, v19, 24, 7
	v_cmp_ne_u32_e32 vcc, s71, v1
	v_mov_b32_e32 v16, 0x7f800001
	s_and_saveexec_b64 s[34:35], vcc
	s_cbranch_execz .LBB4_2898
; %bb.2897:                             ;   in Loop: Header=BB4_2468 Depth=3
	v_and_b32_e32 v5, 7, v2
	v_lshrrev_b32_e32 v6, 3, v1
	v_cmp_gt_u32_e32 vcc, 8, v1
	v_ffbh_u32_e32 v1, v5
	v_min_u32_e32 v1, 32, v1
	v_subrev_u32_e32 v7, 28, v1
	v_lshlrev_b64 v[18:19], v7, v[2:3]
	v_sub_u32_e32 v1, 29, v1
	v_and_b32_e32 v7, 7, v18
	v_cndmask_b32_e32 v1, v6, v1, vcc
	v_cndmask_b32_e32 v5, v5, v7, vcc
	v_lshlrev_b32_e32 v2, 24, v2
	v_lshlrev_b32_e32 v5, 20, v5
	v_and_b32_e32 v2, 0x80000000, v2
	v_lshl_add_u32 v1, v1, 23, v0
	v_or3_b32 v16, v2, v1, v5
.LBB4_2898:                             ;   in Loop: Header=BB4_2468 Depth=3
	s_or_b64 exec, exec, s[34:35]
.LBB4_2899:                             ;   in Loop: Header=BB4_2468 Depth=3
	s_or_b64 exec, exec, s[30:31]
.LBB4_2900:                             ;   in Loop: Header=BB4_2468 Depth=3
	s_or_b64 exec, exec, s[28:29]
	v_mul_f32_e32 v7, v17, v16
	v_and_b32_e32 v2, 0x7f800000, v7
	v_cmp_ne_u64_e32 vcc, s[62:63], v[2:3]
                                        ; implicit-def: $vgpr19
	s_and_saveexec_b64 s[28:29], vcc
	s_xor_b64 s[30:31], exec, s[28:29]
	s_cbranch_execz .LBB4_2914
; %bb.2901:                             ;   in Loop: Header=BB4_2468 Depth=3
	v_and_b32_e32 v2, 0x7fffffff, v7
	v_cmp_gt_u64_e32 vcc, s[72:73], v[2:3]
	v_and_b32_sdwa v21, v7, s70 dst_sel:DWORD dst_unused:UNUSED_PAD src0_sel:BYTE_3 src1_sel:DWORD
                                        ; implicit-def: $vgpr19
	s_and_saveexec_b64 s[28:29], vcc
	s_xor_b64 s[34:35], exec, s[28:29]
	s_cbranch_execz .LBB4_2911
; %bb.2902:                             ;   in Loop: Header=BB4_2468 Depth=3
	v_mov_b32_e32 v19, 0
	v_cmp_ne_u32_e32 vcc, 0, v7
	s_and_saveexec_b64 s[36:37], vcc
	s_cbranch_execz .LBB4_2910
; %bb.2903:                             ;   in Loop: Header=BB4_2468 Depth=3
	v_bfe_u32 v19, v7, 23, 8
	v_cmp_gt_u32_e64 s[28:29], s80, v19
	v_sub_u32_e32 v2, 0x79, v19
	v_and_b32_e32 v1, 0x7fffff, v7
	v_cmp_eq_u32_e32 vcc, 0, v19
	v_cndmask_b32_e64 v2, 0, v2, s[28:29]
	v_mov_b32_e32 v6, 0x78
	v_or_b32_e32 v5, 0x800000, v1
	v_cndmask_b32_e32 v7, v2, v6, vcc
	v_cndmask_b32_e32 v2, v5, v1, vcc
	v_add_u32_e32 v1, 20, v7
	v_lshlrev_b64 v[16:17], v1, -1
	v_add_u32_e32 v1, 19, v7
	v_lshlrev_b64 v[22:23], v1, 1
	v_bfi_b32 v17, v17, 0, 0
	v_bfi_b32 v16, v16, 0, v2
	v_cmp_eq_u64_e64 s[28:29], v[16:17], v[22:23]
	v_lshrrev_b64 v[16:17], v7, v[2:3]
	v_mov_b32_e32 v18, v17
	v_mov_b32_e32 v17, v16
	s_and_saveexec_b64 s[38:39], s[28:29]
; %bb.2904:                             ;   in Loop: Header=BB4_2468 Depth=3
	v_bfe_u32 v1, v16, 20, 1
	v_add_co_u32_e64 v1, s[28:29], v16, v1
	v_add_co_u32_e64 v17, s[28:29], -1, v1
; %bb.2905:                             ;   in Loop: Header=BB4_2468 Depth=3
	s_or_b64 exec, exec, s[38:39]
	v_add_u32_e32 v1, 0xffffff81, v19
	v_mov_b32_e32 v2, 0xffffff82
	v_cndmask_b32_e32 v1, v1, v2, vcc
	v_lshrrev_b32_e32 v2, 23, v16
	v_add3_u32 v5, v7, v1, v2
	v_add_u32_e32 v1, 6, v5
	v_and_b32_e32 v2, 0xfffff, v17
	v_add_u32_e32 v2, v2, v16
	v_cmp_ne_u32_e32 vcc, 0, v1
                                        ; implicit-def: $vgpr16_vgpr17
                                        ; implicit-def: $vgpr7
	s_and_saveexec_b64 s[28:29], vcc
	s_xor_b64 s[28:29], exec, s[28:29]
; %bb.2906:                             ;   in Loop: Header=BB4_2468 Depth=3
	v_cmp_lt_u64_e32 vcc, s[88:89], v[2:3]
	v_add_u32_e32 v5, 7, v5
	v_cndmask_b32_e32 v7, v1, v5, vcc
	v_cndmask_b32_e64 v1, 0, 1, vcc
	v_lshrrev_b64 v[16:17], v1, v[2:3]
; %bb.2907:                             ;   in Loop: Header=BB4_2468 Depth=3
	s_andn2_saveexec_b64 s[28:29], s[28:29]
; %bb.2908:                             ;   in Loop: Header=BB4_2468 Depth=3
	v_mov_b32_e32 v17, v3
	v_bfe_u32 v7, v2, 23, 1
	v_mov_b32_e32 v16, v2
; %bb.2909:                             ;   in Loop: Header=BB4_2468 Depth=3
	s_or_b64 exec, exec, s[28:29]
	v_lshrrev_b64 v[1:2], 20, v[16:17]
	v_cmp_gt_i32_e32 vcc, 16, v7
	v_cndmask_b32_e32 v2, 0, v2, vcc
	v_cndmask_b32_e32 v1, 7, v1, vcc
	v_cmp_eq_u64_e64 s[28:29], 0, v[1:2]
	v_min_i32_e32 v2, 15, v7
	v_lshlrev_b32_e32 v2, 3, v2
	v_cmp_eq_u32_e32 vcc, 0, v7
	v_and_b32_e32 v2, 0xf8, v2
	v_and_or_b32 v1, v1, 7, v2
	s_and_b64 s[28:29], vcc, s[28:29]
	v_cndmask_b32_e64 v1, v1, 0, s[28:29]
	v_or_b32_e32 v19, v1, v21
.LBB4_2910:                             ;   in Loop: Header=BB4_2468 Depth=3
	s_or_b64 exec, exec, s[36:37]
                                        ; implicit-def: $vgpr21
.LBB4_2911:                             ;   in Loop: Header=BB4_2468 Depth=3
	s_andn2_saveexec_b64 s[28:29], s[34:35]
; %bb.2912:                             ;   in Loop: Header=BB4_2468 Depth=3
	v_or_b32_e32 v19, 0x7e, v21
; %bb.2913:                             ;   in Loop: Header=BB4_2468 Depth=3
	s_or_b64 exec, exec, s[28:29]
                                        ; implicit-def: $vgpr7
.LBB4_2914:                             ;   in Loop: Header=BB4_2468 Depth=3
	s_andn2_saveexec_b64 s[28:29], s[30:31]
; %bb.2915:                             ;   in Loop: Header=BB4_2468 Depth=3
	v_or_b32_sdwa v19, v7, s71 dst_sel:DWORD dst_unused:UNUSED_PAD src0_sel:BYTE_3 src1_sel:DWORD
; %bb.2916:                             ;   in Loop: Header=BB4_2468 Depth=3
	s_or_b64 exec, exec, s[28:29]
	v_cmp_ne_u16_sdwa s[44:45], v12, v3 src0_sel:BYTE_0 src1_sel:DWORD
	v_mov_b32_e32 v2, 0
	v_mov_b32_e32 v16, 0
	s_and_saveexec_b64 s[28:29], s[44:45]
	s_cbranch_execz .LBB4_2922
; %bb.2917:                             ;   in Loop: Header=BB4_2468 Depth=3
	v_cmp_ne_u16_sdwa s[44:45], v12, s70 src0_sel:BYTE_0 src1_sel:DWORD
	v_bfrev_b32_e32 v16, 1
	s_and_saveexec_b64 s[30:31], s[44:45]
	s_cbranch_execz .LBB4_2921
; %bb.2918:                             ;   in Loop: Header=BB4_2468 Depth=3
	v_and_b32_e32 v1, 0x7f, v12
	v_cmp_ne_u32_e32 vcc, s71, v1
	v_mov_b32_e32 v16, 0x7f800001
	s_and_saveexec_b64 s[34:35], vcc
	s_cbranch_execz .LBB4_2920
; %bb.2919:                             ;   in Loop: Header=BB4_2468 Depth=3
	v_and_b32_e32 v5, 7, v12
	v_lshrrev_b32_e32 v6, 3, v1
	v_cmp_gt_u32_e32 vcc, 8, v1
	v_ffbh_u32_e32 v1, v5
	v_min_u32_e32 v1, 32, v1
	v_subrev_u32_e32 v5, 28, v1
	v_cndmask_b32_e32 v5, 0, v5, vcc
	v_lshlrev_b64 v[16:17], v5, v[12:13]
	v_sub_u32_e32 v1, 29, v1
	v_cndmask_b32_e32 v1, v6, v1, vcc
	v_lshlrev_b32_e32 v5, 20, v16
	v_lshlrev_b32_e32 v6, 24, v12
	v_and_b32_e32 v5, 0x700000, v5
	v_and_b32_e32 v6, 0x80000000, v6
	v_lshl_add_u32 v1, v1, 23, v0
	v_or3_b32 v16, v6, v1, v5
.LBB4_2920:                             ;   in Loop: Header=BB4_2468 Depth=3
	s_or_b64 exec, exec, s[34:35]
.LBB4_2921:                             ;   in Loop: Header=BB4_2468 Depth=3
	s_or_b64 exec, exec, s[30:31]
.LBB4_2922:                             ;   in Loop: Header=BB4_2468 Depth=3
	s_or_b64 exec, exec, s[28:29]
	s_waitcnt vmcnt(0)
	v_cmp_ne_u16_sdwa s[44:45], v8, v3 src0_sel:BYTE_0 src1_sel:DWORD
	s_and_saveexec_b64 s[28:29], s[44:45]
	s_cbranch_execz .LBB4_2928
; %bb.2923:                             ;   in Loop: Header=BB4_2468 Depth=3
	v_cmp_ne_u16_sdwa s[44:45], v8, s70 src0_sel:BYTE_0 src1_sel:DWORD
	v_bfrev_b32_e32 v2, 1
	s_and_saveexec_b64 s[30:31], s[44:45]
	s_cbranch_execz .LBB4_2927
; %bb.2924:                             ;   in Loop: Header=BB4_2468 Depth=3
	v_and_b32_e32 v1, 0x7f, v8
	v_cmp_ne_u32_e32 vcc, s71, v1
	v_mov_b32_e32 v2, 0x7f800001
	s_and_saveexec_b64 s[34:35], vcc
	s_cbranch_execz .LBB4_2926
; %bb.2925:                             ;   in Loop: Header=BB4_2468 Depth=3
	v_and_b32_e32 v2, 7, v8
	v_lshrrev_b32_e32 v5, 3, v1
	v_cmp_gt_u32_e32 vcc, 8, v1
	v_ffbh_u32_e32 v1, v2
	v_min_u32_e32 v1, 32, v1
	v_subrev_u32_e32 v2, 28, v1
	v_sub_u32_e32 v1, 29, v1
	v_cndmask_b32_e32 v5, v5, v1, vcc
	v_cndmask_b32_e32 v1, 0, v2, vcc
	v_lshlrev_b64 v[1:2], v1, v[8:9]
	v_lshlrev_b32_e32 v2, 24, v8
	v_lshlrev_b32_e32 v1, 20, v1
	v_and_b32_e32 v1, 0x700000, v1
	v_and_b32_e32 v2, 0x80000000, v2
	v_lshl_add_u32 v5, v5, 23, v0
	v_or3_b32 v2, v2, v5, v1
.LBB4_2926:                             ;   in Loop: Header=BB4_2468 Depth=3
	s_or_b64 exec, exec, s[34:35]
.LBB4_2927:                             ;   in Loop: Header=BB4_2468 Depth=3
	s_or_b64 exec, exec, s[30:31]
.LBB4_2928:                             ;   in Loop: Header=BB4_2468 Depth=3
	s_or_b64 exec, exec, s[28:29]
	v_mul_f32_e32 v7, v16, v2
	v_and_b32_e32 v2, 0x7f800000, v7
	v_cmp_ne_u64_e32 vcc, s[62:63], v[2:3]
                                        ; implicit-def: $vgpr21
	s_and_saveexec_b64 s[28:29], vcc
	s_xor_b64 s[30:31], exec, s[28:29]
	s_cbranch_execz .LBB4_2942
; %bb.2929:                             ;   in Loop: Header=BB4_2468 Depth=3
	v_and_b32_e32 v2, 0x7fffffff, v7
	v_cmp_gt_u64_e32 vcc, s[72:73], v[2:3]
	v_and_b32_sdwa v22, v7, s70 dst_sel:DWORD dst_unused:UNUSED_PAD src0_sel:BYTE_3 src1_sel:DWORD
                                        ; implicit-def: $vgpr21
	s_and_saveexec_b64 s[28:29], vcc
	s_xor_b64 s[34:35], exec, s[28:29]
	s_cbranch_execz .LBB4_2939
; %bb.2930:                             ;   in Loop: Header=BB4_2468 Depth=3
	v_mov_b32_e32 v21, 0
	v_cmp_ne_u32_e32 vcc, 0, v7
	s_and_saveexec_b64 s[36:37], vcc
	s_cbranch_execz .LBB4_2938
; %bb.2931:                             ;   in Loop: Header=BB4_2468 Depth=3
	v_bfe_u32 v21, v7, 23, 8
	v_cmp_gt_u32_e64 s[28:29], s80, v21
	v_sub_u32_e32 v2, 0x79, v21
	v_and_b32_e32 v1, 0x7fffff, v7
	v_cmp_eq_u32_e32 vcc, 0, v21
	v_cndmask_b32_e64 v2, 0, v2, s[28:29]
	v_mov_b32_e32 v6, 0x78
	v_or_b32_e32 v5, 0x800000, v1
	v_cndmask_b32_e32 v7, v2, v6, vcc
	v_cndmask_b32_e32 v2, v5, v1, vcc
	v_add_u32_e32 v1, 20, v7
	v_lshlrev_b64 v[16:17], v1, -1
	v_add_u32_e32 v1, 19, v7
	v_lshlrev_b64 v[50:51], v1, 1
	v_bfi_b32 v17, v17, 0, 0
	v_bfi_b32 v16, v16, 0, v2
	v_cmp_eq_u64_e64 s[28:29], v[16:17], v[50:51]
	v_lshrrev_b64 v[16:17], v7, v[2:3]
	v_mov_b32_e32 v18, v17
	v_mov_b32_e32 v17, v16
	s_and_saveexec_b64 s[38:39], s[28:29]
; %bb.2932:                             ;   in Loop: Header=BB4_2468 Depth=3
	v_bfe_u32 v1, v16, 20, 1
	v_add_co_u32_e64 v1, s[28:29], v16, v1
	v_add_co_u32_e64 v17, s[28:29], -1, v1
; %bb.2933:                             ;   in Loop: Header=BB4_2468 Depth=3
	s_or_b64 exec, exec, s[38:39]
	v_add_u32_e32 v1, 0xffffff81, v21
	v_mov_b32_e32 v2, 0xffffff82
	v_cndmask_b32_e32 v1, v1, v2, vcc
	v_lshrrev_b32_e32 v2, 23, v16
	v_add3_u32 v7, v7, v1, v2
	v_add_u32_e32 v5, 6, v7
	v_and_b32_e32 v1, 0xfffff, v17
	v_add_u32_e32 v2, v1, v16
	v_cmp_ne_u32_e32 vcc, 0, v5
                                        ; implicit-def: $vgpr16_vgpr17
                                        ; implicit-def: $vgpr1
	s_and_saveexec_b64 s[28:29], vcc
	s_xor_b64 s[28:29], exec, s[28:29]
; %bb.2934:                             ;   in Loop: Header=BB4_2468 Depth=3
	v_cmp_lt_u64_e32 vcc, s[88:89], v[2:3]
	v_add_u32_e32 v1, 7, v7
	v_cndmask_b32_e32 v1, v5, v1, vcc
	v_cndmask_b32_e64 v5, 0, 1, vcc
	v_lshrrev_b64 v[16:17], v5, v[2:3]
; %bb.2935:                             ;   in Loop: Header=BB4_2468 Depth=3
	s_andn2_saveexec_b64 s[28:29], s[28:29]
; %bb.2936:                             ;   in Loop: Header=BB4_2468 Depth=3
	v_mov_b32_e32 v17, v3
	v_bfe_u32 v1, v2, 23, 1
	v_mov_b32_e32 v16, v2
; %bb.2937:                             ;   in Loop: Header=BB4_2468 Depth=3
	s_or_b64 exec, exec, s[28:29]
	v_lshrrev_b64 v[16:17], 20, v[16:17]
	v_cmp_gt_i32_e32 vcc, 16, v1
	v_cndmask_b32_e32 v17, 0, v17, vcc
	v_cndmask_b32_e32 v16, 7, v16, vcc
	v_cmp_eq_u32_e32 vcc, 0, v1
	v_min_i32_e32 v1, 15, v1
	v_cmp_eq_u64_e64 s[28:29], 0, v[16:17]
	v_lshlrev_b32_e32 v1, 3, v1
	v_and_b32_e32 v1, 0xf8, v1
	v_and_or_b32 v1, v16, 7, v1
	s_and_b64 s[28:29], vcc, s[28:29]
	v_cndmask_b32_e64 v1, v1, 0, s[28:29]
	v_or_b32_e32 v21, v1, v22
.LBB4_2938:                             ;   in Loop: Header=BB4_2468 Depth=3
	s_or_b64 exec, exec, s[36:37]
                                        ; implicit-def: $vgpr22
.LBB4_2939:                             ;   in Loop: Header=BB4_2468 Depth=3
	s_andn2_saveexec_b64 s[28:29], s[34:35]
; %bb.2940:                             ;   in Loop: Header=BB4_2468 Depth=3
	v_or_b32_e32 v21, 0x7e, v22
; %bb.2941:                             ;   in Loop: Header=BB4_2468 Depth=3
	s_or_b64 exec, exec, s[28:29]
                                        ; implicit-def: $vgpr7
.LBB4_2942:                             ;   in Loop: Header=BB4_2468 Depth=3
	s_andn2_saveexec_b64 s[28:29], s[30:31]
; %bb.2943:                             ;   in Loop: Header=BB4_2468 Depth=3
	v_or_b32_sdwa v21, v7, s71 dst_sel:DWORD dst_unused:UNUSED_PAD src0_sel:BYTE_3 src1_sel:DWORD
; %bb.2944:                             ;   in Loop: Header=BB4_2468 Depth=3
	s_or_b64 exec, exec, s[28:29]
	v_lshrrev_b16_e32 v2, 8, v12
	v_cmp_ne_u16_e32 vcc, 0, v2
	v_mov_b32_e32 v16, 0
	v_mov_b32_e32 v17, 0
	s_and_saveexec_b64 s[28:29], vcc
	s_cbranch_execz .LBB4_2950
; %bb.2945:                             ;   in Loop: Header=BB4_2468 Depth=3
	v_cmp_ne_u16_e32 vcc, s70, v2
	v_bfrev_b32_e32 v17, 1
	s_and_saveexec_b64 s[30:31], vcc
	s_cbranch_execz .LBB4_2949
; %bb.2946:                             ;   in Loop: Header=BB4_2468 Depth=3
	v_and_b32_e32 v1, 0x7f, v2
	v_cmp_ne_u32_e32 vcc, s71, v1
	v_mov_b32_e32 v17, 0x7f800001
	s_and_saveexec_b64 s[34:35], vcc
	s_cbranch_execz .LBB4_2948
; %bb.2947:                             ;   in Loop: Header=BB4_2468 Depth=3
	v_and_b32_e32 v5, 7, v2
	v_lshrrev_b32_e32 v6, 3, v1
	v_cmp_gt_u32_e32 vcc, 8, v1
	v_ffbh_u32_e32 v1, v5
	v_min_u32_e32 v7, 32, v1
	v_subrev_u32_e32 v1, 28, v7
	v_lshlrev_b64 v[1:2], v1, v[2:3]
	v_sub_u32_e32 v2, 29, v7
	v_and_b32_e32 v1, 7, v1
	v_cndmask_b32_e32 v2, v6, v2, vcc
	v_cndmask_b32_e32 v1, v5, v1, vcc
	v_lshlrev_b32_e32 v5, 16, v12
	v_lshlrev_b32_e32 v1, 20, v1
	v_and_b32_e32 v5, 0x80000000, v5
	v_lshl_add_u32 v2, v2, 23, v0
	v_or3_b32 v17, v5, v2, v1
.LBB4_2948:                             ;   in Loop: Header=BB4_2468 Depth=3
	s_or_b64 exec, exec, s[34:35]
.LBB4_2949:                             ;   in Loop: Header=BB4_2468 Depth=3
	s_or_b64 exec, exec, s[30:31]
.LBB4_2950:                             ;   in Loop: Header=BB4_2468 Depth=3
	s_or_b64 exec, exec, s[28:29]
	v_lshrrev_b16_e32 v2, 8, v8
	v_cmp_ne_u16_e32 vcc, 0, v2
	s_and_saveexec_b64 s[28:29], vcc
	s_cbranch_execz .LBB4_2956
; %bb.2951:                             ;   in Loop: Header=BB4_2468 Depth=3
	v_cmp_ne_u16_e32 vcc, s70, v2
	v_bfrev_b32_e32 v16, 1
	s_and_saveexec_b64 s[30:31], vcc
	s_cbranch_execz .LBB4_2955
; %bb.2952:                             ;   in Loop: Header=BB4_2468 Depth=3
	v_and_b32_e32 v1, 0x7f, v2
	v_cmp_ne_u32_e32 vcc, s71, v1
	v_mov_b32_e32 v16, 0x7f800001
	s_and_saveexec_b64 s[34:35], vcc
	s_cbranch_execz .LBB4_2954
; %bb.2953:                             ;   in Loop: Header=BB4_2468 Depth=3
	v_and_b32_e32 v5, 7, v2
	v_lshrrev_b32_e32 v6, 3, v1
	v_cmp_gt_u32_e32 vcc, 8, v1
	v_ffbh_u32_e32 v1, v5
	v_min_u32_e32 v7, 32, v1
	v_subrev_u32_e32 v1, 28, v7
	v_lshlrev_b64 v[1:2], v1, v[2:3]
	v_sub_u32_e32 v2, 29, v7
	v_and_b32_e32 v1, 7, v1
	v_cndmask_b32_e32 v2, v6, v2, vcc
	v_cndmask_b32_e32 v1, v5, v1, vcc
	v_lshlrev_b32_e32 v5, 16, v8
	v_lshlrev_b32_e32 v1, 20, v1
	v_and_b32_e32 v5, 0x80000000, v5
	v_lshl_add_u32 v2, v2, 23, v0
	v_or3_b32 v16, v5, v2, v1
.LBB4_2954:                             ;   in Loop: Header=BB4_2468 Depth=3
	s_or_b64 exec, exec, s[34:35]
.LBB4_2955:                             ;   in Loop: Header=BB4_2468 Depth=3
	s_or_b64 exec, exec, s[30:31]
.LBB4_2956:                             ;   in Loop: Header=BB4_2468 Depth=3
	s_or_b64 exec, exec, s[28:29]
	v_mul_f32_e32 v7, v17, v16
	v_and_b32_e32 v2, 0x7f800000, v7
	v_cmp_ne_u64_e32 vcc, s[62:63], v[2:3]
                                        ; implicit-def: $vgpr22
	s_and_saveexec_b64 s[28:29], vcc
	s_xor_b64 s[30:31], exec, s[28:29]
	s_cbranch_execz .LBB4_2970
; %bb.2957:                             ;   in Loop: Header=BB4_2468 Depth=3
	v_and_b32_e32 v2, 0x7fffffff, v7
	v_cmp_gt_u64_e32 vcc, s[72:73], v[2:3]
	v_and_b32_sdwa v23, v7, s70 dst_sel:DWORD dst_unused:UNUSED_PAD src0_sel:BYTE_3 src1_sel:DWORD
                                        ; implicit-def: $vgpr22
	s_and_saveexec_b64 s[28:29], vcc
	s_xor_b64 s[34:35], exec, s[28:29]
	s_cbranch_execz .LBB4_2967
; %bb.2958:                             ;   in Loop: Header=BB4_2468 Depth=3
	v_mov_b32_e32 v22, 0
	v_cmp_ne_u32_e32 vcc, 0, v7
	s_and_saveexec_b64 s[36:37], vcc
	s_cbranch_execz .LBB4_2966
; %bb.2959:                             ;   in Loop: Header=BB4_2468 Depth=3
	v_bfe_u32 v22, v7, 23, 8
	v_cmp_gt_u32_e64 s[28:29], s80, v22
	v_sub_u32_e32 v2, 0x79, v22
	v_and_b32_e32 v1, 0x7fffff, v7
	v_cmp_eq_u32_e32 vcc, 0, v22
	v_cndmask_b32_e64 v2, 0, v2, s[28:29]
	v_mov_b32_e32 v6, 0x78
	v_or_b32_e32 v5, 0x800000, v1
	v_cndmask_b32_e32 v7, v2, v6, vcc
	v_cndmask_b32_e32 v2, v5, v1, vcc
	v_add_u32_e32 v1, 20, v7
	v_lshlrev_b64 v[16:17], v1, -1
	v_add_u32_e32 v1, 19, v7
	v_lshlrev_b64 v[50:51], v1, 1
	v_bfi_b32 v17, v17, 0, 0
	v_bfi_b32 v16, v16, 0, v2
	v_cmp_eq_u64_e64 s[28:29], v[16:17], v[50:51]
	v_lshrrev_b64 v[16:17], v7, v[2:3]
	v_mov_b32_e32 v18, v17
	v_mov_b32_e32 v17, v16
	s_and_saveexec_b64 s[38:39], s[28:29]
; %bb.2960:                             ;   in Loop: Header=BB4_2468 Depth=3
	v_bfe_u32 v1, v16, 20, 1
	v_add_co_u32_e64 v1, s[28:29], v16, v1
	v_add_co_u32_e64 v17, s[28:29], -1, v1
; %bb.2961:                             ;   in Loop: Header=BB4_2468 Depth=3
	s_or_b64 exec, exec, s[38:39]
	v_add_u32_e32 v1, 0xffffff81, v22
	v_mov_b32_e32 v2, 0xffffff82
	v_cndmask_b32_e32 v1, v1, v2, vcc
	v_lshrrev_b32_e32 v2, 23, v16
	v_add3_u32 v7, v7, v1, v2
	v_add_u32_e32 v5, 6, v7
	v_and_b32_e32 v1, 0xfffff, v17
	v_add_u32_e32 v2, v1, v16
	v_cmp_ne_u32_e32 vcc, 0, v5
                                        ; implicit-def: $vgpr16_vgpr17
                                        ; implicit-def: $vgpr1
	s_and_saveexec_b64 s[28:29], vcc
	s_xor_b64 s[28:29], exec, s[28:29]
; %bb.2962:                             ;   in Loop: Header=BB4_2468 Depth=3
	v_cmp_lt_u64_e32 vcc, s[88:89], v[2:3]
	v_add_u32_e32 v1, 7, v7
	v_cndmask_b32_e32 v1, v5, v1, vcc
	v_cndmask_b32_e64 v5, 0, 1, vcc
	v_lshrrev_b64 v[16:17], v5, v[2:3]
; %bb.2963:                             ;   in Loop: Header=BB4_2468 Depth=3
	s_andn2_saveexec_b64 s[28:29], s[28:29]
; %bb.2964:                             ;   in Loop: Header=BB4_2468 Depth=3
	v_mov_b32_e32 v17, v3
	v_bfe_u32 v1, v2, 23, 1
	v_mov_b32_e32 v16, v2
; %bb.2965:                             ;   in Loop: Header=BB4_2468 Depth=3
	s_or_b64 exec, exec, s[28:29]
	v_lshrrev_b64 v[16:17], 20, v[16:17]
	v_cmp_gt_i32_e32 vcc, 16, v1
	v_cndmask_b32_e32 v17, 0, v17, vcc
	v_cndmask_b32_e32 v16, 7, v16, vcc
	v_cmp_eq_u32_e32 vcc, 0, v1
	v_min_i32_e32 v1, 15, v1
	v_cmp_eq_u64_e64 s[28:29], 0, v[16:17]
	v_lshlrev_b32_e32 v1, 3, v1
	v_and_b32_e32 v1, 0xf8, v1
	v_and_or_b32 v1, v16, 7, v1
	s_and_b64 s[28:29], vcc, s[28:29]
	v_cndmask_b32_e64 v1, v1, 0, s[28:29]
	v_or_b32_e32 v22, v1, v23
.LBB4_2966:                             ;   in Loop: Header=BB4_2468 Depth=3
	s_or_b64 exec, exec, s[36:37]
                                        ; implicit-def: $vgpr23
.LBB4_2967:                             ;   in Loop: Header=BB4_2468 Depth=3
	s_andn2_saveexec_b64 s[28:29], s[34:35]
; %bb.2968:                             ;   in Loop: Header=BB4_2468 Depth=3
	v_or_b32_e32 v22, 0x7e, v23
; %bb.2969:                             ;   in Loop: Header=BB4_2468 Depth=3
	s_or_b64 exec, exec, s[28:29]
                                        ; implicit-def: $vgpr7
.LBB4_2970:                             ;   in Loop: Header=BB4_2468 Depth=3
	s_andn2_saveexec_b64 s[28:29], s[30:31]
; %bb.2971:                             ;   in Loop: Header=BB4_2468 Depth=3
	v_or_b32_sdwa v22, v7, s71 dst_sel:DWORD dst_unused:UNUSED_PAD src0_sel:BYTE_3 src1_sel:DWORD
; %bb.2972:                             ;   in Loop: Header=BB4_2468 Depth=3
	s_or_b64 exec, exec, s[28:29]
	v_lshrrev_b32_e32 v2, 16, v12
	v_cmp_ne_u16_sdwa s[44:45], v2, v3 src0_sel:BYTE_0 src1_sel:DWORD
	v_mov_b32_e32 v16, 0
	v_mov_b32_e32 v17, 0
	s_and_saveexec_b64 s[28:29], s[44:45]
	s_cbranch_execz .LBB4_2978
; %bb.2973:                             ;   in Loop: Header=BB4_2468 Depth=3
	v_cmp_ne_u16_sdwa s[44:45], v2, s70 src0_sel:BYTE_0 src1_sel:DWORD
	v_bfrev_b32_e32 v17, 1
	s_and_saveexec_b64 s[30:31], s[44:45]
	s_cbranch_execz .LBB4_2977
; %bb.2974:                             ;   in Loop: Header=BB4_2468 Depth=3
	v_bfe_u32 v1, v12, 16, 7
	v_cmp_ne_u32_e32 vcc, s71, v1
	v_mov_b32_e32 v17, 0x7f800001
	s_and_saveexec_b64 s[34:35], vcc
	s_cbranch_execz .LBB4_2976
; %bb.2975:                             ;   in Loop: Header=BB4_2468 Depth=3
	v_and_b32_e32 v5, 7, v2
	v_lshrrev_b32_e32 v6, 3, v1
	v_cmp_gt_u32_e32 vcc, 8, v1
	v_ffbh_u32_e32 v1, v5
	v_min_u32_e32 v1, 32, v1
	v_subrev_u32_e32 v7, 28, v1
	v_lshlrev_b64 v[17:18], v7, v[2:3]
	v_sub_u32_e32 v1, 29, v1
	v_and_b32_e32 v7, 7, v17
	v_cndmask_b32_e32 v1, v6, v1, vcc
	v_cndmask_b32_e32 v5, v5, v7, vcc
	v_lshlrev_b32_e32 v2, 24, v2
	v_lshlrev_b32_e32 v5, 20, v5
	v_and_b32_e32 v2, 0x80000000, v2
	v_lshl_add_u32 v1, v1, 23, v0
	v_or3_b32 v17, v2, v1, v5
.LBB4_2976:                             ;   in Loop: Header=BB4_2468 Depth=3
	s_or_b64 exec, exec, s[34:35]
.LBB4_2977:                             ;   in Loop: Header=BB4_2468 Depth=3
	s_or_b64 exec, exec, s[30:31]
.LBB4_2978:                             ;   in Loop: Header=BB4_2468 Depth=3
	s_or_b64 exec, exec, s[28:29]
	v_lshrrev_b32_e32 v2, 16, v8
	v_cmp_ne_u16_sdwa s[44:45], v2, v3 src0_sel:BYTE_0 src1_sel:DWORD
	s_and_saveexec_b64 s[28:29], s[44:45]
	s_cbranch_execz .LBB4_2984
; %bb.2979:                             ;   in Loop: Header=BB4_2468 Depth=3
	v_cmp_ne_u16_sdwa s[44:45], v2, s70 src0_sel:BYTE_0 src1_sel:DWORD
	v_bfrev_b32_e32 v16, 1
	s_and_saveexec_b64 s[30:31], s[44:45]
	s_cbranch_execz .LBB4_2983
; %bb.2980:                             ;   in Loop: Header=BB4_2468 Depth=3
	v_bfe_u32 v1, v8, 16, 7
	v_cmp_ne_u32_e32 vcc, s71, v1
	v_mov_b32_e32 v16, 0x7f800001
	s_and_saveexec_b64 s[34:35], vcc
	s_cbranch_execz .LBB4_2982
; %bb.2981:                             ;   in Loop: Header=BB4_2468 Depth=3
	v_and_b32_e32 v5, 7, v2
	v_lshrrev_b32_e32 v6, 3, v1
	v_cmp_gt_u32_e32 vcc, 8, v1
	v_ffbh_u32_e32 v1, v5
	v_min_u32_e32 v7, 32, v1
	v_subrev_u32_e32 v1, 28, v7
	v_lshlrev_b64 v[1:2], v1, v[2:3]
	v_sub_u32_e32 v2, 29, v7
	v_and_b32_e32 v1, 7, v1
	v_cndmask_b32_e32 v2, v6, v2, vcc
	v_cndmask_b32_e32 v1, v5, v1, vcc
	v_lshlrev_b32_e32 v5, 8, v8
	v_lshlrev_b32_e32 v1, 20, v1
	v_and_b32_e32 v5, 0x80000000, v5
	v_lshl_add_u32 v2, v2, 23, v0
	v_or3_b32 v16, v5, v2, v1
.LBB4_2982:                             ;   in Loop: Header=BB4_2468 Depth=3
	s_or_b64 exec, exec, s[34:35]
.LBB4_2983:                             ;   in Loop: Header=BB4_2468 Depth=3
	s_or_b64 exec, exec, s[30:31]
.LBB4_2984:                             ;   in Loop: Header=BB4_2468 Depth=3
	s_or_b64 exec, exec, s[28:29]
	v_mul_f32_e32 v7, v17, v16
	v_and_b32_e32 v2, 0x7f800000, v7
	v_cmp_ne_u64_e32 vcc, s[62:63], v[2:3]
                                        ; implicit-def: $vgpr23
	s_and_saveexec_b64 s[28:29], vcc
	s_xor_b64 s[30:31], exec, s[28:29]
	s_cbranch_execz .LBB4_2998
; %bb.2985:                             ;   in Loop: Header=BB4_2468 Depth=3
	v_and_b32_e32 v2, 0x7fffffff, v7
	v_cmp_gt_u64_e32 vcc, s[72:73], v[2:3]
	v_and_b32_sdwa v36, v7, s70 dst_sel:DWORD dst_unused:UNUSED_PAD src0_sel:BYTE_3 src1_sel:DWORD
                                        ; implicit-def: $vgpr23
	s_and_saveexec_b64 s[28:29], vcc
	s_xor_b64 s[34:35], exec, s[28:29]
	s_cbranch_execz .LBB4_2995
; %bb.2986:                             ;   in Loop: Header=BB4_2468 Depth=3
	v_mov_b32_e32 v23, 0
	v_cmp_ne_u32_e32 vcc, 0, v7
	s_and_saveexec_b64 s[36:37], vcc
	s_cbranch_execz .LBB4_2994
; %bb.2987:                             ;   in Loop: Header=BB4_2468 Depth=3
	v_bfe_u32 v23, v7, 23, 8
	v_cmp_gt_u32_e64 s[28:29], s80, v23
	v_sub_u32_e32 v2, 0x79, v23
	v_and_b32_e32 v1, 0x7fffff, v7
	v_cmp_eq_u32_e32 vcc, 0, v23
	v_cndmask_b32_e64 v2, 0, v2, s[28:29]
	v_mov_b32_e32 v6, 0x78
	v_or_b32_e32 v5, 0x800000, v1
	v_cndmask_b32_e32 v7, v2, v6, vcc
	v_cndmask_b32_e32 v2, v5, v1, vcc
	v_add_u32_e32 v1, 20, v7
	v_lshlrev_b64 v[16:17], v1, -1
	v_add_u32_e32 v1, 19, v7
	v_lshlrev_b64 v[50:51], v1, 1
	v_bfi_b32 v17, v17, 0, 0
	v_bfi_b32 v16, v16, 0, v2
	v_cmp_eq_u64_e64 s[28:29], v[16:17], v[50:51]
	v_lshrrev_b64 v[16:17], v7, v[2:3]
	v_mov_b32_e32 v18, v17
	v_mov_b32_e32 v17, v16
	s_and_saveexec_b64 s[38:39], s[28:29]
; %bb.2988:                             ;   in Loop: Header=BB4_2468 Depth=3
	v_bfe_u32 v1, v16, 20, 1
	v_add_co_u32_e64 v1, s[28:29], v16, v1
	v_add_co_u32_e64 v17, s[28:29], -1, v1
; %bb.2989:                             ;   in Loop: Header=BB4_2468 Depth=3
	s_or_b64 exec, exec, s[38:39]
	v_add_u32_e32 v1, 0xffffff81, v23
	v_mov_b32_e32 v2, 0xffffff82
	v_cndmask_b32_e32 v1, v1, v2, vcc
	v_lshrrev_b32_e32 v2, 23, v16
	v_add3_u32 v7, v7, v1, v2
	v_add_u32_e32 v5, 6, v7
	v_and_b32_e32 v1, 0xfffff, v17
	v_add_u32_e32 v2, v1, v16
	v_cmp_ne_u32_e32 vcc, 0, v5
                                        ; implicit-def: $vgpr16_vgpr17
                                        ; implicit-def: $vgpr1
	s_and_saveexec_b64 s[28:29], vcc
	s_xor_b64 s[28:29], exec, s[28:29]
; %bb.2990:                             ;   in Loop: Header=BB4_2468 Depth=3
	v_cmp_lt_u64_e32 vcc, s[88:89], v[2:3]
	v_add_u32_e32 v1, 7, v7
	v_cndmask_b32_e32 v1, v5, v1, vcc
	v_cndmask_b32_e64 v5, 0, 1, vcc
	v_lshrrev_b64 v[16:17], v5, v[2:3]
; %bb.2991:                             ;   in Loop: Header=BB4_2468 Depth=3
	s_andn2_saveexec_b64 s[28:29], s[28:29]
; %bb.2992:                             ;   in Loop: Header=BB4_2468 Depth=3
	v_mov_b32_e32 v17, v3
	v_bfe_u32 v1, v2, 23, 1
	v_mov_b32_e32 v16, v2
; %bb.2993:                             ;   in Loop: Header=BB4_2468 Depth=3
	s_or_b64 exec, exec, s[28:29]
	v_lshrrev_b64 v[16:17], 20, v[16:17]
	v_cmp_gt_i32_e32 vcc, 16, v1
	v_cndmask_b32_e32 v17, 0, v17, vcc
	v_cndmask_b32_e32 v16, 7, v16, vcc
	v_cmp_eq_u32_e32 vcc, 0, v1
	v_min_i32_e32 v1, 15, v1
	v_cmp_eq_u64_e64 s[28:29], 0, v[16:17]
	v_lshlrev_b32_e32 v1, 3, v1
	v_and_b32_e32 v1, 0xf8, v1
	v_and_or_b32 v1, v16, 7, v1
	s_and_b64 s[28:29], vcc, s[28:29]
	v_cndmask_b32_e64 v1, v1, 0, s[28:29]
	v_or_b32_e32 v23, v1, v36
.LBB4_2994:                             ;   in Loop: Header=BB4_2468 Depth=3
	s_or_b64 exec, exec, s[36:37]
                                        ; implicit-def: $vgpr36
.LBB4_2995:                             ;   in Loop: Header=BB4_2468 Depth=3
	s_andn2_saveexec_b64 s[28:29], s[34:35]
; %bb.2996:                             ;   in Loop: Header=BB4_2468 Depth=3
	v_or_b32_e32 v23, 0x7e, v36
; %bb.2997:                             ;   in Loop: Header=BB4_2468 Depth=3
	s_or_b64 exec, exec, s[28:29]
                                        ; implicit-def: $vgpr7
.LBB4_2998:                             ;   in Loop: Header=BB4_2468 Depth=3
	s_andn2_saveexec_b64 s[28:29], s[30:31]
; %bb.2999:                             ;   in Loop: Header=BB4_2468 Depth=3
	v_or_b32_sdwa v23, v7, s71 dst_sel:DWORD dst_unused:UNUSED_PAD src0_sel:BYTE_3 src1_sel:DWORD
; %bb.3000:                             ;   in Loop: Header=BB4_2468 Depth=3
	s_or_b64 exec, exec, s[28:29]
	v_cmp_lt_u32_e32 vcc, s57, v12
	v_mov_b32_e32 v16, 0
	v_mov_b32_e32 v17, 0
	s_and_saveexec_b64 s[28:29], vcc
	s_cbranch_execz .LBB4_3006
; %bb.3001:                             ;   in Loop: Header=BB4_2468 Depth=3
	v_lshrrev_b32_e32 v2, 24, v12
	v_cmp_ne_u32_e32 vcc, s70, v2
	v_bfrev_b32_e32 v17, 1
	s_and_saveexec_b64 s[30:31], vcc
	s_cbranch_execz .LBB4_3005
; %bb.3002:                             ;   in Loop: Header=BB4_2468 Depth=3
	v_bfe_u32 v1, v12, 24, 7
	v_cmp_ne_u32_e32 vcc, s71, v1
	v_mov_b32_e32 v17, 0x7f800001
	s_and_saveexec_b64 s[34:35], vcc
	s_cbranch_execz .LBB4_3004
; %bb.3003:                             ;   in Loop: Header=BB4_2468 Depth=3
	v_and_b32_e32 v5, 7, v2
	v_lshrrev_b32_e32 v6, 3, v1
	v_cmp_gt_u32_e32 vcc, 8, v1
	v_ffbh_u32_e32 v1, v5
	v_min_u32_e32 v1, 32, v1
	v_subrev_u32_e32 v7, 28, v1
	v_lshlrev_b64 v[17:18], v7, v[2:3]
	v_sub_u32_e32 v1, 29, v1
	v_and_b32_e32 v7, 7, v17
	v_cndmask_b32_e32 v1, v6, v1, vcc
	v_cndmask_b32_e32 v5, v5, v7, vcc
	v_lshlrev_b32_e32 v2, 24, v2
	v_lshlrev_b32_e32 v5, 20, v5
	v_and_b32_e32 v2, 0x80000000, v2
	v_lshl_add_u32 v1, v1, 23, v0
	v_or3_b32 v17, v2, v1, v5
.LBB4_3004:                             ;   in Loop: Header=BB4_2468 Depth=3
	s_or_b64 exec, exec, s[34:35]
.LBB4_3005:                             ;   in Loop: Header=BB4_2468 Depth=3
	s_or_b64 exec, exec, s[30:31]
.LBB4_3006:                             ;   in Loop: Header=BB4_2468 Depth=3
	s_or_b64 exec, exec, s[28:29]
	v_cmp_lt_u32_e32 vcc, s57, v8
	s_and_saveexec_b64 s[28:29], vcc
	s_cbranch_execz .LBB4_3012
; %bb.3007:                             ;   in Loop: Header=BB4_2468 Depth=3
	v_lshrrev_b32_e32 v2, 24, v8
	v_cmp_ne_u32_e32 vcc, s70, v2
	v_bfrev_b32_e32 v16, 1
	s_and_saveexec_b64 s[30:31], vcc
	s_cbranch_execz .LBB4_3011
; %bb.3008:                             ;   in Loop: Header=BB4_2468 Depth=3
	v_bfe_u32 v1, v8, 24, 7
	v_cmp_ne_u32_e32 vcc, s71, v1
	v_mov_b32_e32 v16, 0x7f800001
	s_and_saveexec_b64 s[34:35], vcc
	s_cbranch_execz .LBB4_3010
; %bb.3009:                             ;   in Loop: Header=BB4_2468 Depth=3
	v_and_b32_e32 v5, 7, v2
	v_lshrrev_b32_e32 v6, 3, v1
	v_cmp_gt_u32_e32 vcc, 8, v1
	v_ffbh_u32_e32 v1, v5
	v_min_u32_e32 v1, 32, v1
	v_subrev_u32_e32 v7, 28, v1
	v_lshlrev_b64 v[50:51], v7, v[2:3]
	v_sub_u32_e32 v1, 29, v1
	v_and_b32_e32 v7, 7, v50
	v_cndmask_b32_e32 v1, v6, v1, vcc
	v_cndmask_b32_e32 v5, v5, v7, vcc
	v_lshlrev_b32_e32 v2, 24, v2
	v_lshlrev_b32_e32 v5, 20, v5
	v_and_b32_e32 v2, 0x80000000, v2
	v_lshl_add_u32 v1, v1, 23, v0
	v_or3_b32 v16, v2, v1, v5
.LBB4_3010:                             ;   in Loop: Header=BB4_2468 Depth=3
	s_or_b64 exec, exec, s[34:35]
.LBB4_3011:                             ;   in Loop: Header=BB4_2468 Depth=3
	s_or_b64 exec, exec, s[30:31]
.LBB4_3012:                             ;   in Loop: Header=BB4_2468 Depth=3
	s_or_b64 exec, exec, s[28:29]
	v_mul_f32_e32 v7, v17, v16
	v_and_b32_e32 v2, 0x7f800000, v7
	v_cmp_ne_u64_e32 vcc, s[62:63], v[2:3]
                                        ; implicit-def: $vgpr54
	s_and_saveexec_b64 s[28:29], vcc
	s_xor_b64 s[30:31], exec, s[28:29]
	s_cbranch_execz .LBB4_3026
; %bb.3013:                             ;   in Loop: Header=BB4_2468 Depth=3
	v_and_b32_e32 v2, 0x7fffffff, v7
	v_cmp_gt_u64_e32 vcc, s[72:73], v[2:3]
	v_and_b32_sdwa v36, v7, s70 dst_sel:DWORD dst_unused:UNUSED_PAD src0_sel:BYTE_3 src1_sel:DWORD
                                        ; implicit-def: $vgpr54
	s_and_saveexec_b64 s[28:29], vcc
	s_xor_b64 s[34:35], exec, s[28:29]
	s_cbranch_execz .LBB4_3023
; %bb.3014:                             ;   in Loop: Header=BB4_2468 Depth=3
	v_mov_b32_e32 v54, 0
	v_cmp_ne_u32_e32 vcc, 0, v7
	s_and_saveexec_b64 s[36:37], vcc
	s_cbranch_execz .LBB4_3022
; %bb.3015:                             ;   in Loop: Header=BB4_2468 Depth=3
	v_bfe_u32 v50, v7, 23, 8
	v_cmp_gt_u32_e64 s[28:29], s80, v50
	v_sub_u32_e32 v2, 0x79, v50
	v_and_b32_e32 v1, 0x7fffff, v7
	v_cmp_eq_u32_e32 vcc, 0, v50
	v_cndmask_b32_e64 v2, 0, v2, s[28:29]
	v_mov_b32_e32 v6, 0x78
	v_or_b32_e32 v5, 0x800000, v1
	v_cndmask_b32_e32 v7, v2, v6, vcc
	v_cndmask_b32_e32 v2, v5, v1, vcc
	v_add_u32_e32 v1, 20, v7
	v_lshlrev_b64 v[16:17], v1, -1
	v_add_u32_e32 v1, 19, v7
	v_lshlrev_b64 v[43:44], v1, 1
	v_bfi_b32 v17, v17, 0, 0
	v_bfi_b32 v16, v16, 0, v2
	v_cmp_eq_u64_e64 s[28:29], v[16:17], v[43:44]
	v_lshrrev_b64 v[16:17], v7, v[2:3]
	v_mov_b32_e32 v18, v17
	v_mov_b32_e32 v17, v16
	s_and_saveexec_b64 s[38:39], s[28:29]
; %bb.3016:                             ;   in Loop: Header=BB4_2468 Depth=3
	v_bfe_u32 v1, v16, 20, 1
	v_add_co_u32_e64 v1, s[28:29], v16, v1
	v_add_co_u32_e64 v17, s[28:29], -1, v1
; %bb.3017:                             ;   in Loop: Header=BB4_2468 Depth=3
	s_or_b64 exec, exec, s[38:39]
	v_add_u32_e32 v1, 0xffffff81, v50
	v_mov_b32_e32 v2, 0xffffff82
	v_cndmask_b32_e32 v1, v1, v2, vcc
	v_lshrrev_b32_e32 v2, 23, v16
	v_add3_u32 v7, v7, v1, v2
	v_add_u32_e32 v5, 6, v7
	v_and_b32_e32 v1, 0xfffff, v17
	v_add_u32_e32 v2, v1, v16
	v_cmp_ne_u32_e32 vcc, 0, v5
                                        ; implicit-def: $vgpr16_vgpr17
                                        ; implicit-def: $vgpr1
	s_and_saveexec_b64 s[28:29], vcc
	s_xor_b64 s[28:29], exec, s[28:29]
; %bb.3018:                             ;   in Loop: Header=BB4_2468 Depth=3
	v_cmp_lt_u64_e32 vcc, s[88:89], v[2:3]
	v_add_u32_e32 v1, 7, v7
	v_cndmask_b32_e32 v1, v5, v1, vcc
	v_cndmask_b32_e64 v5, 0, 1, vcc
	v_lshrrev_b64 v[16:17], v5, v[2:3]
; %bb.3019:                             ;   in Loop: Header=BB4_2468 Depth=3
	s_andn2_saveexec_b64 s[28:29], s[28:29]
; %bb.3020:                             ;   in Loop: Header=BB4_2468 Depth=3
	v_mov_b32_e32 v17, v3
	v_bfe_u32 v1, v2, 23, 1
	v_mov_b32_e32 v16, v2
; %bb.3021:                             ;   in Loop: Header=BB4_2468 Depth=3
	s_or_b64 exec, exec, s[28:29]
	v_lshrrev_b64 v[16:17], 20, v[16:17]
	v_cmp_gt_i32_e32 vcc, 16, v1
	v_cndmask_b32_e32 v17, 0, v17, vcc
	v_cndmask_b32_e32 v16, 7, v16, vcc
	v_cmp_eq_u32_e32 vcc, 0, v1
	v_min_i32_e32 v1, 15, v1
	v_cmp_eq_u64_e64 s[28:29], 0, v[16:17]
	v_lshlrev_b32_e32 v1, 3, v1
	v_and_b32_e32 v1, 0xf8, v1
	v_and_or_b32 v1, v16, 7, v1
	s_and_b64 s[28:29], vcc, s[28:29]
	v_cndmask_b32_e64 v1, v1, 0, s[28:29]
	v_or_b32_e32 v54, v1, v36
.LBB4_3022:                             ;   in Loop: Header=BB4_2468 Depth=3
	s_or_b64 exec, exec, s[36:37]
                                        ; implicit-def: $vgpr36
.LBB4_3023:                             ;   in Loop: Header=BB4_2468 Depth=3
	s_andn2_saveexec_b64 s[28:29], s[34:35]
; %bb.3024:                             ;   in Loop: Header=BB4_2468 Depth=3
	v_or_b32_e32 v54, 0x7e, v36
; %bb.3025:                             ;   in Loop: Header=BB4_2468 Depth=3
	s_or_b64 exec, exec, s[28:29]
                                        ; implicit-def: $vgpr7
.LBB4_3026:                             ;   in Loop: Header=BB4_2468 Depth=3
	s_andn2_saveexec_b64 s[28:29], s[30:31]
; %bb.3027:                             ;   in Loop: Header=BB4_2468 Depth=3
	v_or_b32_sdwa v54, v7, s71 dst_sel:DWORD dst_unused:UNUSED_PAD src0_sel:BYTE_3 src1_sel:DWORD
; %bb.3028:                             ;   in Loop: Header=BB4_2468 Depth=3
	s_or_b64 exec, exec, s[28:29]
	v_mov_b32_e32 v2, v13
	v_cmp_ne_u16_sdwa s[44:45], v13, v3 src0_sel:BYTE_0 src1_sel:DWORD
	v_mov_b32_e32 v17, 0
	v_mov_b32_e32 v16, 0
	s_and_saveexec_b64 s[28:29], s[44:45]
	s_cbranch_execz .LBB4_3034
; %bb.3029:                             ;   in Loop: Header=BB4_2468 Depth=3
	v_cmp_ne_u16_sdwa s[44:45], v13, s70 src0_sel:BYTE_0 src1_sel:DWORD
	v_bfrev_b32_e32 v16, 1
	s_and_saveexec_b64 s[30:31], s[44:45]
	s_cbranch_execz .LBB4_3033
; %bb.3030:                             ;   in Loop: Header=BB4_2468 Depth=3
	v_and_b32_e32 v1, 0x7f, v13
	v_cmp_ne_u32_e32 vcc, s71, v1
	v_mov_b32_e32 v16, 0x7f800001
	s_and_saveexec_b64 s[34:35], vcc
	s_cbranch_execz .LBB4_3032
; %bb.3031:                             ;   in Loop: Header=BB4_2468 Depth=3
	v_and_b32_e32 v5, 7, v13
	v_lshrrev_b32_e32 v6, 3, v1
	v_cmp_gt_u32_e32 vcc, 8, v1
	v_ffbh_u32_e32 v1, v5
	v_min_u32_e32 v1, 32, v1
	v_subrev_u32_e32 v5, 28, v1
	v_cndmask_b32_e32 v5, 0, v5, vcc
	v_lshlrev_b64 v[50:51], v5, v[2:3]
	v_sub_u32_e32 v1, 29, v1
	v_cndmask_b32_e32 v1, v6, v1, vcc
	v_lshlrev_b32_e32 v5, 20, v50
	v_lshlrev_b32_e32 v6, 24, v2
	v_and_b32_e32 v5, 0x700000, v5
	v_and_b32_e32 v6, 0x80000000, v6
	v_lshl_add_u32 v1, v1, 23, v0
	v_or3_b32 v16, v6, v1, v5
.LBB4_3032:                             ;   in Loop: Header=BB4_2468 Depth=3
	s_or_b64 exec, exec, s[34:35]
.LBB4_3033:                             ;   in Loop: Header=BB4_2468 Depth=3
	s_or_b64 exec, exec, s[30:31]
.LBB4_3034:                             ;   in Loop: Header=BB4_2468 Depth=3
	s_or_b64 exec, exec, s[28:29]
	v_cmp_ne_u16_sdwa s[44:45], v9, v3 src0_sel:BYTE_0 src1_sel:DWORD
	s_and_saveexec_b64 s[28:29], s[44:45]
	s_cbranch_execz .LBB4_3040
; %bb.3035:                             ;   in Loop: Header=BB4_2468 Depth=3
	v_cmp_ne_u16_sdwa s[44:45], v9, s70 src0_sel:BYTE_0 src1_sel:DWORD
	v_bfrev_b32_e32 v17, 1
	s_and_saveexec_b64 s[30:31], s[44:45]
	s_cbranch_execz .LBB4_3039
; %bb.3036:                             ;   in Loop: Header=BB4_2468 Depth=3
	v_and_b32_e32 v1, 0x7f, v9
	v_cmp_ne_u32_e32 vcc, s71, v1
	v_mov_b32_e32 v17, 0x7f800001
	s_and_saveexec_b64 s[34:35], vcc
	s_cbranch_execz .LBB4_3038
; %bb.3037:                             ;   in Loop: Header=BB4_2468 Depth=3
	v_and_b32_e32 v5, 7, v9
	v_lshrrev_b32_e32 v6, 3, v1
	v_cmp_gt_u32_e32 vcc, 8, v1
	v_ffbh_u32_e32 v1, v5
	v_min_u32_e32 v1, 32, v1
	v_subrev_u32_e32 v5, 28, v1
	v_mov_b32_e32 v17, v9
	v_mov_b32_e32 v18, v3
	v_cndmask_b32_e32 v5, 0, v5, vcc
	v_lshlrev_b64 v[50:51], v5, v[17:18]
	v_sub_u32_e32 v1, 29, v1
	v_cndmask_b32_e32 v1, v6, v1, vcc
	v_lshlrev_b32_e32 v5, 20, v50
	v_lshlrev_b32_e32 v6, 24, v17
	v_and_b32_e32 v5, 0x700000, v5
	v_and_b32_e32 v6, 0x80000000, v6
	v_lshl_add_u32 v1, v1, 23, v0
	v_or3_b32 v17, v6, v1, v5
.LBB4_3038:                             ;   in Loop: Header=BB4_2468 Depth=3
	s_or_b64 exec, exec, s[34:35]
.LBB4_3039:                             ;   in Loop: Header=BB4_2468 Depth=3
	s_or_b64 exec, exec, s[30:31]
.LBB4_3040:                             ;   in Loop: Header=BB4_2468 Depth=3
	s_or_b64 exec, exec, s[28:29]
	v_mul_f32_e32 v7, v16, v17
	v_and_b32_e32 v16, 0x7f800000, v7
	v_mov_b32_e32 v17, v3
	v_cmp_ne_u64_e32 vcc, s[62:63], v[16:17]
                                        ; implicit-def: $vgpr36
	s_and_saveexec_b64 s[28:29], vcc
	s_xor_b64 s[30:31], exec, s[28:29]
	s_cbranch_execz .LBB4_3054
; %bb.3041:                             ;   in Loop: Header=BB4_2468 Depth=3
	v_and_b32_e32 v16, 0x7fffffff, v7
	v_mov_b32_e32 v17, v3
	v_cmp_gt_u64_e32 vcc, s[72:73], v[16:17]
	v_and_b32_sdwa v50, v7, s70 dst_sel:DWORD dst_unused:UNUSED_PAD src0_sel:BYTE_3 src1_sel:DWORD
                                        ; implicit-def: $vgpr36
	s_and_saveexec_b64 s[28:29], vcc
	s_xor_b64 s[34:35], exec, s[28:29]
	s_cbranch_execz .LBB4_3051
; %bb.3042:                             ;   in Loop: Header=BB4_2468 Depth=3
	v_mov_b32_e32 v36, 0
	v_cmp_ne_u32_e32 vcc, 0, v7
	s_and_saveexec_b64 s[36:37], vcc
	s_cbranch_execz .LBB4_3050
; %bb.3043:                             ;   in Loop: Header=BB4_2468 Depth=3
	v_bfe_u32 v36, v7, 23, 8
	v_cmp_gt_u32_e64 s[28:29], s80, v36
	v_sub_u32_e32 v5, 0x79, v36
	v_and_b32_e32 v1, 0x7fffff, v7
	v_cmp_eq_u32_e32 vcc, 0, v36
	v_cndmask_b32_e64 v5, 0, v5, s[28:29]
	v_mov_b32_e32 v7, 0x78
	v_or_b32_e32 v6, 0x800000, v1
	v_cndmask_b32_e32 v7, v5, v7, vcc
	v_cndmask_b32_e32 v16, v6, v1, vcc
	v_add_u32_e32 v1, 20, v7
	v_lshlrev_b64 v[43:44], v1, -1
	v_mov_b32_e32 v17, v3
	v_add_u32_e32 v1, 19, v7
	v_bfi_b32 v43, v43, 0, v16
	v_lshlrev_b64 v[58:59], v1, 1
	v_lshrrev_b64 v[16:17], v7, v[16:17]
	v_bfi_b32 v44, v44, 0, 0
	v_cmp_eq_u64_e64 s[28:29], v[43:44], v[58:59]
	v_mov_b32_e32 v18, v17
	v_mov_b32_e32 v17, v16
	s_and_saveexec_b64 s[38:39], s[28:29]
; %bb.3044:                             ;   in Loop: Header=BB4_2468 Depth=3
	v_bfe_u32 v1, v16, 20, 1
	v_add_co_u32_e64 v1, s[28:29], v16, v1
	v_add_co_u32_e64 v17, s[28:29], -1, v1
; %bb.3045:                             ;   in Loop: Header=BB4_2468 Depth=3
	s_or_b64 exec, exec, s[38:39]
	v_add_u32_e32 v1, 0xffffff81, v36
	v_mov_b32_e32 v5, 0xffffff82
	v_cndmask_b32_e32 v1, v1, v5, vcc
	v_lshrrev_b32_e32 v5, 23, v16
	v_add3_u32 v7, v7, v1, v5
	v_add_u32_e32 v5, 6, v7
	v_and_b32_e32 v1, 0xfffff, v17
	v_add_u32_e32 v16, v1, v16
	v_mov_b32_e32 v17, v3
	v_cmp_ne_u32_e32 vcc, 0, v5
                                        ; implicit-def: $vgpr1
	s_and_saveexec_b64 s[28:29], vcc
	s_xor_b64 s[28:29], exec, s[28:29]
; %bb.3046:                             ;   in Loop: Header=BB4_2468 Depth=3
	v_cmp_lt_u64_e32 vcc, s[88:89], v[16:17]
	v_add_u32_e32 v1, 7, v7
	v_cndmask_b32_e32 v1, v5, v1, vcc
	v_cndmask_b32_e64 v5, 0, 1, vcc
	v_lshrrev_b64 v[16:17], v5, v[16:17]
; %bb.3047:                             ;   in Loop: Header=BB4_2468 Depth=3
	s_andn2_saveexec_b64 s[28:29], s[28:29]
; %bb.3048:                             ;   in Loop: Header=BB4_2468 Depth=3
	v_bfe_u32 v1, v16, 23, 1
; %bb.3049:                             ;   in Loop: Header=BB4_2468 Depth=3
	s_or_b64 exec, exec, s[28:29]
	v_lshrrev_b64 v[16:17], 20, v[16:17]
	v_cmp_gt_i32_e32 vcc, 16, v1
	v_cndmask_b32_e32 v17, 0, v17, vcc
	v_cndmask_b32_e32 v16, 7, v16, vcc
	v_cmp_eq_u32_e32 vcc, 0, v1
	v_min_i32_e32 v1, 15, v1
	v_cmp_eq_u64_e64 s[28:29], 0, v[16:17]
	v_lshlrev_b32_e32 v1, 3, v1
	v_and_b32_e32 v1, 0xf8, v1
	v_and_or_b32 v1, v16, 7, v1
	s_and_b64 s[28:29], vcc, s[28:29]
	v_cndmask_b32_e64 v1, v1, 0, s[28:29]
	v_or_b32_e32 v36, v1, v50
.LBB4_3050:                             ;   in Loop: Header=BB4_2468 Depth=3
	s_or_b64 exec, exec, s[36:37]
                                        ; implicit-def: $vgpr50
.LBB4_3051:                             ;   in Loop: Header=BB4_2468 Depth=3
	s_andn2_saveexec_b64 s[28:29], s[34:35]
; %bb.3052:                             ;   in Loop: Header=BB4_2468 Depth=3
	v_or_b32_e32 v36, 0x7e, v50
; %bb.3053:                             ;   in Loop: Header=BB4_2468 Depth=3
	s_or_b64 exec, exec, s[28:29]
                                        ; implicit-def: $vgpr7
.LBB4_3054:                             ;   in Loop: Header=BB4_2468 Depth=3
	s_andn2_saveexec_b64 s[28:29], s[30:31]
; %bb.3055:                             ;   in Loop: Header=BB4_2468 Depth=3
	v_or_b32_sdwa v36, v7, s71 dst_sel:DWORD dst_unused:UNUSED_PAD src0_sel:BYTE_3 src1_sel:DWORD
; %bb.3056:                             ;   in Loop: Header=BB4_2468 Depth=3
	s_or_b64 exec, exec, s[28:29]
	v_lshrrev_b16_e32 v16, 8, v2
	v_cmp_ne_u16_e32 vcc, 0, v16
	v_mov_b32_e32 v17, 0
	v_mov_b32_e32 v18, 0
	s_and_saveexec_b64 s[28:29], vcc
	s_cbranch_execz .LBB4_3062
; %bb.3057:                             ;   in Loop: Header=BB4_2468 Depth=3
	v_cmp_ne_u16_e32 vcc, s70, v16
	v_bfrev_b32_e32 v18, 1
	s_and_saveexec_b64 s[30:31], vcc
	s_cbranch_execz .LBB4_3061
; %bb.3058:                             ;   in Loop: Header=BB4_2468 Depth=3
	v_and_b32_e32 v1, 0x7f, v16
	v_cmp_ne_u32_e32 vcc, s71, v1
	v_mov_b32_e32 v18, 0x7f800001
	s_and_saveexec_b64 s[34:35], vcc
	s_cbranch_execz .LBB4_3060
; %bb.3059:                             ;   in Loop: Header=BB4_2468 Depth=3
	v_and_b32_e32 v5, 7, v16
	v_lshrrev_b32_e32 v6, 3, v1
	v_cmp_gt_u32_e32 vcc, 8, v1
	v_ffbh_u32_e32 v1, v5
	v_min_u32_e32 v1, 32, v1
	v_subrev_u32_e32 v7, 28, v1
	v_lshlrev_b64 v[50:51], v7, v[16:17]
	v_sub_u32_e32 v1, 29, v1
	v_and_b32_e32 v7, 7, v50
	v_cndmask_b32_e32 v1, v6, v1, vcc
	v_cndmask_b32_e32 v5, v5, v7, vcc
	v_lshlrev_b32_e32 v2, 16, v2
	v_lshlrev_b32_e32 v5, 20, v5
	v_and_b32_e32 v2, 0x80000000, v2
	v_lshl_add_u32 v1, v1, 23, v0
	v_or3_b32 v18, v2, v1, v5
.LBB4_3060:                             ;   in Loop: Header=BB4_2468 Depth=3
	s_or_b64 exec, exec, s[34:35]
.LBB4_3061:                             ;   in Loop: Header=BB4_2468 Depth=3
	s_or_b64 exec, exec, s[30:31]
.LBB4_3062:                             ;   in Loop: Header=BB4_2468 Depth=3
	s_or_b64 exec, exec, s[28:29]
	v_lshrrev_b16_e32 v2, 8, v9
	v_cmp_ne_u16_e32 vcc, 0, v2
	s_and_saveexec_b64 s[28:29], vcc
	s_cbranch_execz .LBB4_3068
; %bb.3063:                             ;   in Loop: Header=BB4_2468 Depth=3
	v_cmp_ne_u16_e32 vcc, s70, v2
	v_bfrev_b32_e32 v17, 1
	s_and_saveexec_b64 s[30:31], vcc
	s_cbranch_execz .LBB4_3067
; %bb.3064:                             ;   in Loop: Header=BB4_2468 Depth=3
	v_and_b32_e32 v1, 0x7f, v2
	v_cmp_ne_u32_e32 vcc, s71, v1
	v_mov_b32_e32 v17, 0x7f800001
	s_and_saveexec_b64 s[34:35], vcc
	s_cbranch_execz .LBB4_3066
; %bb.3065:                             ;   in Loop: Header=BB4_2468 Depth=3
	v_and_b32_e32 v5, 7, v2
	v_lshrrev_b32_e32 v6, 3, v1
	v_cmp_gt_u32_e32 vcc, 8, v1
	v_ffbh_u32_e32 v1, v5
	v_min_u32_e32 v7, 32, v1
	v_subrev_u32_e32 v1, 28, v7
	v_lshlrev_b64 v[1:2], v1, v[2:3]
	v_sub_u32_e32 v2, 29, v7
	v_and_b32_e32 v1, 7, v1
	v_cndmask_b32_e32 v2, v6, v2, vcc
	v_cndmask_b32_e32 v1, v5, v1, vcc
	v_lshlrev_b32_e32 v5, 16, v9
	v_lshlrev_b32_e32 v1, 20, v1
	v_and_b32_e32 v5, 0x80000000, v5
	v_lshl_add_u32 v2, v2, 23, v0
	v_or3_b32 v17, v5, v2, v1
.LBB4_3066:                             ;   in Loop: Header=BB4_2468 Depth=3
	s_or_b64 exec, exec, s[34:35]
.LBB4_3067:                             ;   in Loop: Header=BB4_2468 Depth=3
	s_or_b64 exec, exec, s[30:31]
.LBB4_3068:                             ;   in Loop: Header=BB4_2468 Depth=3
	s_or_b64 exec, exec, s[28:29]
	v_mul_f32_e32 v7, v18, v17
	v_and_b32_e32 v2, 0x7f800000, v7
	v_cmp_ne_u64_e32 vcc, s[62:63], v[2:3]
                                        ; implicit-def: $vgpr58
	s_and_saveexec_b64 s[28:29], vcc
	s_xor_b64 s[30:31], exec, s[28:29]
	s_cbranch_execz .LBB4_3082
; %bb.3069:                             ;   in Loop: Header=BB4_2468 Depth=3
	v_and_b32_e32 v2, 0x7fffffff, v7
	v_cmp_gt_u64_e32 vcc, s[72:73], v[2:3]
	v_and_b32_sdwa v50, v7, s70 dst_sel:DWORD dst_unused:UNUSED_PAD src0_sel:BYTE_3 src1_sel:DWORD
                                        ; implicit-def: $vgpr58
	s_and_saveexec_b64 s[28:29], vcc
	s_xor_b64 s[34:35], exec, s[28:29]
	s_cbranch_execz .LBB4_3079
; %bb.3070:                             ;   in Loop: Header=BB4_2468 Depth=3
	v_mov_b32_e32 v58, 0
	v_cmp_ne_u32_e32 vcc, 0, v7
	s_and_saveexec_b64 s[36:37], vcc
	s_cbranch_execz .LBB4_3078
; %bb.3071:                             ;   in Loop: Header=BB4_2468 Depth=3
	v_bfe_u32 v51, v7, 23, 8
	v_cmp_gt_u32_e64 s[28:29], s80, v51
	v_sub_u32_e32 v2, 0x79, v51
	v_and_b32_e32 v1, 0x7fffff, v7
	v_cmp_eq_u32_e32 vcc, 0, v51
	v_cndmask_b32_e64 v2, 0, v2, s[28:29]
	v_mov_b32_e32 v6, 0x78
	v_or_b32_e32 v5, 0x800000, v1
	v_cndmask_b32_e32 v7, v2, v6, vcc
	v_cndmask_b32_e32 v2, v5, v1, vcc
	v_add_u32_e32 v1, 20, v7
	v_lshlrev_b64 v[16:17], v1, -1
	v_add_u32_e32 v1, 19, v7
	v_lshlrev_b64 v[43:44], v1, 1
	v_bfi_b32 v17, v17, 0, 0
	v_bfi_b32 v16, v16, 0, v2
	v_cmp_eq_u64_e64 s[28:29], v[16:17], v[43:44]
	v_lshrrev_b64 v[16:17], v7, v[2:3]
	v_mov_b32_e32 v18, v17
	v_mov_b32_e32 v17, v16
	s_and_saveexec_b64 s[38:39], s[28:29]
; %bb.3072:                             ;   in Loop: Header=BB4_2468 Depth=3
	v_bfe_u32 v1, v16, 20, 1
	v_add_co_u32_e64 v1, s[28:29], v16, v1
	v_add_co_u32_e64 v17, s[28:29], -1, v1
; %bb.3073:                             ;   in Loop: Header=BB4_2468 Depth=3
	s_or_b64 exec, exec, s[38:39]
	v_add_u32_e32 v1, 0xffffff81, v51
	v_mov_b32_e32 v2, 0xffffff82
	v_cndmask_b32_e32 v1, v1, v2, vcc
	v_lshrrev_b32_e32 v2, 23, v16
	v_add3_u32 v7, v7, v1, v2
	v_add_u32_e32 v5, 6, v7
	v_and_b32_e32 v1, 0xfffff, v17
	v_add_u32_e32 v2, v1, v16
	v_cmp_ne_u32_e32 vcc, 0, v5
                                        ; implicit-def: $vgpr16_vgpr17
                                        ; implicit-def: $vgpr1
	s_and_saveexec_b64 s[28:29], vcc
	s_xor_b64 s[28:29], exec, s[28:29]
; %bb.3074:                             ;   in Loop: Header=BB4_2468 Depth=3
	v_cmp_lt_u64_e32 vcc, s[88:89], v[2:3]
	v_add_u32_e32 v1, 7, v7
	v_cndmask_b32_e32 v1, v5, v1, vcc
	v_cndmask_b32_e64 v5, 0, 1, vcc
	v_lshrrev_b64 v[16:17], v5, v[2:3]
; %bb.3075:                             ;   in Loop: Header=BB4_2468 Depth=3
	s_andn2_saveexec_b64 s[28:29], s[28:29]
; %bb.3076:                             ;   in Loop: Header=BB4_2468 Depth=3
	v_mov_b32_e32 v17, v3
	v_bfe_u32 v1, v2, 23, 1
	v_mov_b32_e32 v16, v2
; %bb.3077:                             ;   in Loop: Header=BB4_2468 Depth=3
	s_or_b64 exec, exec, s[28:29]
	v_lshrrev_b64 v[16:17], 20, v[16:17]
	v_cmp_gt_i32_e32 vcc, 16, v1
	v_cndmask_b32_e32 v17, 0, v17, vcc
	v_cndmask_b32_e32 v16, 7, v16, vcc
	v_cmp_eq_u32_e32 vcc, 0, v1
	v_min_i32_e32 v1, 15, v1
	v_cmp_eq_u64_e64 s[28:29], 0, v[16:17]
	v_lshlrev_b32_e32 v1, 3, v1
	v_and_b32_e32 v1, 0xf8, v1
	v_and_or_b32 v1, v16, 7, v1
	s_and_b64 s[28:29], vcc, s[28:29]
	v_cndmask_b32_e64 v1, v1, 0, s[28:29]
	v_or_b32_e32 v58, v1, v50
.LBB4_3078:                             ;   in Loop: Header=BB4_2468 Depth=3
	s_or_b64 exec, exec, s[36:37]
                                        ; implicit-def: $vgpr50
.LBB4_3079:                             ;   in Loop: Header=BB4_2468 Depth=3
	s_andn2_saveexec_b64 s[28:29], s[34:35]
; %bb.3080:                             ;   in Loop: Header=BB4_2468 Depth=3
	v_or_b32_e32 v58, 0x7e, v50
; %bb.3081:                             ;   in Loop: Header=BB4_2468 Depth=3
	s_or_b64 exec, exec, s[28:29]
                                        ; implicit-def: $vgpr7
.LBB4_3082:                             ;   in Loop: Header=BB4_2468 Depth=3
	s_andn2_saveexec_b64 s[28:29], s[30:31]
; %bb.3083:                             ;   in Loop: Header=BB4_2468 Depth=3
	v_or_b32_sdwa v58, v7, s71 dst_sel:DWORD dst_unused:UNUSED_PAD src0_sel:BYTE_3 src1_sel:DWORD
; %bb.3084:                             ;   in Loop: Header=BB4_2468 Depth=3
	s_or_b64 exec, exec, s[28:29]
	v_lshrrev_b32_e32 v2, 16, v13
	v_cmp_ne_u16_sdwa s[44:45], v2, v3 src0_sel:BYTE_0 src1_sel:DWORD
	v_mov_b32_e32 v16, 0
	v_mov_b32_e32 v17, 0
	s_and_saveexec_b64 s[28:29], s[44:45]
	s_cbranch_execz .LBB4_3090
; %bb.3085:                             ;   in Loop: Header=BB4_2468 Depth=3
	v_cmp_ne_u16_sdwa s[44:45], v2, s70 src0_sel:BYTE_0 src1_sel:DWORD
	v_bfrev_b32_e32 v17, 1
	s_and_saveexec_b64 s[30:31], s[44:45]
	s_cbranch_execz .LBB4_3089
; %bb.3086:                             ;   in Loop: Header=BB4_2468 Depth=3
	v_bfe_u32 v1, v13, 16, 7
	v_cmp_ne_u32_e32 vcc, s71, v1
	v_mov_b32_e32 v17, 0x7f800001
	s_and_saveexec_b64 s[34:35], vcc
	s_cbranch_execz .LBB4_3088
; %bb.3087:                             ;   in Loop: Header=BB4_2468 Depth=3
	v_and_b32_e32 v5, 7, v2
	v_lshrrev_b32_e32 v6, 3, v1
	v_cmp_gt_u32_e32 vcc, 8, v1
	v_ffbh_u32_e32 v1, v5
	v_min_u32_e32 v1, 32, v1
	v_subrev_u32_e32 v7, 28, v1
	v_lshlrev_b64 v[17:18], v7, v[2:3]
	v_sub_u32_e32 v1, 29, v1
	v_and_b32_e32 v7, 7, v17
	v_cndmask_b32_e32 v1, v6, v1, vcc
	v_cndmask_b32_e32 v5, v5, v7, vcc
	v_lshlrev_b32_e32 v2, 24, v2
	v_lshlrev_b32_e32 v5, 20, v5
	v_and_b32_e32 v2, 0x80000000, v2
	v_lshl_add_u32 v1, v1, 23, v0
	v_or3_b32 v17, v2, v1, v5
.LBB4_3088:                             ;   in Loop: Header=BB4_2468 Depth=3
	s_or_b64 exec, exec, s[34:35]
.LBB4_3089:                             ;   in Loop: Header=BB4_2468 Depth=3
	s_or_b64 exec, exec, s[30:31]
.LBB4_3090:                             ;   in Loop: Header=BB4_2468 Depth=3
	s_or_b64 exec, exec, s[28:29]
	v_lshrrev_b32_e32 v2, 16, v9
	v_cmp_ne_u16_sdwa s[44:45], v2, v3 src0_sel:BYTE_0 src1_sel:DWORD
	s_and_saveexec_b64 s[28:29], s[44:45]
	s_cbranch_execz .LBB4_3096
; %bb.3091:                             ;   in Loop: Header=BB4_2468 Depth=3
	v_cmp_ne_u16_sdwa s[44:45], v2, s70 src0_sel:BYTE_0 src1_sel:DWORD
	v_bfrev_b32_e32 v16, 1
	s_and_saveexec_b64 s[30:31], s[44:45]
	s_cbranch_execz .LBB4_3095
; %bb.3092:                             ;   in Loop: Header=BB4_2468 Depth=3
	v_bfe_u32 v1, v9, 16, 7
	v_cmp_ne_u32_e32 vcc, s71, v1
	v_mov_b32_e32 v16, 0x7f800001
	s_and_saveexec_b64 s[34:35], vcc
	s_cbranch_execz .LBB4_3094
; %bb.3093:                             ;   in Loop: Header=BB4_2468 Depth=3
	v_and_b32_e32 v5, 7, v2
	v_lshrrev_b32_e32 v6, 3, v1
	v_cmp_gt_u32_e32 vcc, 8, v1
	v_ffbh_u32_e32 v1, v5
	v_min_u32_e32 v7, 32, v1
	v_subrev_u32_e32 v1, 28, v7
	v_lshlrev_b64 v[1:2], v1, v[2:3]
	v_sub_u32_e32 v2, 29, v7
	v_and_b32_e32 v1, 7, v1
	v_cndmask_b32_e32 v2, v6, v2, vcc
	v_cndmask_b32_e32 v1, v5, v1, vcc
	v_lshlrev_b32_e32 v5, 8, v9
	v_lshlrev_b32_e32 v1, 20, v1
	v_and_b32_e32 v5, 0x80000000, v5
	v_lshl_add_u32 v2, v2, 23, v0
	v_or3_b32 v16, v5, v2, v1
.LBB4_3094:                             ;   in Loop: Header=BB4_2468 Depth=3
	s_or_b64 exec, exec, s[34:35]
.LBB4_3095:                             ;   in Loop: Header=BB4_2468 Depth=3
	s_or_b64 exec, exec, s[30:31]
.LBB4_3096:                             ;   in Loop: Header=BB4_2468 Depth=3
	s_or_b64 exec, exec, s[28:29]
	v_mul_f32_e32 v7, v17, v16
	v_and_b32_e32 v2, 0x7f800000, v7
	v_cmp_ne_u64_e32 vcc, s[62:63], v[2:3]
                                        ; implicit-def: $vgpr16
	s_and_saveexec_b64 s[28:29], vcc
	s_xor_b64 s[30:31], exec, s[28:29]
	s_cbranch_execz .LBB4_3110
; %bb.3097:                             ;   in Loop: Header=BB4_2468 Depth=3
	v_and_b32_e32 v2, 0x7fffffff, v7
	v_cmp_gt_u64_e32 vcc, s[72:73], v[2:3]
	v_and_b32_sdwa v50, v7, s70 dst_sel:DWORD dst_unused:UNUSED_PAD src0_sel:BYTE_3 src1_sel:DWORD
                                        ; implicit-def: $vgpr16
	s_and_saveexec_b64 s[28:29], vcc
	s_xor_b64 s[34:35], exec, s[28:29]
	s_cbranch_execz .LBB4_3107
; %bb.3098:                             ;   in Loop: Header=BB4_2468 Depth=3
	v_mov_b32_e32 v16, 0
	v_cmp_ne_u32_e32 vcc, 0, v7
	s_and_saveexec_b64 s[36:37], vcc
	s_cbranch_execz .LBB4_3106
; %bb.3099:                             ;   in Loop: Header=BB4_2468 Depth=3
	v_bfe_u32 v51, v7, 23, 8
	v_cmp_gt_u32_e64 s[28:29], s80, v51
	v_sub_u32_e32 v2, 0x79, v51
	v_and_b32_e32 v1, 0x7fffff, v7
	v_cmp_eq_u32_e32 vcc, 0, v51
	v_cndmask_b32_e64 v2, 0, v2, s[28:29]
	v_mov_b32_e32 v6, 0x78
	v_or_b32_e32 v5, 0x800000, v1
	v_cndmask_b32_e32 v7, v2, v6, vcc
	v_cndmask_b32_e32 v2, v5, v1, vcc
	v_add_u32_e32 v1, 20, v7
	v_lshlrev_b64 v[16:17], v1, -1
	v_add_u32_e32 v1, 19, v7
	v_lshlrev_b64 v[43:44], v1, 1
	v_bfi_b32 v17, v17, 0, 0
	v_bfi_b32 v16, v16, 0, v2
	v_cmp_eq_u64_e64 s[28:29], v[16:17], v[43:44]
	v_lshrrev_b64 v[16:17], v7, v[2:3]
	v_mov_b32_e32 v18, v17
	v_mov_b32_e32 v17, v16
	s_and_saveexec_b64 s[38:39], s[28:29]
; %bb.3100:                             ;   in Loop: Header=BB4_2468 Depth=3
	v_bfe_u32 v1, v16, 20, 1
	v_add_co_u32_e64 v1, s[28:29], v16, v1
	v_add_co_u32_e64 v17, s[28:29], -1, v1
; %bb.3101:                             ;   in Loop: Header=BB4_2468 Depth=3
	s_or_b64 exec, exec, s[38:39]
	v_add_u32_e32 v1, 0xffffff81, v51
	v_mov_b32_e32 v2, 0xffffff82
	v_cndmask_b32_e32 v1, v1, v2, vcc
	v_lshrrev_b32_e32 v2, 23, v16
	v_add3_u32 v7, v7, v1, v2
	v_add_u32_e32 v5, 6, v7
	v_and_b32_e32 v1, 0xfffff, v17
	v_add_u32_e32 v2, v1, v16
	v_cmp_ne_u32_e32 vcc, 0, v5
                                        ; implicit-def: $vgpr16_vgpr17
                                        ; implicit-def: $vgpr1
	s_and_saveexec_b64 s[28:29], vcc
	s_xor_b64 s[28:29], exec, s[28:29]
; %bb.3102:                             ;   in Loop: Header=BB4_2468 Depth=3
	v_cmp_lt_u64_e32 vcc, s[88:89], v[2:3]
	v_add_u32_e32 v1, 7, v7
	v_cndmask_b32_e32 v1, v5, v1, vcc
	v_cndmask_b32_e64 v5, 0, 1, vcc
	v_lshrrev_b64 v[16:17], v5, v[2:3]
; %bb.3103:                             ;   in Loop: Header=BB4_2468 Depth=3
	s_andn2_saveexec_b64 s[28:29], s[28:29]
; %bb.3104:                             ;   in Loop: Header=BB4_2468 Depth=3
	v_mov_b32_e32 v17, v3
	v_bfe_u32 v1, v2, 23, 1
	v_mov_b32_e32 v16, v2
; %bb.3105:                             ;   in Loop: Header=BB4_2468 Depth=3
	s_or_b64 exec, exec, s[28:29]
	v_lshrrev_b64 v[16:17], 20, v[16:17]
	v_cmp_gt_i32_e32 vcc, 16, v1
	v_cndmask_b32_e32 v17, 0, v17, vcc
	v_cndmask_b32_e32 v16, 7, v16, vcc
	v_cmp_eq_u32_e32 vcc, 0, v1
	v_min_i32_e32 v1, 15, v1
	v_cmp_eq_u64_e64 s[28:29], 0, v[16:17]
	v_lshlrev_b32_e32 v1, 3, v1
	v_and_b32_e32 v1, 0xf8, v1
	v_and_or_b32 v1, v16, 7, v1
	s_and_b64 s[28:29], vcc, s[28:29]
	v_cndmask_b32_e64 v1, v1, 0, s[28:29]
	v_or_b32_e32 v16, v1, v50
.LBB4_3106:                             ;   in Loop: Header=BB4_2468 Depth=3
	s_or_b64 exec, exec, s[36:37]
                                        ; implicit-def: $vgpr50
.LBB4_3107:                             ;   in Loop: Header=BB4_2468 Depth=3
	s_andn2_saveexec_b64 s[28:29], s[34:35]
; %bb.3108:                             ;   in Loop: Header=BB4_2468 Depth=3
	v_or_b32_e32 v16, 0x7e, v50
; %bb.3109:                             ;   in Loop: Header=BB4_2468 Depth=3
	s_or_b64 exec, exec, s[28:29]
                                        ; implicit-def: $vgpr7
.LBB4_3110:                             ;   in Loop: Header=BB4_2468 Depth=3
	s_andn2_saveexec_b64 s[28:29], s[30:31]
; %bb.3111:                             ;   in Loop: Header=BB4_2468 Depth=3
	v_or_b32_sdwa v16, v7, s71 dst_sel:DWORD dst_unused:UNUSED_PAD src0_sel:BYTE_3 src1_sel:DWORD
; %bb.3112:                             ;   in Loop: Header=BB4_2468 Depth=3
	s_or_b64 exec, exec, s[28:29]
	v_cmp_lt_u64_e32 vcc, s[56:57], v[12:13]
	v_mov_b32_e32 v12, 0
	v_mov_b32_e32 v17, 0
	s_and_saveexec_b64 s[28:29], vcc
	s_cbranch_execz .LBB4_3118
; %bb.3113:                             ;   in Loop: Header=BB4_2468 Depth=3
	v_lshrrev_b32_e32 v2, 24, v13
	v_cmp_ne_u32_e32 vcc, s70, v2
	v_bfrev_b32_e32 v17, 1
	s_and_saveexec_b64 s[30:31], vcc
	s_cbranch_execz .LBB4_3117
; %bb.3114:                             ;   in Loop: Header=BB4_2468 Depth=3
	v_bfe_u32 v1, v13, 24, 7
	v_cmp_ne_u32_e32 vcc, s71, v1
	v_mov_b32_e32 v17, 0x7f800001
	s_and_saveexec_b64 s[34:35], vcc
	s_cbranch_execz .LBB4_3116
; %bb.3115:                             ;   in Loop: Header=BB4_2468 Depth=3
	v_and_b32_e32 v5, 7, v2
	v_lshrrev_b32_e32 v6, 3, v1
	v_cmp_gt_u32_e32 vcc, 8, v1
	v_ffbh_u32_e32 v1, v5
	v_min_u32_e32 v1, 32, v1
	v_subrev_u32_e32 v7, 28, v1
	v_lshlrev_b64 v[17:18], v7, v[2:3]
	v_sub_u32_e32 v1, 29, v1
	v_and_b32_e32 v7, 7, v17
	v_cndmask_b32_e32 v1, v6, v1, vcc
	v_cndmask_b32_e32 v5, v5, v7, vcc
	v_lshlrev_b32_e32 v2, 24, v2
	v_lshlrev_b32_e32 v5, 20, v5
	v_and_b32_e32 v2, 0x80000000, v2
	v_lshl_add_u32 v1, v1, 23, v0
	v_or3_b32 v17, v2, v1, v5
.LBB4_3116:                             ;   in Loop: Header=BB4_2468 Depth=3
	s_or_b64 exec, exec, s[34:35]
.LBB4_3117:                             ;   in Loop: Header=BB4_2468 Depth=3
	s_or_b64 exec, exec, s[30:31]
.LBB4_3118:                             ;   in Loop: Header=BB4_2468 Depth=3
	s_or_b64 exec, exec, s[28:29]
	v_cmp_lt_u64_e32 vcc, s[56:57], v[8:9]
	s_and_saveexec_b64 s[28:29], vcc
	s_cbranch_execz .LBB4_3124
; %bb.3119:                             ;   in Loop: Header=BB4_2468 Depth=3
	v_lshrrev_b32_e32 v2, 24, v9
	v_cmp_ne_u32_e32 vcc, s70, v2
	v_bfrev_b32_e32 v12, 1
	s_and_saveexec_b64 s[30:31], vcc
	s_cbranch_execz .LBB4_3123
; %bb.3120:                             ;   in Loop: Header=BB4_2468 Depth=3
	v_bfe_u32 v1, v9, 24, 7
	v_cmp_ne_u32_e32 vcc, s71, v1
	v_mov_b32_e32 v12, 0x7f800001
	s_and_saveexec_b64 s[34:35], vcc
	s_cbranch_execz .LBB4_3122
; %bb.3121:                             ;   in Loop: Header=BB4_2468 Depth=3
	v_and_b32_e32 v5, 7, v2
	v_lshrrev_b32_e32 v6, 3, v1
	v_cmp_gt_u32_e32 vcc, 8, v1
	v_ffbh_u32_e32 v1, v5
	v_min_u32_e32 v1, 32, v1
	v_subrev_u32_e32 v7, 28, v1
	v_lshlrev_b64 v[7:8], v7, v[2:3]
	v_sub_u32_e32 v1, 29, v1
	v_and_b32_e32 v7, 7, v7
	v_cndmask_b32_e32 v1, v6, v1, vcc
	v_cndmask_b32_e32 v5, v5, v7, vcc
	v_lshlrev_b32_e32 v2, 24, v2
	v_lshlrev_b32_e32 v5, 20, v5
	v_and_b32_e32 v2, 0x80000000, v2
	v_lshl_add_u32 v1, v1, 23, v0
	v_or3_b32 v12, v2, v1, v5
.LBB4_3122:                             ;   in Loop: Header=BB4_2468 Depth=3
	s_or_b64 exec, exec, s[34:35]
.LBB4_3123:                             ;   in Loop: Header=BB4_2468 Depth=3
	s_or_b64 exec, exec, s[30:31]
.LBB4_3124:                             ;   in Loop: Header=BB4_2468 Depth=3
	s_or_b64 exec, exec, s[28:29]
	v_mul_f32_e32 v7, v17, v12
	v_and_b32_e32 v2, 0x7f800000, v7
	v_cmp_ne_u64_e32 vcc, s[62:63], v[2:3]
                                        ; implicit-def: $vgpr17
	s_and_saveexec_b64 s[28:29], vcc
	s_xor_b64 s[30:31], exec, s[28:29]
	s_cbranch_execz .LBB4_3138
; %bb.3125:                             ;   in Loop: Header=BB4_2468 Depth=3
	v_and_b32_e32 v2, 0x7fffffff, v7
	v_cmp_gt_u64_e32 vcc, s[72:73], v[2:3]
	v_and_b32_sdwa v18, v7, s70 dst_sel:DWORD dst_unused:UNUSED_PAD src0_sel:BYTE_3 src1_sel:DWORD
                                        ; implicit-def: $vgpr17
	s_and_saveexec_b64 s[28:29], vcc
	s_xor_b64 s[34:35], exec, s[28:29]
	s_cbranch_execz .LBB4_3135
; %bb.3126:                             ;   in Loop: Header=BB4_2468 Depth=3
	v_mov_b32_e32 v17, 0
	v_cmp_ne_u32_e32 vcc, 0, v7
	s_and_saveexec_b64 s[36:37], vcc
	s_cbranch_execz .LBB4_3134
; %bb.3127:                             ;   in Loop: Header=BB4_2468 Depth=3
	v_bfe_u32 v17, v7, 23, 8
	v_cmp_gt_u32_e64 s[28:29], s80, v17
	v_sub_u32_e32 v2, 0x79, v17
	v_and_b32_e32 v1, 0x7fffff, v7
	v_cmp_eq_u32_e32 vcc, 0, v17
	v_cndmask_b32_e64 v2, 0, v2, s[28:29]
	v_mov_b32_e32 v6, 0x78
	v_or_b32_e32 v5, 0x800000, v1
	v_cndmask_b32_e32 v7, v2, v6, vcc
	v_cndmask_b32_e32 v2, v5, v1, vcc
	v_add_u32_e32 v1, 20, v7
	v_lshlrev_b64 v[8:9], v1, -1
	v_add_u32_e32 v1, 19, v7
	v_lshlrev_b64 v[12:13], v1, 1
	v_bfi_b32 v9, v9, 0, 0
	v_bfi_b32 v8, v8, 0, v2
	v_cmp_eq_u64_e64 s[28:29], v[8:9], v[12:13]
	v_lshrrev_b64 v[8:9], v7, v[2:3]
	v_mov_b32_e32 v13, v9
	v_mov_b32_e32 v12, v8
	s_and_saveexec_b64 s[38:39], s[28:29]
; %bb.3128:                             ;   in Loop: Header=BB4_2468 Depth=3
	v_bfe_u32 v1, v8, 20, 1
	v_add_co_u32_e64 v1, s[28:29], v8, v1
	v_add_co_u32_e64 v12, s[28:29], -1, v1
; %bb.3129:                             ;   in Loop: Header=BB4_2468 Depth=3
	s_or_b64 exec, exec, s[38:39]
	v_add_u32_e32 v1, 0xffffff81, v17
	v_mov_b32_e32 v2, 0xffffff82
	v_cndmask_b32_e32 v1, v1, v2, vcc
	v_lshrrev_b32_e32 v2, 23, v8
	v_add3_u32 v7, v7, v1, v2
	v_add_u32_e32 v5, 6, v7
	v_and_b32_e32 v1, 0xfffff, v12
	v_add_u32_e32 v2, v1, v8
	v_cmp_ne_u32_e32 vcc, 0, v5
                                        ; implicit-def: $vgpr8_vgpr9
                                        ; implicit-def: $vgpr1
	s_and_saveexec_b64 s[28:29], vcc
	s_xor_b64 s[28:29], exec, s[28:29]
; %bb.3130:                             ;   in Loop: Header=BB4_2468 Depth=3
	v_cmp_lt_u64_e32 vcc, s[88:89], v[2:3]
	v_add_u32_e32 v1, 7, v7
	v_cndmask_b32_e32 v1, v5, v1, vcc
	v_cndmask_b32_e64 v5, 0, 1, vcc
	v_lshrrev_b64 v[8:9], v5, v[2:3]
; %bb.3131:                             ;   in Loop: Header=BB4_2468 Depth=3
	s_andn2_saveexec_b64 s[28:29], s[28:29]
; %bb.3132:                             ;   in Loop: Header=BB4_2468 Depth=3
	v_mov_b32_e32 v9, v3
	v_bfe_u32 v1, v2, 23, 1
	v_mov_b32_e32 v8, v2
; %bb.3133:                             ;   in Loop: Header=BB4_2468 Depth=3
	s_or_b64 exec, exec, s[28:29]
	v_lshrrev_b64 v[7:8], 20, v[8:9]
	v_cmp_gt_i32_e32 vcc, 16, v1
	v_cndmask_b32_e32 v8, 0, v8, vcc
	v_cndmask_b32_e32 v7, 7, v7, vcc
	v_cmp_eq_u32_e32 vcc, 0, v1
	v_min_i32_e32 v1, 15, v1
	v_cmp_eq_u64_e64 s[28:29], 0, v[7:8]
	v_lshlrev_b32_e32 v1, 3, v1
	v_and_b32_e32 v1, 0xf8, v1
	v_and_or_b32 v1, v7, 7, v1
	s_and_b64 s[28:29], vcc, s[28:29]
	v_cndmask_b32_e64 v1, v1, 0, s[28:29]
	v_or_b32_e32 v17, v1, v18
.LBB4_3134:                             ;   in Loop: Header=BB4_2468 Depth=3
	s_or_b64 exec, exec, s[36:37]
                                        ; implicit-def: $vgpr18
.LBB4_3135:                             ;   in Loop: Header=BB4_2468 Depth=3
	s_andn2_saveexec_b64 s[28:29], s[34:35]
; %bb.3136:                             ;   in Loop: Header=BB4_2468 Depth=3
	v_or_b32_e32 v17, 0x7e, v18
; %bb.3137:                             ;   in Loop: Header=BB4_2468 Depth=3
	s_or_b64 exec, exec, s[28:29]
                                        ; implicit-def: $vgpr7
.LBB4_3138:                             ;   in Loop: Header=BB4_2468 Depth=3
	s_andn2_saveexec_b64 s[28:29], s[30:31]
; %bb.3139:                             ;   in Loop: Header=BB4_2468 Depth=3
	v_or_b32_sdwa v17, v7, s71 dst_sel:DWORD dst_unused:UNUSED_PAD src0_sel:BYTE_3 src1_sel:DWORD
; %bb.3140:                             ;   in Loop: Header=BB4_2468 Depth=3
	s_or_b64 exec, exec, s[28:29]
	v_cmp_ne_u16_sdwa s[44:45], v14, v3 src0_sel:BYTE_0 src1_sel:DWORD
	v_mov_b32_e32 v2, 0
	v_mov_b32_e32 v8, 0
	s_and_saveexec_b64 s[28:29], s[44:45]
	s_cbranch_execz .LBB4_3146
; %bb.3141:                             ;   in Loop: Header=BB4_2468 Depth=3
	v_cmp_ne_u16_sdwa s[44:45], v14, s70 src0_sel:BYTE_0 src1_sel:DWORD
	v_bfrev_b32_e32 v8, 1
	s_and_saveexec_b64 s[30:31], s[44:45]
	s_cbranch_execz .LBB4_3145
; %bb.3142:                             ;   in Loop: Header=BB4_2468 Depth=3
	v_and_b32_e32 v1, 0x7f, v14
	v_cmp_ne_u32_e32 vcc, s71, v1
	v_mov_b32_e32 v8, 0x7f800001
	s_and_saveexec_b64 s[34:35], vcc
	s_cbranch_execz .LBB4_3144
; %bb.3143:                             ;   in Loop: Header=BB4_2468 Depth=3
	v_and_b32_e32 v5, 7, v14
	v_lshrrev_b32_e32 v6, 3, v1
	v_cmp_gt_u32_e32 vcc, 8, v1
	v_ffbh_u32_e32 v1, v5
	v_min_u32_e32 v1, 32, v1
	v_subrev_u32_e32 v5, 28, v1
	v_cndmask_b32_e32 v5, 0, v5, vcc
	v_lshlrev_b64 v[7:8], v5, v[14:15]
	v_sub_u32_e32 v1, 29, v1
	v_cndmask_b32_e32 v1, v6, v1, vcc
	v_lshlrev_b32_e32 v5, 20, v7
	v_lshlrev_b32_e32 v6, 24, v14
	v_and_b32_e32 v5, 0x700000, v5
	v_and_b32_e32 v6, 0x80000000, v6
	v_lshl_add_u32 v1, v1, 23, v0
	v_or3_b32 v8, v6, v1, v5
.LBB4_3144:                             ;   in Loop: Header=BB4_2468 Depth=3
	s_or_b64 exec, exec, s[34:35]
.LBB4_3145:                             ;   in Loop: Header=BB4_2468 Depth=3
	s_or_b64 exec, exec, s[30:31]
.LBB4_3146:                             ;   in Loop: Header=BB4_2468 Depth=3
	s_or_b64 exec, exec, s[28:29]
	v_cmp_ne_u16_sdwa s[44:45], v10, v3 src0_sel:BYTE_0 src1_sel:DWORD
	s_and_saveexec_b64 s[28:29], s[44:45]
	s_cbranch_execz .LBB4_3152
; %bb.3147:                             ;   in Loop: Header=BB4_2468 Depth=3
	v_cmp_ne_u16_sdwa s[44:45], v10, s70 src0_sel:BYTE_0 src1_sel:DWORD
	v_bfrev_b32_e32 v2, 1
	s_and_saveexec_b64 s[30:31], s[44:45]
	s_cbranch_execz .LBB4_3151
; %bb.3148:                             ;   in Loop: Header=BB4_2468 Depth=3
	v_and_b32_e32 v1, 0x7f, v10
	v_cmp_ne_u32_e32 vcc, s71, v1
	v_mov_b32_e32 v2, 0x7f800001
	s_and_saveexec_b64 s[34:35], vcc
	s_cbranch_execz .LBB4_3150
; %bb.3149:                             ;   in Loop: Header=BB4_2468 Depth=3
	v_and_b32_e32 v2, 7, v10
	v_lshrrev_b32_e32 v5, 3, v1
	v_cmp_gt_u32_e32 vcc, 8, v1
	v_ffbh_u32_e32 v1, v2
	v_min_u32_e32 v1, 32, v1
	v_subrev_u32_e32 v2, 28, v1
	v_sub_u32_e32 v1, 29, v1
	v_cndmask_b32_e32 v5, v5, v1, vcc
	v_cndmask_b32_e32 v1, 0, v2, vcc
	v_lshlrev_b64 v[1:2], v1, v[10:11]
	v_lshlrev_b32_e32 v2, 24, v10
	v_lshlrev_b32_e32 v1, 20, v1
	v_and_b32_e32 v1, 0x700000, v1
	v_and_b32_e32 v2, 0x80000000, v2
	v_lshl_add_u32 v5, v5, 23, v0
	v_or3_b32 v2, v2, v5, v1
.LBB4_3150:                             ;   in Loop: Header=BB4_2468 Depth=3
	s_or_b64 exec, exec, s[34:35]
.LBB4_3151:                             ;   in Loop: Header=BB4_2468 Depth=3
	s_or_b64 exec, exec, s[30:31]
.LBB4_3152:                             ;   in Loop: Header=BB4_2468 Depth=3
	s_or_b64 exec, exec, s[28:29]
	v_mul_f32_e32 v7, v8, v2
	v_and_b32_e32 v2, 0x7f800000, v7
	v_cmp_ne_u64_e32 vcc, s[62:63], v[2:3]
                                        ; implicit-def: $vgpr18
	s_and_saveexec_b64 s[28:29], vcc
	s_xor_b64 s[30:31], exec, s[28:29]
	s_cbranch_execz .LBB4_3166
; %bb.3153:                             ;   in Loop: Header=BB4_2468 Depth=3
	v_and_b32_e32 v2, 0x7fffffff, v7
	v_cmp_gt_u64_e32 vcc, s[72:73], v[2:3]
	v_and_b32_sdwa v50, v7, s70 dst_sel:DWORD dst_unused:UNUSED_PAD src0_sel:BYTE_3 src1_sel:DWORD
                                        ; implicit-def: $vgpr18
	s_and_saveexec_b64 s[28:29], vcc
	s_xor_b64 s[34:35], exec, s[28:29]
	s_cbranch_execz .LBB4_3163
; %bb.3154:                             ;   in Loop: Header=BB4_2468 Depth=3
	v_mov_b32_e32 v18, 0
	v_cmp_ne_u32_e32 vcc, 0, v7
	s_and_saveexec_b64 s[36:37], vcc
	s_cbranch_execz .LBB4_3162
; %bb.3155:                             ;   in Loop: Header=BB4_2468 Depth=3
	v_bfe_u32 v18, v7, 23, 8
	v_cmp_gt_u32_e64 s[28:29], s80, v18
	v_sub_u32_e32 v2, 0x79, v18
	v_and_b32_e32 v1, 0x7fffff, v7
	v_cmp_eq_u32_e32 vcc, 0, v18
	v_cndmask_b32_e64 v2, 0, v2, s[28:29]
	v_mov_b32_e32 v6, 0x78
	v_or_b32_e32 v5, 0x800000, v1
	v_cndmask_b32_e32 v7, v2, v6, vcc
	v_cndmask_b32_e32 v2, v5, v1, vcc
	v_add_u32_e32 v1, 20, v7
	v_lshlrev_b64 v[8:9], v1, -1
	v_add_u32_e32 v1, 19, v7
	v_lshlrev_b64 v[12:13], v1, 1
	v_bfi_b32 v9, v9, 0, 0
	v_bfi_b32 v8, v8, 0, v2
	v_cmp_eq_u64_e64 s[28:29], v[8:9], v[12:13]
	v_lshrrev_b64 v[8:9], v7, v[2:3]
	v_mov_b32_e32 v13, v9
	v_mov_b32_e32 v12, v8
	s_and_saveexec_b64 s[38:39], s[28:29]
; %bb.3156:                             ;   in Loop: Header=BB4_2468 Depth=3
	v_bfe_u32 v1, v8, 20, 1
	v_add_co_u32_e64 v1, s[28:29], v8, v1
	v_add_co_u32_e64 v12, s[28:29], -1, v1
; %bb.3157:                             ;   in Loop: Header=BB4_2468 Depth=3
	s_or_b64 exec, exec, s[38:39]
	v_add_u32_e32 v1, 0xffffff81, v18
	v_mov_b32_e32 v2, 0xffffff82
	v_cndmask_b32_e32 v1, v1, v2, vcc
	v_lshrrev_b32_e32 v2, 23, v8
	v_add3_u32 v7, v7, v1, v2
	v_add_u32_e32 v5, 6, v7
	v_and_b32_e32 v1, 0xfffff, v12
	v_add_u32_e32 v2, v1, v8
	v_cmp_ne_u32_e32 vcc, 0, v5
                                        ; implicit-def: $vgpr8_vgpr9
                                        ; implicit-def: $vgpr1
	s_and_saveexec_b64 s[28:29], vcc
	s_xor_b64 s[28:29], exec, s[28:29]
; %bb.3158:                             ;   in Loop: Header=BB4_2468 Depth=3
	v_cmp_lt_u64_e32 vcc, s[88:89], v[2:3]
	v_add_u32_e32 v1, 7, v7
	v_cndmask_b32_e32 v1, v5, v1, vcc
	v_cndmask_b32_e64 v5, 0, 1, vcc
	v_lshrrev_b64 v[8:9], v5, v[2:3]
; %bb.3159:                             ;   in Loop: Header=BB4_2468 Depth=3
	s_andn2_saveexec_b64 s[28:29], s[28:29]
; %bb.3160:                             ;   in Loop: Header=BB4_2468 Depth=3
	v_mov_b32_e32 v9, v3
	v_bfe_u32 v1, v2, 23, 1
	v_mov_b32_e32 v8, v2
; %bb.3161:                             ;   in Loop: Header=BB4_2468 Depth=3
	s_or_b64 exec, exec, s[28:29]
	v_lshrrev_b64 v[7:8], 20, v[8:9]
	v_cmp_gt_i32_e32 vcc, 16, v1
	v_cndmask_b32_e32 v8, 0, v8, vcc
	v_cndmask_b32_e32 v7, 7, v7, vcc
	v_cmp_eq_u32_e32 vcc, 0, v1
	v_min_i32_e32 v1, 15, v1
	v_cmp_eq_u64_e64 s[28:29], 0, v[7:8]
	v_lshlrev_b32_e32 v1, 3, v1
	v_and_b32_e32 v1, 0xf8, v1
	v_and_or_b32 v1, v7, 7, v1
	s_and_b64 s[28:29], vcc, s[28:29]
	v_cndmask_b32_e64 v1, v1, 0, s[28:29]
	v_or_b32_e32 v18, v1, v50
.LBB4_3162:                             ;   in Loop: Header=BB4_2468 Depth=3
	s_or_b64 exec, exec, s[36:37]
                                        ; implicit-def: $vgpr50
.LBB4_3163:                             ;   in Loop: Header=BB4_2468 Depth=3
	s_andn2_saveexec_b64 s[28:29], s[34:35]
; %bb.3164:                             ;   in Loop: Header=BB4_2468 Depth=3
	v_or_b32_e32 v18, 0x7e, v50
; %bb.3165:                             ;   in Loop: Header=BB4_2468 Depth=3
	s_or_b64 exec, exec, s[28:29]
                                        ; implicit-def: $vgpr7
.LBB4_3166:                             ;   in Loop: Header=BB4_2468 Depth=3
	s_andn2_saveexec_b64 s[28:29], s[30:31]
; %bb.3167:                             ;   in Loop: Header=BB4_2468 Depth=3
	v_or_b32_sdwa v18, v7, s71 dst_sel:DWORD dst_unused:UNUSED_PAD src0_sel:BYTE_3 src1_sel:DWORD
; %bb.3168:                             ;   in Loop: Header=BB4_2468 Depth=3
	s_or_b64 exec, exec, s[28:29]
	v_lshrrev_b16_e32 v2, 8, v14
	v_cmp_ne_u16_e32 vcc, 0, v2
	v_mov_b32_e32 v8, 0
	v_mov_b32_e32 v9, 0
	s_and_saveexec_b64 s[28:29], vcc
	s_cbranch_execz .LBB4_3174
; %bb.3169:                             ;   in Loop: Header=BB4_2468 Depth=3
	v_cmp_ne_u16_e32 vcc, s70, v2
	v_bfrev_b32_e32 v9, 1
	s_and_saveexec_b64 s[30:31], vcc
	s_cbranch_execz .LBB4_3173
; %bb.3170:                             ;   in Loop: Header=BB4_2468 Depth=3
	v_and_b32_e32 v1, 0x7f, v2
	v_cmp_ne_u32_e32 vcc, s71, v1
	v_mov_b32_e32 v9, 0x7f800001
	s_and_saveexec_b64 s[34:35], vcc
	s_cbranch_execz .LBB4_3172
; %bb.3171:                             ;   in Loop: Header=BB4_2468 Depth=3
	v_and_b32_e32 v5, 7, v2
	v_lshrrev_b32_e32 v6, 3, v1
	v_cmp_gt_u32_e32 vcc, 8, v1
	v_ffbh_u32_e32 v1, v5
	v_min_u32_e32 v7, 32, v1
	v_subrev_u32_e32 v1, 28, v7
	v_lshlrev_b64 v[1:2], v1, v[2:3]
	v_sub_u32_e32 v2, 29, v7
	v_and_b32_e32 v1, 7, v1
	v_cndmask_b32_e32 v2, v6, v2, vcc
	v_cndmask_b32_e32 v1, v5, v1, vcc
	v_lshlrev_b32_e32 v5, 16, v14
	v_lshlrev_b32_e32 v1, 20, v1
	v_and_b32_e32 v5, 0x80000000, v5
	v_lshl_add_u32 v2, v2, 23, v0
	v_or3_b32 v9, v5, v2, v1
.LBB4_3172:                             ;   in Loop: Header=BB4_2468 Depth=3
	s_or_b64 exec, exec, s[34:35]
.LBB4_3173:                             ;   in Loop: Header=BB4_2468 Depth=3
	s_or_b64 exec, exec, s[30:31]
.LBB4_3174:                             ;   in Loop: Header=BB4_2468 Depth=3
	s_or_b64 exec, exec, s[28:29]
	v_lshrrev_b16_e32 v2, 8, v10
	v_cmp_ne_u16_e32 vcc, 0, v2
	s_and_saveexec_b64 s[28:29], vcc
	s_cbranch_execz .LBB4_3180
; %bb.3175:                             ;   in Loop: Header=BB4_2468 Depth=3
	v_cmp_ne_u16_e32 vcc, s70, v2
	v_bfrev_b32_e32 v8, 1
	s_and_saveexec_b64 s[30:31], vcc
	s_cbranch_execz .LBB4_3179
; %bb.3176:                             ;   in Loop: Header=BB4_2468 Depth=3
	v_and_b32_e32 v1, 0x7f, v2
	v_cmp_ne_u32_e32 vcc, s71, v1
	v_mov_b32_e32 v8, 0x7f800001
	s_and_saveexec_b64 s[34:35], vcc
	s_cbranch_execz .LBB4_3178
; %bb.3177:                             ;   in Loop: Header=BB4_2468 Depth=3
	v_and_b32_e32 v5, 7, v2
	v_lshrrev_b32_e32 v6, 3, v1
	v_cmp_gt_u32_e32 vcc, 8, v1
	v_ffbh_u32_e32 v1, v5
	v_min_u32_e32 v7, 32, v1
	v_subrev_u32_e32 v1, 28, v7
	v_lshlrev_b64 v[1:2], v1, v[2:3]
	v_sub_u32_e32 v2, 29, v7
	v_and_b32_e32 v1, 7, v1
	v_cndmask_b32_e32 v2, v6, v2, vcc
	v_cndmask_b32_e32 v1, v5, v1, vcc
	v_lshlrev_b32_e32 v5, 16, v10
	v_lshlrev_b32_e32 v1, 20, v1
	v_and_b32_e32 v5, 0x80000000, v5
	v_lshl_add_u32 v2, v2, 23, v0
	v_or3_b32 v8, v5, v2, v1
.LBB4_3178:                             ;   in Loop: Header=BB4_2468 Depth=3
	s_or_b64 exec, exec, s[34:35]
.LBB4_3179:                             ;   in Loop: Header=BB4_2468 Depth=3
	s_or_b64 exec, exec, s[30:31]
.LBB4_3180:                             ;   in Loop: Header=BB4_2468 Depth=3
	s_or_b64 exec, exec, s[28:29]
	v_mul_f32_e32 v7, v9, v8
	v_and_b32_e32 v2, 0x7f800000, v7
	v_cmp_ne_u64_e32 vcc, s[62:63], v[2:3]
                                        ; implicit-def: $vgpr59
	s_and_saveexec_b64 s[28:29], vcc
	s_xor_b64 s[30:31], exec, s[28:29]
	s_cbranch_execz .LBB4_3194
; %bb.3181:                             ;   in Loop: Header=BB4_2468 Depth=3
	v_and_b32_e32 v2, 0x7fffffff, v7
	v_cmp_gt_u64_e32 vcc, s[72:73], v[2:3]
	v_and_b32_sdwa v50, v7, s70 dst_sel:DWORD dst_unused:UNUSED_PAD src0_sel:BYTE_3 src1_sel:DWORD
                                        ; implicit-def: $vgpr59
	s_and_saveexec_b64 s[28:29], vcc
	s_xor_b64 s[34:35], exec, s[28:29]
	s_cbranch_execz .LBB4_3191
; %bb.3182:                             ;   in Loop: Header=BB4_2468 Depth=3
	v_mov_b32_e32 v59, 0
	v_cmp_ne_u32_e32 vcc, 0, v7
	s_and_saveexec_b64 s[36:37], vcc
	s_cbranch_execz .LBB4_3190
; %bb.3183:                             ;   in Loop: Header=BB4_2468 Depth=3
	v_bfe_u32 v51, v7, 23, 8
	v_cmp_gt_u32_e64 s[28:29], s80, v51
	v_sub_u32_e32 v2, 0x79, v51
	v_and_b32_e32 v1, 0x7fffff, v7
	v_cmp_eq_u32_e32 vcc, 0, v51
	v_cndmask_b32_e64 v2, 0, v2, s[28:29]
	v_mov_b32_e32 v6, 0x78
	v_or_b32_e32 v5, 0x800000, v1
	v_cndmask_b32_e32 v7, v2, v6, vcc
	v_cndmask_b32_e32 v2, v5, v1, vcc
	v_add_u32_e32 v1, 20, v7
	v_lshlrev_b64 v[8:9], v1, -1
	v_add_u32_e32 v1, 19, v7
	v_lshlrev_b64 v[12:13], v1, 1
	v_bfi_b32 v9, v9, 0, 0
	v_bfi_b32 v8, v8, 0, v2
	v_cmp_eq_u64_e64 s[28:29], v[8:9], v[12:13]
	v_lshrrev_b64 v[8:9], v7, v[2:3]
	v_mov_b32_e32 v13, v9
	v_mov_b32_e32 v12, v8
	s_and_saveexec_b64 s[38:39], s[28:29]
; %bb.3184:                             ;   in Loop: Header=BB4_2468 Depth=3
	v_bfe_u32 v1, v8, 20, 1
	v_add_co_u32_e64 v1, s[28:29], v8, v1
	v_add_co_u32_e64 v12, s[28:29], -1, v1
; %bb.3185:                             ;   in Loop: Header=BB4_2468 Depth=3
	s_or_b64 exec, exec, s[38:39]
	v_add_u32_e32 v1, 0xffffff81, v51
	v_mov_b32_e32 v2, 0xffffff82
	v_cndmask_b32_e32 v1, v1, v2, vcc
	v_lshrrev_b32_e32 v2, 23, v8
	v_add3_u32 v7, v7, v1, v2
	v_add_u32_e32 v5, 6, v7
	v_and_b32_e32 v1, 0xfffff, v12
	v_add_u32_e32 v2, v1, v8
	v_cmp_ne_u32_e32 vcc, 0, v5
                                        ; implicit-def: $vgpr8_vgpr9
                                        ; implicit-def: $vgpr1
	s_and_saveexec_b64 s[28:29], vcc
	s_xor_b64 s[28:29], exec, s[28:29]
; %bb.3186:                             ;   in Loop: Header=BB4_2468 Depth=3
	v_cmp_lt_u64_e32 vcc, s[88:89], v[2:3]
	v_add_u32_e32 v1, 7, v7
	v_cndmask_b32_e32 v1, v5, v1, vcc
	v_cndmask_b32_e64 v5, 0, 1, vcc
	v_lshrrev_b64 v[8:9], v5, v[2:3]
; %bb.3187:                             ;   in Loop: Header=BB4_2468 Depth=3
	s_andn2_saveexec_b64 s[28:29], s[28:29]
; %bb.3188:                             ;   in Loop: Header=BB4_2468 Depth=3
	v_mov_b32_e32 v9, v3
	v_bfe_u32 v1, v2, 23, 1
	v_mov_b32_e32 v8, v2
; %bb.3189:                             ;   in Loop: Header=BB4_2468 Depth=3
	s_or_b64 exec, exec, s[28:29]
	v_lshrrev_b64 v[7:8], 20, v[8:9]
	v_cmp_gt_i32_e32 vcc, 16, v1
	v_cndmask_b32_e32 v8, 0, v8, vcc
	v_cndmask_b32_e32 v7, 7, v7, vcc
	v_cmp_eq_u32_e32 vcc, 0, v1
	v_min_i32_e32 v1, 15, v1
	v_cmp_eq_u64_e64 s[28:29], 0, v[7:8]
	v_lshlrev_b32_e32 v1, 3, v1
	v_and_b32_e32 v1, 0xf8, v1
	v_and_or_b32 v1, v7, 7, v1
	s_and_b64 s[28:29], vcc, s[28:29]
	v_cndmask_b32_e64 v1, v1, 0, s[28:29]
	v_or_b32_e32 v59, v1, v50
.LBB4_3190:                             ;   in Loop: Header=BB4_2468 Depth=3
	s_or_b64 exec, exec, s[36:37]
                                        ; implicit-def: $vgpr50
.LBB4_3191:                             ;   in Loop: Header=BB4_2468 Depth=3
	s_andn2_saveexec_b64 s[28:29], s[34:35]
; %bb.3192:                             ;   in Loop: Header=BB4_2468 Depth=3
	v_or_b32_e32 v59, 0x7e, v50
; %bb.3193:                             ;   in Loop: Header=BB4_2468 Depth=3
	s_or_b64 exec, exec, s[28:29]
                                        ; implicit-def: $vgpr7
.LBB4_3194:                             ;   in Loop: Header=BB4_2468 Depth=3
	s_andn2_saveexec_b64 s[28:29], s[30:31]
; %bb.3195:                             ;   in Loop: Header=BB4_2468 Depth=3
	v_or_b32_sdwa v59, v7, s71 dst_sel:DWORD dst_unused:UNUSED_PAD src0_sel:BYTE_3 src1_sel:DWORD
; %bb.3196:                             ;   in Loop: Header=BB4_2468 Depth=3
	s_or_b64 exec, exec, s[28:29]
	v_lshrrev_b32_e32 v2, 16, v14
	v_cmp_ne_u16_sdwa s[44:45], v2, v3 src0_sel:BYTE_0 src1_sel:DWORD
	v_mov_b32_e32 v8, 0
	v_mov_b32_e32 v9, 0
	s_and_saveexec_b64 s[28:29], s[44:45]
	s_cbranch_execz .LBB4_3202
; %bb.3197:                             ;   in Loop: Header=BB4_2468 Depth=3
	v_cmp_ne_u16_sdwa s[44:45], v2, s70 src0_sel:BYTE_0 src1_sel:DWORD
	v_bfrev_b32_e32 v9, 1
	s_and_saveexec_b64 s[30:31], s[44:45]
	s_cbranch_execz .LBB4_3201
; %bb.3198:                             ;   in Loop: Header=BB4_2468 Depth=3
	v_bfe_u32 v1, v14, 16, 7
	v_cmp_ne_u32_e32 vcc, s71, v1
	v_mov_b32_e32 v9, 0x7f800001
	s_and_saveexec_b64 s[34:35], vcc
	s_cbranch_execz .LBB4_3200
; %bb.3199:                             ;   in Loop: Header=BB4_2468 Depth=3
	v_and_b32_e32 v5, 7, v2
	v_lshrrev_b32_e32 v6, 3, v1
	v_cmp_gt_u32_e32 vcc, 8, v1
	v_ffbh_u32_e32 v1, v5
	v_min_u32_e32 v1, 32, v1
	v_subrev_u32_e32 v7, 28, v1
	v_lshlrev_b64 v[12:13], v7, v[2:3]
	v_sub_u32_e32 v1, 29, v1
	v_and_b32_e32 v7, 7, v12
	v_cndmask_b32_e32 v1, v6, v1, vcc
	v_cndmask_b32_e32 v5, v5, v7, vcc
	v_lshlrev_b32_e32 v2, 24, v2
	v_lshlrev_b32_e32 v5, 20, v5
	v_and_b32_e32 v2, 0x80000000, v2
	v_lshl_add_u32 v1, v1, 23, v0
	v_or3_b32 v9, v2, v1, v5
.LBB4_3200:                             ;   in Loop: Header=BB4_2468 Depth=3
	s_or_b64 exec, exec, s[34:35]
.LBB4_3201:                             ;   in Loop: Header=BB4_2468 Depth=3
	s_or_b64 exec, exec, s[30:31]
.LBB4_3202:                             ;   in Loop: Header=BB4_2468 Depth=3
	s_or_b64 exec, exec, s[28:29]
	v_lshrrev_b32_e32 v2, 16, v10
	v_cmp_ne_u16_sdwa s[44:45], v2, v3 src0_sel:BYTE_0 src1_sel:DWORD
	s_and_saveexec_b64 s[28:29], s[44:45]
	s_cbranch_execz .LBB4_3208
; %bb.3203:                             ;   in Loop: Header=BB4_2468 Depth=3
	v_cmp_ne_u16_sdwa s[44:45], v2, s70 src0_sel:BYTE_0 src1_sel:DWORD
	v_bfrev_b32_e32 v8, 1
	s_and_saveexec_b64 s[30:31], s[44:45]
	s_cbranch_execz .LBB4_3207
; %bb.3204:                             ;   in Loop: Header=BB4_2468 Depth=3
	v_bfe_u32 v1, v10, 16, 7
	v_cmp_ne_u32_e32 vcc, s71, v1
	v_mov_b32_e32 v8, 0x7f800001
	s_and_saveexec_b64 s[34:35], vcc
	s_cbranch_execz .LBB4_3206
; %bb.3205:                             ;   in Loop: Header=BB4_2468 Depth=3
	v_and_b32_e32 v5, 7, v2
	v_lshrrev_b32_e32 v6, 3, v1
	v_cmp_gt_u32_e32 vcc, 8, v1
	v_ffbh_u32_e32 v1, v5
	v_min_u32_e32 v7, 32, v1
	v_subrev_u32_e32 v1, 28, v7
	v_lshlrev_b64 v[1:2], v1, v[2:3]
	v_sub_u32_e32 v2, 29, v7
	v_and_b32_e32 v1, 7, v1
	v_cndmask_b32_e32 v2, v6, v2, vcc
	v_cndmask_b32_e32 v1, v5, v1, vcc
	v_lshlrev_b32_e32 v5, 8, v10
	v_lshlrev_b32_e32 v1, 20, v1
	v_and_b32_e32 v5, 0x80000000, v5
	v_lshl_add_u32 v2, v2, 23, v0
	v_or3_b32 v8, v5, v2, v1
.LBB4_3206:                             ;   in Loop: Header=BB4_2468 Depth=3
	s_or_b64 exec, exec, s[34:35]
.LBB4_3207:                             ;   in Loop: Header=BB4_2468 Depth=3
	s_or_b64 exec, exec, s[30:31]
.LBB4_3208:                             ;   in Loop: Header=BB4_2468 Depth=3
	s_or_b64 exec, exec, s[28:29]
	v_mul_f32_e32 v7, v9, v8
	v_and_b32_e32 v2, 0x7f800000, v7
	v_cmp_ne_u64_e32 vcc, s[62:63], v[2:3]
                                        ; implicit-def: $vgpr47
	s_and_saveexec_b64 s[28:29], vcc
	s_xor_b64 s[30:31], exec, s[28:29]
	s_cbranch_execz .LBB4_3222
; %bb.3209:                             ;   in Loop: Header=BB4_2468 Depth=3
	v_and_b32_e32 v2, 0x7fffffff, v7
	v_cmp_gt_u64_e32 vcc, s[72:73], v[2:3]
	v_and_b32_sdwa v50, v7, s70 dst_sel:DWORD dst_unused:UNUSED_PAD src0_sel:BYTE_3 src1_sel:DWORD
                                        ; implicit-def: $vgpr47
	s_and_saveexec_b64 s[28:29], vcc
	s_xor_b64 s[34:35], exec, s[28:29]
	s_cbranch_execz .LBB4_3219
; %bb.3210:                             ;   in Loop: Header=BB4_2468 Depth=3
	v_mov_b32_e32 v47, 0
	v_cmp_ne_u32_e32 vcc, 0, v7
	s_and_saveexec_b64 s[36:37], vcc
	s_cbranch_execz .LBB4_3218
; %bb.3211:                             ;   in Loop: Header=BB4_2468 Depth=3
	v_bfe_u32 v51, v7, 23, 8
	v_cmp_gt_u32_e64 s[28:29], s80, v51
	v_sub_u32_e32 v2, 0x79, v51
	v_and_b32_e32 v1, 0x7fffff, v7
	v_cmp_eq_u32_e32 vcc, 0, v51
	v_cndmask_b32_e64 v2, 0, v2, s[28:29]
	v_mov_b32_e32 v6, 0x78
	v_or_b32_e32 v5, 0x800000, v1
	v_cndmask_b32_e32 v7, v2, v6, vcc
	v_cndmask_b32_e32 v2, v5, v1, vcc
	v_add_u32_e32 v1, 20, v7
	v_lshlrev_b64 v[8:9], v1, -1
	v_add_u32_e32 v1, 19, v7
	v_lshlrev_b64 v[12:13], v1, 1
	v_bfi_b32 v9, v9, 0, 0
	v_bfi_b32 v8, v8, 0, v2
	v_cmp_eq_u64_e64 s[28:29], v[8:9], v[12:13]
	v_lshrrev_b64 v[8:9], v7, v[2:3]
	v_mov_b32_e32 v13, v9
	v_mov_b32_e32 v12, v8
	s_and_saveexec_b64 s[38:39], s[28:29]
; %bb.3212:                             ;   in Loop: Header=BB4_2468 Depth=3
	v_bfe_u32 v1, v8, 20, 1
	v_add_co_u32_e64 v1, s[28:29], v8, v1
	v_add_co_u32_e64 v12, s[28:29], -1, v1
; %bb.3213:                             ;   in Loop: Header=BB4_2468 Depth=3
	s_or_b64 exec, exec, s[38:39]
	v_add_u32_e32 v1, 0xffffff81, v51
	v_mov_b32_e32 v2, 0xffffff82
	v_cndmask_b32_e32 v1, v1, v2, vcc
	v_lshrrev_b32_e32 v2, 23, v8
	v_add3_u32 v7, v7, v1, v2
	v_add_u32_e32 v5, 6, v7
	v_and_b32_e32 v1, 0xfffff, v12
	v_add_u32_e32 v2, v1, v8
	v_cmp_ne_u32_e32 vcc, 0, v5
                                        ; implicit-def: $vgpr8_vgpr9
                                        ; implicit-def: $vgpr1
	s_and_saveexec_b64 s[28:29], vcc
	s_xor_b64 s[28:29], exec, s[28:29]
; %bb.3214:                             ;   in Loop: Header=BB4_2468 Depth=3
	v_cmp_lt_u64_e32 vcc, s[88:89], v[2:3]
	v_add_u32_e32 v1, 7, v7
	v_cndmask_b32_e32 v1, v5, v1, vcc
	v_cndmask_b32_e64 v5, 0, 1, vcc
	v_lshrrev_b64 v[8:9], v5, v[2:3]
; %bb.3215:                             ;   in Loop: Header=BB4_2468 Depth=3
	s_andn2_saveexec_b64 s[28:29], s[28:29]
; %bb.3216:                             ;   in Loop: Header=BB4_2468 Depth=3
	v_mov_b32_e32 v9, v3
	v_bfe_u32 v1, v2, 23, 1
	v_mov_b32_e32 v8, v2
; %bb.3217:                             ;   in Loop: Header=BB4_2468 Depth=3
	s_or_b64 exec, exec, s[28:29]
	v_lshrrev_b64 v[7:8], 20, v[8:9]
	v_cmp_gt_i32_e32 vcc, 16, v1
	v_cndmask_b32_e32 v8, 0, v8, vcc
	v_cndmask_b32_e32 v7, 7, v7, vcc
	v_cmp_eq_u32_e32 vcc, 0, v1
	v_min_i32_e32 v1, 15, v1
	v_cmp_eq_u64_e64 s[28:29], 0, v[7:8]
	v_lshlrev_b32_e32 v1, 3, v1
	v_and_b32_e32 v1, 0xf8, v1
	v_and_or_b32 v1, v7, 7, v1
	s_and_b64 s[28:29], vcc, s[28:29]
	v_cndmask_b32_e64 v1, v1, 0, s[28:29]
	v_or_b32_e32 v47, v1, v50
.LBB4_3218:                             ;   in Loop: Header=BB4_2468 Depth=3
	s_or_b64 exec, exec, s[36:37]
                                        ; implicit-def: $vgpr50
.LBB4_3219:                             ;   in Loop: Header=BB4_2468 Depth=3
	s_andn2_saveexec_b64 s[28:29], s[34:35]
; %bb.3220:                             ;   in Loop: Header=BB4_2468 Depth=3
	v_or_b32_e32 v47, 0x7e, v50
; %bb.3221:                             ;   in Loop: Header=BB4_2468 Depth=3
	s_or_b64 exec, exec, s[28:29]
                                        ; implicit-def: $vgpr7
.LBB4_3222:                             ;   in Loop: Header=BB4_2468 Depth=3
	s_andn2_saveexec_b64 s[28:29], s[30:31]
; %bb.3223:                             ;   in Loop: Header=BB4_2468 Depth=3
	v_or_b32_sdwa v47, v7, s71 dst_sel:DWORD dst_unused:UNUSED_PAD src0_sel:BYTE_3 src1_sel:DWORD
; %bb.3224:                             ;   in Loop: Header=BB4_2468 Depth=3
	s_or_b64 exec, exec, s[28:29]
	v_cmp_lt_u32_e32 vcc, s57, v14
	v_mov_b32_e32 v8, 0
	v_mov_b32_e32 v9, 0
	s_and_saveexec_b64 s[28:29], vcc
	s_cbranch_execz .LBB4_3230
; %bb.3225:                             ;   in Loop: Header=BB4_2468 Depth=3
	v_lshrrev_b32_e32 v2, 24, v14
	v_cmp_ne_u32_e32 vcc, s70, v2
	v_bfrev_b32_e32 v9, 1
	s_and_saveexec_b64 s[30:31], vcc
	s_cbranch_execz .LBB4_3229
; %bb.3226:                             ;   in Loop: Header=BB4_2468 Depth=3
	v_bfe_u32 v1, v14, 24, 7
	v_cmp_ne_u32_e32 vcc, s71, v1
	v_mov_b32_e32 v9, 0x7f800001
	s_and_saveexec_b64 s[34:35], vcc
	s_cbranch_execz .LBB4_3228
; %bb.3227:                             ;   in Loop: Header=BB4_2468 Depth=3
	v_and_b32_e32 v5, 7, v2
	v_lshrrev_b32_e32 v6, 3, v1
	v_cmp_gt_u32_e32 vcc, 8, v1
	v_ffbh_u32_e32 v1, v5
	v_min_u32_e32 v1, 32, v1
	v_subrev_u32_e32 v7, 28, v1
	v_lshlrev_b64 v[12:13], v7, v[2:3]
	v_sub_u32_e32 v1, 29, v1
	v_and_b32_e32 v7, 7, v12
	v_cndmask_b32_e32 v1, v6, v1, vcc
	v_cndmask_b32_e32 v5, v5, v7, vcc
	v_lshlrev_b32_e32 v2, 24, v2
	v_lshlrev_b32_e32 v5, 20, v5
	v_and_b32_e32 v2, 0x80000000, v2
	v_lshl_add_u32 v1, v1, 23, v0
	v_or3_b32 v9, v2, v1, v5
.LBB4_3228:                             ;   in Loop: Header=BB4_2468 Depth=3
	s_or_b64 exec, exec, s[34:35]
.LBB4_3229:                             ;   in Loop: Header=BB4_2468 Depth=3
	s_or_b64 exec, exec, s[30:31]
.LBB4_3230:                             ;   in Loop: Header=BB4_2468 Depth=3
	s_or_b64 exec, exec, s[28:29]
	v_cmp_lt_u32_e32 vcc, s57, v10
	s_and_saveexec_b64 s[28:29], vcc
	s_cbranch_execz .LBB4_3236
; %bb.3231:                             ;   in Loop: Header=BB4_2468 Depth=3
	v_lshrrev_b32_e32 v2, 24, v10
	v_cmp_ne_u32_e32 vcc, s70, v2
	v_bfrev_b32_e32 v8, 1
	s_and_saveexec_b64 s[30:31], vcc
	s_cbranch_execz .LBB4_3235
; %bb.3232:                             ;   in Loop: Header=BB4_2468 Depth=3
	v_bfe_u32 v1, v10, 24, 7
	v_cmp_ne_u32_e32 vcc, s71, v1
	v_mov_b32_e32 v8, 0x7f800001
	s_and_saveexec_b64 s[34:35], vcc
	s_cbranch_execz .LBB4_3234
; %bb.3233:                             ;   in Loop: Header=BB4_2468 Depth=3
	v_and_b32_e32 v5, 7, v2
	v_lshrrev_b32_e32 v6, 3, v1
	v_cmp_gt_u32_e32 vcc, 8, v1
	v_ffbh_u32_e32 v1, v5
	v_min_u32_e32 v1, 32, v1
	v_subrev_u32_e32 v7, 28, v1
	v_lshlrev_b64 v[7:8], v7, v[2:3]
	v_sub_u32_e32 v1, 29, v1
	v_and_b32_e32 v7, 7, v7
	v_cndmask_b32_e32 v1, v6, v1, vcc
	v_cndmask_b32_e32 v5, v5, v7, vcc
	v_lshlrev_b32_e32 v2, 24, v2
	v_lshlrev_b32_e32 v5, 20, v5
	v_and_b32_e32 v2, 0x80000000, v2
	v_lshl_add_u32 v1, v1, 23, v0
	v_or3_b32 v8, v2, v1, v5
.LBB4_3234:                             ;   in Loop: Header=BB4_2468 Depth=3
	s_or_b64 exec, exec, s[34:35]
.LBB4_3235:                             ;   in Loop: Header=BB4_2468 Depth=3
	s_or_b64 exec, exec, s[30:31]
.LBB4_3236:                             ;   in Loop: Header=BB4_2468 Depth=3
	s_or_b64 exec, exec, s[28:29]
	v_mul_f32_e32 v7, v9, v8
	v_and_b32_e32 v2, 0x7f800000, v7
	v_cmp_ne_u64_e32 vcc, s[62:63], v[2:3]
                                        ; implicit-def: $vgpr51
	s_and_saveexec_b64 s[28:29], vcc
	s_xor_b64 s[30:31], exec, s[28:29]
	s_cbranch_execz .LBB4_3250
; %bb.3237:                             ;   in Loop: Header=BB4_2468 Depth=3
	v_and_b32_e32 v2, 0x7fffffff, v7
	v_cmp_gt_u64_e32 vcc, s[72:73], v[2:3]
	v_and_b32_sdwa v50, v7, s70 dst_sel:DWORD dst_unused:UNUSED_PAD src0_sel:BYTE_3 src1_sel:DWORD
                                        ; implicit-def: $vgpr51
	s_and_saveexec_b64 s[28:29], vcc
	s_xor_b64 s[34:35], exec, s[28:29]
	s_cbranch_execz .LBB4_3247
; %bb.3238:                             ;   in Loop: Header=BB4_2468 Depth=3
	v_mov_b32_e32 v51, 0
	v_cmp_ne_u32_e32 vcc, 0, v7
	s_and_saveexec_b64 s[36:37], vcc
	s_cbranch_execz .LBB4_3246
; %bb.3239:                             ;   in Loop: Header=BB4_2468 Depth=3
	v_bfe_u32 v51, v7, 23, 8
	v_cmp_gt_u32_e64 s[28:29], s80, v51
	v_sub_u32_e32 v2, 0x79, v51
	v_and_b32_e32 v1, 0x7fffff, v7
	v_cmp_eq_u32_e32 vcc, 0, v51
	v_cndmask_b32_e64 v2, 0, v2, s[28:29]
	v_mov_b32_e32 v6, 0x78
	v_or_b32_e32 v5, 0x800000, v1
	v_cndmask_b32_e32 v7, v2, v6, vcc
	v_cndmask_b32_e32 v2, v5, v1, vcc
	v_add_u32_e32 v1, 20, v7
	v_lshlrev_b64 v[8:9], v1, -1
	v_add_u32_e32 v1, 19, v7
	v_lshlrev_b64 v[12:13], v1, 1
	v_bfi_b32 v9, v9, 0, 0
	v_bfi_b32 v8, v8, 0, v2
	v_cmp_eq_u64_e64 s[28:29], v[8:9], v[12:13]
	v_lshrrev_b64 v[8:9], v7, v[2:3]
	v_mov_b32_e32 v13, v9
	v_mov_b32_e32 v12, v8
	s_and_saveexec_b64 s[38:39], s[28:29]
; %bb.3240:                             ;   in Loop: Header=BB4_2468 Depth=3
	v_bfe_u32 v1, v8, 20, 1
	v_add_co_u32_e64 v1, s[28:29], v8, v1
	v_add_co_u32_e64 v12, s[28:29], -1, v1
; %bb.3241:                             ;   in Loop: Header=BB4_2468 Depth=3
	s_or_b64 exec, exec, s[38:39]
	v_add_u32_e32 v1, 0xffffff81, v51
	v_mov_b32_e32 v2, 0xffffff82
	v_cndmask_b32_e32 v1, v1, v2, vcc
	v_lshrrev_b32_e32 v2, 23, v8
	v_add3_u32 v7, v7, v1, v2
	v_add_u32_e32 v5, 6, v7
	v_and_b32_e32 v1, 0xfffff, v12
	v_add_u32_e32 v2, v1, v8
	v_cmp_ne_u32_e32 vcc, 0, v5
                                        ; implicit-def: $vgpr8_vgpr9
                                        ; implicit-def: $vgpr1
	s_and_saveexec_b64 s[28:29], vcc
	s_xor_b64 s[28:29], exec, s[28:29]
; %bb.3242:                             ;   in Loop: Header=BB4_2468 Depth=3
	v_cmp_lt_u64_e32 vcc, s[88:89], v[2:3]
	v_add_u32_e32 v1, 7, v7
	v_cndmask_b32_e32 v1, v5, v1, vcc
	v_cndmask_b32_e64 v5, 0, 1, vcc
	v_lshrrev_b64 v[8:9], v5, v[2:3]
; %bb.3243:                             ;   in Loop: Header=BB4_2468 Depth=3
	s_andn2_saveexec_b64 s[28:29], s[28:29]
; %bb.3244:                             ;   in Loop: Header=BB4_2468 Depth=3
	v_mov_b32_e32 v9, v3
	v_bfe_u32 v1, v2, 23, 1
	v_mov_b32_e32 v8, v2
; %bb.3245:                             ;   in Loop: Header=BB4_2468 Depth=3
	s_or_b64 exec, exec, s[28:29]
	v_lshrrev_b64 v[7:8], 20, v[8:9]
	v_cmp_gt_i32_e32 vcc, 16, v1
	v_cndmask_b32_e32 v8, 0, v8, vcc
	v_cndmask_b32_e32 v7, 7, v7, vcc
	v_cmp_eq_u32_e32 vcc, 0, v1
	v_min_i32_e32 v1, 15, v1
	v_cmp_eq_u64_e64 s[28:29], 0, v[7:8]
	v_lshlrev_b32_e32 v1, 3, v1
	v_and_b32_e32 v1, 0xf8, v1
	v_and_or_b32 v1, v7, 7, v1
	s_and_b64 s[28:29], vcc, s[28:29]
	v_cndmask_b32_e64 v1, v1, 0, s[28:29]
	v_or_b32_e32 v51, v1, v50
.LBB4_3246:                             ;   in Loop: Header=BB4_2468 Depth=3
	s_or_b64 exec, exec, s[36:37]
                                        ; implicit-def: $vgpr50
.LBB4_3247:                             ;   in Loop: Header=BB4_2468 Depth=3
	s_andn2_saveexec_b64 s[28:29], s[34:35]
; %bb.3248:                             ;   in Loop: Header=BB4_2468 Depth=3
	v_or_b32_e32 v51, 0x7e, v50
; %bb.3249:                             ;   in Loop: Header=BB4_2468 Depth=3
	s_or_b64 exec, exec, s[28:29]
                                        ; implicit-def: $vgpr7
.LBB4_3250:                             ;   in Loop: Header=BB4_2468 Depth=3
	s_andn2_saveexec_b64 s[28:29], s[30:31]
; %bb.3251:                             ;   in Loop: Header=BB4_2468 Depth=3
	v_or_b32_sdwa v51, v7, s71 dst_sel:DWORD dst_unused:UNUSED_PAD src0_sel:BYTE_3 src1_sel:DWORD
; %bb.3252:                             ;   in Loop: Header=BB4_2468 Depth=3
	s_or_b64 exec, exec, s[28:29]
	v_mov_b32_e32 v2, v15
	v_cmp_ne_u16_sdwa s[44:45], v15, v3 src0_sel:BYTE_0 src1_sel:DWORD
	v_mov_b32_e32 v9, 0
	v_mov_b32_e32 v8, 0
	s_and_saveexec_b64 s[28:29], s[44:45]
	s_cbranch_execz .LBB4_3258
; %bb.3253:                             ;   in Loop: Header=BB4_2468 Depth=3
	v_cmp_ne_u16_sdwa s[44:45], v15, s70 src0_sel:BYTE_0 src1_sel:DWORD
	v_bfrev_b32_e32 v8, 1
	s_and_saveexec_b64 s[30:31], s[44:45]
	s_cbranch_execz .LBB4_3257
; %bb.3254:                             ;   in Loop: Header=BB4_2468 Depth=3
	v_and_b32_e32 v1, 0x7f, v15
	v_cmp_ne_u32_e32 vcc, s71, v1
	v_mov_b32_e32 v8, 0x7f800001
	s_and_saveexec_b64 s[34:35], vcc
	s_cbranch_execz .LBB4_3256
; %bb.3255:                             ;   in Loop: Header=BB4_2468 Depth=3
	v_and_b32_e32 v5, 7, v15
	v_lshrrev_b32_e32 v6, 3, v1
	v_cmp_gt_u32_e32 vcc, 8, v1
	v_ffbh_u32_e32 v1, v5
	v_min_u32_e32 v1, 32, v1
	v_subrev_u32_e32 v5, 28, v1
	v_cndmask_b32_e32 v5, 0, v5, vcc
	v_lshlrev_b64 v[7:8], v5, v[2:3]
	v_sub_u32_e32 v1, 29, v1
	v_cndmask_b32_e32 v1, v6, v1, vcc
	v_lshlrev_b32_e32 v5, 20, v7
	v_lshlrev_b32_e32 v6, 24, v2
	v_and_b32_e32 v5, 0x700000, v5
	v_and_b32_e32 v6, 0x80000000, v6
	v_lshl_add_u32 v1, v1, 23, v0
	v_or3_b32 v8, v6, v1, v5
.LBB4_3256:                             ;   in Loop: Header=BB4_2468 Depth=3
	s_or_b64 exec, exec, s[34:35]
.LBB4_3257:                             ;   in Loop: Header=BB4_2468 Depth=3
	s_or_b64 exec, exec, s[30:31]
.LBB4_3258:                             ;   in Loop: Header=BB4_2468 Depth=3
	s_or_b64 exec, exec, s[28:29]
	v_cmp_ne_u16_sdwa s[44:45], v11, v3 src0_sel:BYTE_0 src1_sel:DWORD
	s_and_saveexec_b64 s[28:29], s[44:45]
	s_cbranch_execz .LBB4_3264
; %bb.3259:                             ;   in Loop: Header=BB4_2468 Depth=3
	v_cmp_ne_u16_sdwa s[44:45], v11, s70 src0_sel:BYTE_0 src1_sel:DWORD
	v_bfrev_b32_e32 v9, 1
	s_and_saveexec_b64 s[30:31], s[44:45]
	s_cbranch_execz .LBB4_3263
; %bb.3260:                             ;   in Loop: Header=BB4_2468 Depth=3
	v_and_b32_e32 v1, 0x7f, v11
	v_cmp_ne_u32_e32 vcc, s71, v1
	v_mov_b32_e32 v9, 0x7f800001
	s_and_saveexec_b64 s[34:35], vcc
	s_cbranch_execz .LBB4_3262
; %bb.3261:                             ;   in Loop: Header=BB4_2468 Depth=3
	v_and_b32_e32 v5, 7, v11
	v_lshrrev_b32_e32 v6, 3, v1
	v_cmp_gt_u32_e32 vcc, 8, v1
	v_ffbh_u32_e32 v1, v5
	v_min_u32_e32 v1, 32, v1
	v_subrev_u32_e32 v5, 28, v1
	v_mov_b32_e32 v12, v11
	v_mov_b32_e32 v13, v3
	v_cndmask_b32_e32 v5, 0, v5, vcc
	v_lshlrev_b64 v[43:44], v5, v[12:13]
	v_sub_u32_e32 v1, 29, v1
	v_cndmask_b32_e32 v1, v6, v1, vcc
	v_lshlrev_b32_e32 v5, 20, v43
	v_lshlrev_b32_e32 v6, 24, v12
	v_and_b32_e32 v5, 0x700000, v5
	v_and_b32_e32 v6, 0x80000000, v6
	v_lshl_add_u32 v1, v1, 23, v0
	v_or3_b32 v9, v6, v1, v5
.LBB4_3262:                             ;   in Loop: Header=BB4_2468 Depth=3
	s_or_b64 exec, exec, s[34:35]
.LBB4_3263:                             ;   in Loop: Header=BB4_2468 Depth=3
	s_or_b64 exec, exec, s[30:31]
.LBB4_3264:                             ;   in Loop: Header=BB4_2468 Depth=3
	s_or_b64 exec, exec, s[28:29]
	v_mul_f32_e32 v7, v8, v9
	v_and_b32_e32 v8, 0x7f800000, v7
	v_mov_b32_e32 v9, v3
	v_cmp_ne_u64_e32 vcc, s[62:63], v[8:9]
                                        ; implicit-def: $vgpr50
	s_and_saveexec_b64 s[28:29], vcc
	s_xor_b64 s[30:31], exec, s[28:29]
	s_cbranch_execz .LBB4_3278
; %bb.3265:                             ;   in Loop: Header=BB4_2468 Depth=3
	v_and_b32_e32 v8, 0x7fffffff, v7
	v_mov_b32_e32 v9, v3
	v_cmp_gt_u64_e32 vcc, s[72:73], v[8:9]
	v_and_b32_sdwa v43, v7, s70 dst_sel:DWORD dst_unused:UNUSED_PAD src0_sel:BYTE_3 src1_sel:DWORD
                                        ; implicit-def: $vgpr50
	s_and_saveexec_b64 s[28:29], vcc
	s_xor_b64 s[34:35], exec, s[28:29]
	s_cbranch_execz .LBB4_3275
; %bb.3266:                             ;   in Loop: Header=BB4_2468 Depth=3
	v_mov_b32_e32 v50, 0
	v_cmp_ne_u32_e32 vcc, 0, v7
	s_and_saveexec_b64 s[36:37], vcc
	s_cbranch_execz .LBB4_3274
; %bb.3267:                             ;   in Loop: Header=BB4_2468 Depth=3
	v_bfe_u32 v50, v7, 23, 8
	v_cmp_gt_u32_e64 s[28:29], s80, v50
	v_sub_u32_e32 v5, 0x79, v50
	v_and_b32_e32 v1, 0x7fffff, v7
	v_cmp_eq_u32_e32 vcc, 0, v50
	v_cndmask_b32_e64 v5, 0, v5, s[28:29]
	v_mov_b32_e32 v7, 0x78
	v_or_b32_e32 v6, 0x800000, v1
	v_cndmask_b32_e32 v7, v5, v7, vcc
	v_cndmask_b32_e32 v8, v6, v1, vcc
	v_add_u32_e32 v1, 20, v7
	v_lshlrev_b64 v[12:13], v1, -1
	v_mov_b32_e32 v9, v3
	v_add_u32_e32 v1, 19, v7
	v_bfi_b32 v12, v12, 0, v8
	v_lshlrev_b64 v[5:6], v1, 1
	v_lshrrev_b64 v[8:9], v7, v[8:9]
	v_bfi_b32 v13, v13, 0, 0
	v_cmp_eq_u64_e64 s[28:29], v[12:13], v[5:6]
	v_mov_b32_e32 v13, v9
	v_mov_b32_e32 v12, v8
	s_and_saveexec_b64 s[38:39], s[28:29]
; %bb.3268:                             ;   in Loop: Header=BB4_2468 Depth=3
	v_bfe_u32 v1, v8, 20, 1
	v_add_co_u32_e64 v1, s[28:29], v8, v1
	v_add_co_u32_e64 v12, s[28:29], -1, v1
; %bb.3269:                             ;   in Loop: Header=BB4_2468 Depth=3
	s_or_b64 exec, exec, s[38:39]
	v_add_u32_e32 v1, 0xffffff81, v50
	v_mov_b32_e32 v5, 0xffffff82
	v_cndmask_b32_e32 v1, v1, v5, vcc
	v_lshrrev_b32_e32 v5, 23, v8
	v_add3_u32 v7, v7, v1, v5
	v_add_u32_e32 v5, 6, v7
	v_and_b32_e32 v1, 0xfffff, v12
	v_add_u32_e32 v8, v1, v8
	v_mov_b32_e32 v9, v3
	v_cmp_ne_u32_e32 vcc, 0, v5
                                        ; implicit-def: $vgpr1
	s_and_saveexec_b64 s[28:29], vcc
	s_xor_b64 s[28:29], exec, s[28:29]
; %bb.3270:                             ;   in Loop: Header=BB4_2468 Depth=3
	v_cmp_lt_u64_e32 vcc, s[88:89], v[8:9]
	v_add_u32_e32 v1, 7, v7
	v_cndmask_b32_e32 v1, v5, v1, vcc
	v_cndmask_b32_e64 v5, 0, 1, vcc
	v_lshrrev_b64 v[8:9], v5, v[8:9]
; %bb.3271:                             ;   in Loop: Header=BB4_2468 Depth=3
	s_andn2_saveexec_b64 s[28:29], s[28:29]
; %bb.3272:                             ;   in Loop: Header=BB4_2468 Depth=3
	v_bfe_u32 v1, v8, 23, 1
; %bb.3273:                             ;   in Loop: Header=BB4_2468 Depth=3
	s_or_b64 exec, exec, s[28:29]
	v_lshrrev_b64 v[5:6], 20, v[8:9]
	v_cmp_gt_i32_e32 vcc, 16, v1
	v_cndmask_b32_e32 v6, 0, v6, vcc
	v_cndmask_b32_e32 v5, 7, v5, vcc
	v_cmp_eq_u32_e32 vcc, 0, v1
	v_min_i32_e32 v1, 15, v1
	v_cmp_eq_u64_e64 s[28:29], 0, v[5:6]
	v_lshlrev_b32_e32 v1, 3, v1
	v_and_b32_e32 v1, 0xf8, v1
	v_and_or_b32 v1, v5, 7, v1
	s_and_b64 s[28:29], vcc, s[28:29]
	v_cndmask_b32_e64 v1, v1, 0, s[28:29]
	v_or_b32_e32 v50, v1, v43
.LBB4_3274:                             ;   in Loop: Header=BB4_2468 Depth=3
	s_or_b64 exec, exec, s[36:37]
                                        ; implicit-def: $vgpr43
.LBB4_3275:                             ;   in Loop: Header=BB4_2468 Depth=3
	s_andn2_saveexec_b64 s[28:29], s[34:35]
; %bb.3276:                             ;   in Loop: Header=BB4_2468 Depth=3
	v_or_b32_e32 v50, 0x7e, v43
; %bb.3277:                             ;   in Loop: Header=BB4_2468 Depth=3
	s_or_b64 exec, exec, s[28:29]
                                        ; implicit-def: $vgpr7
.LBB4_3278:                             ;   in Loop: Header=BB4_2468 Depth=3
	s_andn2_saveexec_b64 s[28:29], s[30:31]
; %bb.3279:                             ;   in Loop: Header=BB4_2468 Depth=3
	v_or_b32_sdwa v50, v7, s71 dst_sel:DWORD dst_unused:UNUSED_PAD src0_sel:BYTE_3 src1_sel:DWORD
; %bb.3280:                             ;   in Loop: Header=BB4_2468 Depth=3
	s_or_b64 exec, exec, s[28:29]
	v_lshrrev_b16_e32 v8, 8, v2
	v_cmp_ne_u16_e32 vcc, 0, v8
	v_mov_b32_e32 v9, 0
	v_mov_b32_e32 v12, 0
	s_and_saveexec_b64 s[28:29], vcc
	s_cbranch_execz .LBB4_3286
; %bb.3281:                             ;   in Loop: Header=BB4_2468 Depth=3
	v_cmp_ne_u16_e32 vcc, s70, v8
	v_bfrev_b32_e32 v12, 1
	s_and_saveexec_b64 s[30:31], vcc
	s_cbranch_execz .LBB4_3285
; %bb.3282:                             ;   in Loop: Header=BB4_2468 Depth=3
	v_and_b32_e32 v1, 0x7f, v8
	v_cmp_ne_u32_e32 vcc, s71, v1
	v_mov_b32_e32 v12, 0x7f800001
	s_and_saveexec_b64 s[34:35], vcc
	s_cbranch_execz .LBB4_3284
; %bb.3283:                             ;   in Loop: Header=BB4_2468 Depth=3
	v_and_b32_e32 v7, 7, v8
	v_lshrrev_b32_e32 v12, 3, v1
	v_cmp_gt_u32_e32 vcc, 8, v1
	v_ffbh_u32_e32 v1, v7
	v_min_u32_e32 v1, 32, v1
	v_subrev_u32_e32 v5, 28, v1
	v_lshlrev_b64 v[5:6], v5, v[8:9]
	v_sub_u32_e32 v1, 29, v1
	v_and_b32_e32 v5, 7, v5
	v_cndmask_b32_e32 v1, v12, v1, vcc
	v_cndmask_b32_e32 v5, v7, v5, vcc
	v_lshlrev_b32_e32 v2, 16, v2
	v_lshlrev_b32_e32 v5, 20, v5
	v_and_b32_e32 v2, 0x80000000, v2
	v_lshl_add_u32 v1, v1, 23, v0
	v_or3_b32 v12, v2, v1, v5
.LBB4_3284:                             ;   in Loop: Header=BB4_2468 Depth=3
	s_or_b64 exec, exec, s[34:35]
.LBB4_3285:                             ;   in Loop: Header=BB4_2468 Depth=3
	s_or_b64 exec, exec, s[30:31]
.LBB4_3286:                             ;   in Loop: Header=BB4_2468 Depth=3
	s_or_b64 exec, exec, s[28:29]
	v_lshrrev_b16_e32 v2, 8, v11
	v_cmp_ne_u16_e32 vcc, 0, v2
	s_and_saveexec_b64 s[28:29], vcc
	s_cbranch_execz .LBB4_3292
; %bb.3287:                             ;   in Loop: Header=BB4_2468 Depth=3
	v_cmp_ne_u16_e32 vcc, s70, v2
	v_bfrev_b32_e32 v9, 1
	s_and_saveexec_b64 s[30:31], vcc
	s_cbranch_execz .LBB4_3291
; %bb.3288:                             ;   in Loop: Header=BB4_2468 Depth=3
	v_and_b32_e32 v1, 0x7f, v2
	v_cmp_ne_u32_e32 vcc, s71, v1
	v_mov_b32_e32 v9, 0x7f800001
	s_and_saveexec_b64 s[34:35], vcc
	s_cbranch_execz .LBB4_3290
; %bb.3289:                             ;   in Loop: Header=BB4_2468 Depth=3
	v_and_b32_e32 v5, 7, v2
	v_lshrrev_b32_e32 v6, 3, v1
	v_cmp_gt_u32_e32 vcc, 8, v1
	v_ffbh_u32_e32 v1, v5
	v_min_u32_e32 v7, 32, v1
	v_subrev_u32_e32 v1, 28, v7
	v_lshlrev_b64 v[1:2], v1, v[2:3]
	v_sub_u32_e32 v2, 29, v7
	v_and_b32_e32 v1, 7, v1
	v_cndmask_b32_e32 v2, v6, v2, vcc
	v_cndmask_b32_e32 v1, v5, v1, vcc
	v_lshlrev_b32_e32 v5, 16, v11
	v_lshlrev_b32_e32 v1, 20, v1
	v_and_b32_e32 v5, 0x80000000, v5
	v_lshl_add_u32 v2, v2, 23, v0
	v_or3_b32 v9, v5, v2, v1
.LBB4_3290:                             ;   in Loop: Header=BB4_2468 Depth=3
	s_or_b64 exec, exec, s[34:35]
.LBB4_3291:                             ;   in Loop: Header=BB4_2468 Depth=3
	s_or_b64 exec, exec, s[30:31]
.LBB4_3292:                             ;   in Loop: Header=BB4_2468 Depth=3
	s_or_b64 exec, exec, s[28:29]
	v_mul_f32_e32 v7, v12, v9
	v_and_b32_e32 v2, 0x7f800000, v7
	v_cmp_ne_u64_e32 vcc, s[62:63], v[2:3]
                                        ; implicit-def: $vgpr43
	s_and_saveexec_b64 s[28:29], vcc
	s_xor_b64 s[30:31], exec, s[28:29]
	s_cbranch_execz .LBB4_3306
; %bb.3293:                             ;   in Loop: Header=BB4_2468 Depth=3
	v_and_b32_e32 v2, 0x7fffffff, v7
	v_cmp_gt_u64_e32 vcc, s[72:73], v[2:3]
	v_and_b32_sdwa v44, v7, s70 dst_sel:DWORD dst_unused:UNUSED_PAD src0_sel:BYTE_3 src1_sel:DWORD
                                        ; implicit-def: $vgpr43
	s_and_saveexec_b64 s[28:29], vcc
	s_xor_b64 s[34:35], exec, s[28:29]
	s_cbranch_execz .LBB4_3303
; %bb.3294:                             ;   in Loop: Header=BB4_2468 Depth=3
	v_mov_b32_e32 v43, 0
	v_cmp_ne_u32_e32 vcc, 0, v7
	s_and_saveexec_b64 s[36:37], vcc
	s_cbranch_execz .LBB4_3302
; %bb.3295:                             ;   in Loop: Header=BB4_2468 Depth=3
	v_bfe_u32 v43, v7, 23, 8
	v_cmp_gt_u32_e64 s[28:29], s80, v43
	v_sub_u32_e32 v2, 0x79, v43
	v_and_b32_e32 v1, 0x7fffff, v7
	v_cmp_eq_u32_e32 vcc, 0, v43
	v_cndmask_b32_e64 v2, 0, v2, s[28:29]
	v_mov_b32_e32 v6, 0x78
	v_or_b32_e32 v5, 0x800000, v1
	v_cndmask_b32_e32 v7, v2, v6, vcc
	v_cndmask_b32_e32 v2, v5, v1, vcc
	v_add_u32_e32 v1, 20, v7
	v_lshlrev_b64 v[5:6], v1, -1
	v_add_u32_e32 v1, 19, v7
	v_lshlrev_b64 v[8:9], v1, 1
	v_bfi_b32 v6, v6, 0, 0
	v_bfi_b32 v5, v5, 0, v2
	v_cmp_eq_u64_e64 s[28:29], v[5:6], v[8:9]
	v_lshrrev_b64 v[8:9], v7, v[2:3]
	v_mov_b32_e32 v13, v9
	v_mov_b32_e32 v12, v8
	s_and_saveexec_b64 s[38:39], s[28:29]
; %bb.3296:                             ;   in Loop: Header=BB4_2468 Depth=3
	v_bfe_u32 v1, v8, 20, 1
	v_add_co_u32_e64 v1, s[28:29], v8, v1
	v_add_co_u32_e64 v12, s[28:29], -1, v1
; %bb.3297:                             ;   in Loop: Header=BB4_2468 Depth=3
	s_or_b64 exec, exec, s[38:39]
	v_add_u32_e32 v1, 0xffffff81, v43
	v_mov_b32_e32 v2, 0xffffff82
	v_cndmask_b32_e32 v1, v1, v2, vcc
	v_lshrrev_b32_e32 v2, 23, v8
	v_add3_u32 v7, v7, v1, v2
	v_add_u32_e32 v5, 6, v7
	v_and_b32_e32 v1, 0xfffff, v12
	v_add_u32_e32 v2, v1, v8
	v_cmp_ne_u32_e32 vcc, 0, v5
                                        ; implicit-def: $vgpr8_vgpr9
                                        ; implicit-def: $vgpr1
	s_and_saveexec_b64 s[28:29], vcc
	s_xor_b64 s[28:29], exec, s[28:29]
; %bb.3298:                             ;   in Loop: Header=BB4_2468 Depth=3
	v_cmp_lt_u64_e32 vcc, s[88:89], v[2:3]
	v_add_u32_e32 v1, 7, v7
	v_cndmask_b32_e32 v1, v5, v1, vcc
	v_cndmask_b32_e64 v5, 0, 1, vcc
	v_lshrrev_b64 v[8:9], v5, v[2:3]
; %bb.3299:                             ;   in Loop: Header=BB4_2468 Depth=3
	s_andn2_saveexec_b64 s[28:29], s[28:29]
; %bb.3300:                             ;   in Loop: Header=BB4_2468 Depth=3
	v_mov_b32_e32 v9, v3
	v_bfe_u32 v1, v2, 23, 1
	v_mov_b32_e32 v8, v2
; %bb.3301:                             ;   in Loop: Header=BB4_2468 Depth=3
	s_or_b64 exec, exec, s[28:29]
	v_lshrrev_b64 v[5:6], 20, v[8:9]
	v_cmp_gt_i32_e32 vcc, 16, v1
	v_cndmask_b32_e32 v6, 0, v6, vcc
	v_cndmask_b32_e32 v5, 7, v5, vcc
	v_cmp_eq_u32_e32 vcc, 0, v1
	v_min_i32_e32 v1, 15, v1
	v_cmp_eq_u64_e64 s[28:29], 0, v[5:6]
	v_lshlrev_b32_e32 v1, 3, v1
	v_and_b32_e32 v1, 0xf8, v1
	v_and_or_b32 v1, v5, 7, v1
	s_and_b64 s[28:29], vcc, s[28:29]
	v_cndmask_b32_e64 v1, v1, 0, s[28:29]
	v_or_b32_e32 v43, v1, v44
.LBB4_3302:                             ;   in Loop: Header=BB4_2468 Depth=3
	s_or_b64 exec, exec, s[36:37]
                                        ; implicit-def: $vgpr44
.LBB4_3303:                             ;   in Loop: Header=BB4_2468 Depth=3
	s_andn2_saveexec_b64 s[28:29], s[34:35]
; %bb.3304:                             ;   in Loop: Header=BB4_2468 Depth=3
	v_or_b32_e32 v43, 0x7e, v44
; %bb.3305:                             ;   in Loop: Header=BB4_2468 Depth=3
	s_or_b64 exec, exec, s[28:29]
                                        ; implicit-def: $vgpr7
.LBB4_3306:                             ;   in Loop: Header=BB4_2468 Depth=3
	s_andn2_saveexec_b64 s[28:29], s[30:31]
; %bb.3307:                             ;   in Loop: Header=BB4_2468 Depth=3
	v_or_b32_sdwa v43, v7, s71 dst_sel:DWORD dst_unused:UNUSED_PAD src0_sel:BYTE_3 src1_sel:DWORD
; %bb.3308:                             ;   in Loop: Header=BB4_2468 Depth=3
	s_or_b64 exec, exec, s[28:29]
	v_lshrrev_b32_e32 v2, 16, v15
	v_cmp_ne_u16_sdwa s[44:45], v2, v3 src0_sel:BYTE_0 src1_sel:DWORD
	v_mov_b32_e32 v8, 0
	v_mov_b32_e32 v9, 0
	s_and_saveexec_b64 s[28:29], s[44:45]
	s_cbranch_execz .LBB4_3314
; %bb.3309:                             ;   in Loop: Header=BB4_2468 Depth=3
	v_cmp_ne_u16_sdwa s[44:45], v2, s70 src0_sel:BYTE_0 src1_sel:DWORD
	v_bfrev_b32_e32 v9, 1
	s_and_saveexec_b64 s[30:31], s[44:45]
	s_cbranch_execz .LBB4_3313
; %bb.3310:                             ;   in Loop: Header=BB4_2468 Depth=3
	v_bfe_u32 v1, v15, 16, 7
	v_cmp_ne_u32_e32 vcc, s71, v1
	v_mov_b32_e32 v9, 0x7f800001
	s_and_saveexec_b64 s[34:35], vcc
	s_cbranch_execz .LBB4_3312
; %bb.3311:                             ;   in Loop: Header=BB4_2468 Depth=3
	v_and_b32_e32 v7, 7, v2
	v_lshrrev_b32_e32 v9, 3, v1
	v_cmp_gt_u32_e32 vcc, 8, v1
	v_ffbh_u32_e32 v1, v7
	v_min_u32_e32 v1, 32, v1
	v_subrev_u32_e32 v5, 28, v1
	v_lshlrev_b64 v[5:6], v5, v[2:3]
	v_sub_u32_e32 v1, 29, v1
	v_and_b32_e32 v5, 7, v5
	v_cndmask_b32_e32 v1, v9, v1, vcc
	v_cndmask_b32_e32 v5, v7, v5, vcc
	v_lshlrev_b32_e32 v2, 24, v2
	v_lshlrev_b32_e32 v5, 20, v5
	v_and_b32_e32 v2, 0x80000000, v2
	v_lshl_add_u32 v1, v1, 23, v0
	v_or3_b32 v9, v2, v1, v5
.LBB4_3312:                             ;   in Loop: Header=BB4_2468 Depth=3
	s_or_b64 exec, exec, s[34:35]
.LBB4_3313:                             ;   in Loop: Header=BB4_2468 Depth=3
	s_or_b64 exec, exec, s[30:31]
.LBB4_3314:                             ;   in Loop: Header=BB4_2468 Depth=3
	s_or_b64 exec, exec, s[28:29]
	v_lshrrev_b32_e32 v2, 16, v11
	v_cmp_ne_u16_sdwa s[44:45], v2, v3 src0_sel:BYTE_0 src1_sel:DWORD
	s_and_saveexec_b64 s[28:29], s[44:45]
	s_cbranch_execz .LBB4_3320
; %bb.3315:                             ;   in Loop: Header=BB4_2468 Depth=3
	v_cmp_ne_u16_sdwa s[44:45], v2, s70 src0_sel:BYTE_0 src1_sel:DWORD
	v_bfrev_b32_e32 v8, 1
	s_and_saveexec_b64 s[30:31], s[44:45]
	s_cbranch_execz .LBB4_3319
; %bb.3316:                             ;   in Loop: Header=BB4_2468 Depth=3
	v_bfe_u32 v1, v11, 16, 7
	v_cmp_ne_u32_e32 vcc, s71, v1
	v_mov_b32_e32 v8, 0x7f800001
	s_and_saveexec_b64 s[34:35], vcc
	s_cbranch_execz .LBB4_3318
; %bb.3317:                             ;   in Loop: Header=BB4_2468 Depth=3
	v_and_b32_e32 v5, 7, v2
	v_lshrrev_b32_e32 v6, 3, v1
	v_cmp_gt_u32_e32 vcc, 8, v1
	v_ffbh_u32_e32 v1, v5
	v_min_u32_e32 v7, 32, v1
	v_subrev_u32_e32 v1, 28, v7
	v_lshlrev_b64 v[1:2], v1, v[2:3]
	v_sub_u32_e32 v2, 29, v7
	v_and_b32_e32 v1, 7, v1
	v_cndmask_b32_e32 v2, v6, v2, vcc
	v_cndmask_b32_e32 v1, v5, v1, vcc
	v_lshlrev_b32_e32 v5, 8, v11
	v_lshlrev_b32_e32 v1, 20, v1
	v_and_b32_e32 v5, 0x80000000, v5
	v_lshl_add_u32 v2, v2, 23, v0
	v_or3_b32 v8, v5, v2, v1
.LBB4_3318:                             ;   in Loop: Header=BB4_2468 Depth=3
	s_or_b64 exec, exec, s[34:35]
.LBB4_3319:                             ;   in Loop: Header=BB4_2468 Depth=3
	s_or_b64 exec, exec, s[30:31]
.LBB4_3320:                             ;   in Loop: Header=BB4_2468 Depth=3
	s_or_b64 exec, exec, s[28:29]
	v_mul_f32_e32 v7, v9, v8
	v_and_b32_e32 v2, 0x7f800000, v7
	v_cmp_ne_u64_e32 vcc, s[62:63], v[2:3]
                                        ; implicit-def: $vgpr12
	s_and_saveexec_b64 s[28:29], vcc
	s_xor_b64 s[30:31], exec, s[28:29]
	s_cbranch_execz .LBB4_3334
; %bb.3321:                             ;   in Loop: Header=BB4_2468 Depth=3
	v_and_b32_e32 v2, 0x7fffffff, v7
	v_cmp_gt_u64_e32 vcc, s[72:73], v[2:3]
	v_and_b32_sdwa v44, v7, s70 dst_sel:DWORD dst_unused:UNUSED_PAD src0_sel:BYTE_3 src1_sel:DWORD
                                        ; implicit-def: $vgpr12
	s_and_saveexec_b64 s[28:29], vcc
	s_xor_b64 s[34:35], exec, s[28:29]
	s_cbranch_execz .LBB4_3331
; %bb.3322:                             ;   in Loop: Header=BB4_2468 Depth=3
	v_mov_b32_e32 v12, 0
	v_cmp_ne_u32_e32 vcc, 0, v7
	s_and_saveexec_b64 s[36:37], vcc
	s_cbranch_execz .LBB4_3330
; %bb.3323:                             ;   in Loop: Header=BB4_2468 Depth=3
	v_and_b32_e32 v1, 0x7fffff, v7
	v_bfe_u32 v7, v7, 23, 8
	v_cmp_gt_u32_e64 s[28:29], s80, v7
	v_sub_u32_e32 v2, 0x79, v7
	v_cmp_eq_u32_e32 vcc, 0, v7
	v_cndmask_b32_e64 v2, 0, v2, s[28:29]
	v_mov_b32_e32 v5, 0x78
	v_or_b32_e32 v6, 0x800000, v1
	v_cndmask_b32_e32 v5, v2, v5, vcc
	v_cndmask_b32_e32 v2, v6, v1, vcc
	v_add_u32_e32 v1, 20, v5
	v_lshlrev_b64 v[8:9], v1, -1
	v_add_u32_e32 v1, 19, v5
	v_lshlrev_b64 v[12:13], v1, 1
	v_bfi_b32 v9, v9, 0, 0
	v_bfi_b32 v8, v8, 0, v2
	v_cmp_eq_u64_e64 s[28:29], v[8:9], v[12:13]
	v_lshrrev_b64 v[8:9], v5, v[2:3]
	v_mov_b32_e32 v13, v9
	v_mov_b32_e32 v12, v8
	s_and_saveexec_b64 s[38:39], s[28:29]
; %bb.3324:                             ;   in Loop: Header=BB4_2468 Depth=3
	v_bfe_u32 v1, v8, 20, 1
	v_add_co_u32_e64 v1, s[28:29], v8, v1
	v_add_co_u32_e64 v12, s[28:29], -1, v1
; %bb.3325:                             ;   in Loop: Header=BB4_2468 Depth=3
	s_or_b64 exec, exec, s[38:39]
	v_add_u32_e32 v1, 0xffffff81, v7
	v_mov_b32_e32 v2, 0xffffff82
	v_cndmask_b32_e32 v1, v1, v2, vcc
	v_lshrrev_b32_e32 v2, 23, v8
	v_add3_u32 v7, v5, v1, v2
	v_add_u32_e32 v5, 6, v7
	v_and_b32_e32 v1, 0xfffff, v12
	v_add_u32_e32 v2, v1, v8
	v_cmp_ne_u32_e32 vcc, 0, v5
                                        ; implicit-def: $vgpr8_vgpr9
                                        ; implicit-def: $vgpr1
	s_and_saveexec_b64 s[28:29], vcc
	s_xor_b64 s[28:29], exec, s[28:29]
; %bb.3326:                             ;   in Loop: Header=BB4_2468 Depth=3
	v_cmp_lt_u64_e32 vcc, s[88:89], v[2:3]
	v_add_u32_e32 v1, 7, v7
	v_cndmask_b32_e32 v1, v5, v1, vcc
	v_cndmask_b32_e64 v5, 0, 1, vcc
	v_lshrrev_b64 v[8:9], v5, v[2:3]
; %bb.3327:                             ;   in Loop: Header=BB4_2468 Depth=3
	s_andn2_saveexec_b64 s[28:29], s[28:29]
; %bb.3328:                             ;   in Loop: Header=BB4_2468 Depth=3
	v_mov_b32_e32 v9, v3
	v_bfe_u32 v1, v2, 23, 1
	v_mov_b32_e32 v8, v2
; %bb.3329:                             ;   in Loop: Header=BB4_2468 Depth=3
	s_or_b64 exec, exec, s[28:29]
	v_lshrrev_b64 v[5:6], 20, v[8:9]
	v_cmp_gt_i32_e32 vcc, 16, v1
	v_cndmask_b32_e32 v6, 0, v6, vcc
	v_cndmask_b32_e32 v5, 7, v5, vcc
	v_cmp_eq_u32_e32 vcc, 0, v1
	v_min_i32_e32 v1, 15, v1
	v_cmp_eq_u64_e64 s[28:29], 0, v[5:6]
	v_lshlrev_b32_e32 v1, 3, v1
	v_and_b32_e32 v1, 0xf8, v1
	v_and_or_b32 v1, v5, 7, v1
	s_and_b64 s[28:29], vcc, s[28:29]
	v_cndmask_b32_e64 v1, v1, 0, s[28:29]
	v_or_b32_e32 v12, v1, v44
.LBB4_3330:                             ;   in Loop: Header=BB4_2468 Depth=3
	s_or_b64 exec, exec, s[36:37]
                                        ; implicit-def: $vgpr44
.LBB4_3331:                             ;   in Loop: Header=BB4_2468 Depth=3
	s_andn2_saveexec_b64 s[28:29], s[34:35]
; %bb.3332:                             ;   in Loop: Header=BB4_2468 Depth=3
	v_or_b32_e32 v12, 0x7e, v44
; %bb.3333:                             ;   in Loop: Header=BB4_2468 Depth=3
	s_or_b64 exec, exec, s[28:29]
                                        ; implicit-def: $vgpr7
.LBB4_3334:                             ;   in Loop: Header=BB4_2468 Depth=3
	s_andn2_saveexec_b64 s[28:29], s[30:31]
; %bb.3335:                             ;   in Loop: Header=BB4_2468 Depth=3
	v_or_b32_sdwa v12, v7, s71 dst_sel:DWORD dst_unused:UNUSED_PAD src0_sel:BYTE_3 src1_sel:DWORD
; %bb.3336:                             ;   in Loop: Header=BB4_2468 Depth=3
	s_or_b64 exec, exec, s[28:29]
	v_cmp_lt_u64_e32 vcc, s[56:57], v[14:15]
	v_mov_b32_e32 v8, 0
	v_mov_b32_e32 v9, 0
	s_and_saveexec_b64 s[28:29], vcc
	s_cbranch_execz .LBB4_3342
; %bb.3337:                             ;   in Loop: Header=BB4_2468 Depth=3
	v_lshrrev_b32_e32 v2, 24, v15
	v_cmp_ne_u32_e32 vcc, s70, v2
	v_bfrev_b32_e32 v9, 1
	s_and_saveexec_b64 s[30:31], vcc
	s_cbranch_execz .LBB4_3341
; %bb.3338:                             ;   in Loop: Header=BB4_2468 Depth=3
	v_bfe_u32 v1, v15, 24, 7
	v_cmp_ne_u32_e32 vcc, s71, v1
	v_mov_b32_e32 v9, 0x7f800001
	s_and_saveexec_b64 s[34:35], vcc
	s_cbranch_execz .LBB4_3340
; %bb.3339:                             ;   in Loop: Header=BB4_2468 Depth=3
	v_and_b32_e32 v7, 7, v2
	v_lshrrev_b32_e32 v9, 3, v1
	v_cmp_gt_u32_e32 vcc, 8, v1
	v_ffbh_u32_e32 v1, v7
	v_min_u32_e32 v1, 32, v1
	v_subrev_u32_e32 v5, 28, v1
	v_lshlrev_b64 v[5:6], v5, v[2:3]
	v_sub_u32_e32 v1, 29, v1
	v_and_b32_e32 v5, 7, v5
	v_cndmask_b32_e32 v1, v9, v1, vcc
	v_cndmask_b32_e32 v5, v7, v5, vcc
	v_lshlrev_b32_e32 v2, 24, v2
	v_lshlrev_b32_e32 v5, 20, v5
	v_and_b32_e32 v2, 0x80000000, v2
	v_lshl_add_u32 v1, v1, 23, v0
	v_or3_b32 v9, v2, v1, v5
.LBB4_3340:                             ;   in Loop: Header=BB4_2468 Depth=3
	s_or_b64 exec, exec, s[34:35]
.LBB4_3341:                             ;   in Loop: Header=BB4_2468 Depth=3
	s_or_b64 exec, exec, s[30:31]
.LBB4_3342:                             ;   in Loop: Header=BB4_2468 Depth=3
	s_or_b64 exec, exec, s[28:29]
	v_cmp_lt_u64_e32 vcc, s[56:57], v[10:11]
	s_and_saveexec_b64 s[28:29], vcc
	s_cbranch_execz .LBB4_3348
; %bb.3343:                             ;   in Loop: Header=BB4_2468 Depth=3
	v_lshrrev_b32_e32 v2, 24, v11
	v_cmp_ne_u32_e32 vcc, s70, v2
	v_bfrev_b32_e32 v8, 1
	s_and_saveexec_b64 s[30:31], vcc
	s_cbranch_execz .LBB4_3347
; %bb.3344:                             ;   in Loop: Header=BB4_2468 Depth=3
	v_bfe_u32 v1, v11, 24, 7
	v_cmp_ne_u32_e32 vcc, s71, v1
	v_mov_b32_e32 v8, 0x7f800001
	s_and_saveexec_b64 s[34:35], vcc
	s_cbranch_execz .LBB4_3346
; %bb.3345:                             ;   in Loop: Header=BB4_2468 Depth=3
	v_and_b32_e32 v7, 7, v2
	v_lshrrev_b32_e32 v8, 3, v1
	v_cmp_gt_u32_e32 vcc, 8, v1
	v_ffbh_u32_e32 v1, v7
	v_min_u32_e32 v1, 32, v1
	v_subrev_u32_e32 v5, 28, v1
	v_lshlrev_b64 v[5:6], v5, v[2:3]
	v_sub_u32_e32 v1, 29, v1
	v_and_b32_e32 v5, 7, v5
	v_cndmask_b32_e32 v1, v8, v1, vcc
	v_cndmask_b32_e32 v5, v7, v5, vcc
	v_lshlrev_b32_e32 v2, 24, v2
	v_lshlrev_b32_e32 v5, 20, v5
	v_and_b32_e32 v2, 0x80000000, v2
	v_lshl_add_u32 v1, v1, 23, v0
	v_or3_b32 v8, v2, v1, v5
.LBB4_3346:                             ;   in Loop: Header=BB4_2468 Depth=3
	s_or_b64 exec, exec, s[34:35]
.LBB4_3347:                             ;   in Loop: Header=BB4_2468 Depth=3
	s_or_b64 exec, exec, s[30:31]
.LBB4_3348:                             ;   in Loop: Header=BB4_2468 Depth=3
	s_or_b64 exec, exec, s[28:29]
	v_mul_f32_e32 v7, v9, v8
	v_and_b32_e32 v2, 0x7f800000, v7
	v_cmp_ne_u64_e32 vcc, s[62:63], v[2:3]
                                        ; implicit-def: $vgpr2
	s_and_saveexec_b64 s[28:29], vcc
	s_xor_b64 s[30:31], exec, s[28:29]
	s_cbranch_execz .LBB4_3362
; %bb.3349:                             ;   in Loop: Header=BB4_2468 Depth=3
	v_and_b32_e32 v2, 0x7fffffff, v7
	v_cmp_gt_u64_e32 vcc, s[72:73], v[2:3]
	v_and_b32_sdwa v11, v7, s70 dst_sel:DWORD dst_unused:UNUSED_PAD src0_sel:BYTE_3 src1_sel:DWORD
                                        ; implicit-def: $vgpr2
	s_and_saveexec_b64 s[28:29], vcc
	s_xor_b64 s[34:35], exec, s[28:29]
	s_cbranch_execz .LBB4_3359
; %bb.3350:                             ;   in Loop: Header=BB4_2468 Depth=3
	v_mov_b32_e32 v2, 0
	v_cmp_ne_u32_e32 vcc, 0, v7
	s_and_saveexec_b64 s[36:37], vcc
	s_cbranch_execz .LBB4_3358
; %bb.3351:                             ;   in Loop: Header=BB4_2468 Depth=3
	v_and_b32_e32 v1, 0x7fffff, v7
	v_bfe_u32 v7, v7, 23, 8
	v_cmp_gt_u32_e64 s[28:29], s80, v7
	v_sub_u32_e32 v2, 0x79, v7
	v_cmp_eq_u32_e32 vcc, 0, v7
	v_cndmask_b32_e64 v2, 0, v2, s[28:29]
	v_mov_b32_e32 v5, 0x78
	v_or_b32_e32 v6, 0x800000, v1
	v_cndmask_b32_e32 v5, v2, v5, vcc
	v_cndmask_b32_e32 v2, v6, v1, vcc
	v_add_u32_e32 v1, 20, v5
	v_lshlrev_b64 v[8:9], v1, -1
	v_add_u32_e32 v1, 19, v5
	v_lshlrev_b64 v[13:14], v1, 1
	v_bfi_b32 v9, v9, 0, 0
	v_bfi_b32 v8, v8, 0, v2
	v_cmp_eq_u64_e64 s[28:29], v[8:9], v[13:14]
	v_lshrrev_b64 v[8:9], v5, v[2:3]
	v_mov_b32_e32 v10, v9
	v_mov_b32_e32 v9, v8
	s_and_saveexec_b64 s[38:39], s[28:29]
; %bb.3352:                             ;   in Loop: Header=BB4_2468 Depth=3
	v_bfe_u32 v1, v8, 20, 1
	v_add_co_u32_e64 v1, s[28:29], v8, v1
	v_add_co_u32_e64 v9, s[28:29], -1, v1
; %bb.3353:                             ;   in Loop: Header=BB4_2468 Depth=3
	s_or_b64 exec, exec, s[38:39]
	v_add_u32_e32 v1, 0xffffff81, v7
	v_mov_b32_e32 v2, 0xffffff82
	v_cndmask_b32_e32 v1, v1, v2, vcc
	v_lshrrev_b32_e32 v2, 23, v8
	v_add3_u32 v7, v5, v1, v2
	v_add_u32_e32 v5, 6, v7
	v_and_b32_e32 v1, 0xfffff, v9
	v_add_u32_e32 v2, v1, v8
	v_cmp_ne_u32_e32 vcc, 0, v5
                                        ; implicit-def: $vgpr8_vgpr9
                                        ; implicit-def: $vgpr1
	s_and_saveexec_b64 s[28:29], vcc
	s_xor_b64 s[28:29], exec, s[28:29]
; %bb.3354:                             ;   in Loop: Header=BB4_2468 Depth=3
	v_cmp_lt_u64_e32 vcc, s[88:89], v[2:3]
	v_add_u32_e32 v1, 7, v7
	v_cndmask_b32_e32 v1, v5, v1, vcc
	v_cndmask_b32_e64 v5, 0, 1, vcc
	v_lshrrev_b64 v[8:9], v5, v[2:3]
; %bb.3355:                             ;   in Loop: Header=BB4_2468 Depth=3
	s_andn2_saveexec_b64 s[28:29], s[28:29]
; %bb.3356:                             ;   in Loop: Header=BB4_2468 Depth=3
	v_mov_b32_e32 v9, v3
	v_bfe_u32 v1, v2, 23, 1
	v_mov_b32_e32 v8, v2
; %bb.3357:                             ;   in Loop: Header=BB4_2468 Depth=3
	s_or_b64 exec, exec, s[28:29]
	v_lshrrev_b64 v[5:6], 20, v[8:9]
	v_cmp_gt_i32_e32 vcc, 16, v1
	v_cndmask_b32_e32 v6, 0, v6, vcc
	v_cndmask_b32_e32 v5, 7, v5, vcc
	v_cmp_eq_u32_e32 vcc, 0, v1
	v_min_i32_e32 v1, 15, v1
	v_cmp_eq_u64_e64 s[28:29], 0, v[5:6]
	v_lshlrev_b32_e32 v1, 3, v1
	v_and_b32_e32 v1, 0xf8, v1
	v_and_or_b32 v1, v5, 7, v1
	s_and_b64 s[28:29], vcc, s[28:29]
	v_cndmask_b32_e64 v1, v1, 0, s[28:29]
	v_or_b32_e32 v2, v1, v11
.LBB4_3358:                             ;   in Loop: Header=BB4_2468 Depth=3
	s_or_b64 exec, exec, s[36:37]
                                        ; implicit-def: $vgpr11
.LBB4_3359:                             ;   in Loop: Header=BB4_2468 Depth=3
	s_andn2_saveexec_b64 s[28:29], s[34:35]
; %bb.3360:                             ;   in Loop: Header=BB4_2468 Depth=3
	v_or_b32_e32 v2, 0x7e, v11
; %bb.3361:                             ;   in Loop: Header=BB4_2468 Depth=3
	s_or_b64 exec, exec, s[28:29]
                                        ; implicit-def: $vgpr7
.LBB4_3362:                             ;   in Loop: Header=BB4_2468 Depth=3
	s_andn2_saveexec_b64 s[28:29], s[30:31]
	s_cbranch_execz .LBB4_2467
; %bb.3363:                             ;   in Loop: Header=BB4_2468 Depth=3
	v_or_b32_sdwa v2, v7, s71 dst_sel:DWORD dst_unused:UNUSED_PAD src0_sel:BYTE_3 src1_sel:DWORD
	s_branch .LBB4_2467
.LBB4_3364:                             ;   in Loop: Header=BB4_2384 Depth=2
	s_or_b64 exec, exec, s[42:43]
	buffer_load_dword v41, off, s[0:3], s33 offset:172 ; 4-byte Folded Reload
	buffer_load_dword v29, off, s[0:3], s33 offset:64 ; 4-byte Folded Reload
	buffer_load_dword v47, off, s[0:3], s33 offset:108 ; 4-byte Folded Reload
	buffer_load_dword v22, off, s[0:3], s33 offset:208 ; 4-byte Folded Reload
	buffer_load_dword v23, off, s[0:3], s33 offset:248 ; 4-byte Folded Reload
	buffer_load_dword v30, off, s[0:3], s33 offset:252 ; 4-byte Folded Reload
	buffer_load_dword v56, off, s[0:3], s33 offset:264 ; 4-byte Folded Reload
	buffer_load_dword v57, off, s[0:3], s33 offset:268 ; 4-byte Folded Reload
	buffer_load_dword v2, off, s[0:3], s33 offset:272 ; 4-byte Folded Reload
.LBB4_3365:                             ;   in Loop: Header=BB4_2384 Depth=2
	s_or_b64 exec, exec, s[40:41]
	s_waitcnt vmcnt(0)
	v_lshlrev_b32_e32 v24, 11, v2
	v_cmp_ne_u32_e32 vcc, v40, v24
	s_mov_b64 s[28:29], 0
	v_mov_b32_e32 v12, 0
                                        ; implicit-def: $vgpr7
                                        ; implicit-def: $vgpr5
                                        ; implicit-def: $vgpr2
	s_and_saveexec_b64 s[30:31], vcc
	s_cbranch_execz .LBB4_3823
; %bb.3366:                             ;   in Loop: Header=BB4_2384 Depth=2
	buffer_load_dword v5, off, s[0:3], s33 offset:196 ; 4-byte Folded Reload
	v_lshlrev_b32_e32 v1, 6, v45
	v_sub_u32_e32 v2, v40, v24
	v_ashrrev_i32_e32 v7, 31, v2
	v_lshrrev_b32_e32 v7, 22, v7
	v_add_u32_e32 v7, v2, v7
	v_and_b32_e32 v26, 0xfffffc00, v7
	v_sub_u32_e32 v28, v2, v26
	v_ashrrev_i32_e32 v8, 10, v7
	v_cmp_lt_i32_e64 s[28:29], 15, v28
	s_waitcnt vmcnt(0)
	v_sub_u32_e32 v1, v5, v1
	v_ashrrev_i32_e32 v5, 31, v1
	v_lshrrev_b32_e32 v5, 26, v5
	v_add_u32_e32 v5, v1, v5
	v_ashrrev_i32_e32 v6, 6, v5
	v_and_b32_e32 v5, 0xffffffc0, v5
	v_sub_u32_e32 v25, v1, v5
	v_lshlrev_b32_e32 v1, 4, v25
	v_lshl_add_u32 v1, v6, 10, v1
	v_sub_u32_e32 v5, v2, v1
	v_addc_co_u32_e64 v2, vcc, 0, v8, s[28:29]
	v_sub_u32_e32 v27, v2, v6
	v_cmp_lt_i32_e32 vcc, 15, v5
	s_and_saveexec_b64 s[34:35], vcc
	s_cbranch_execz .LBB4_3820
; %bb.3367:                             ;   in Loop: Header=BB4_2384 Depth=2
	v_add_u32_e32 v8, v1, v24
	buffer_load_dword v1, off, s[0:3], s33 offset:188 ; 4-byte Folded Reload
	buffer_load_dword v2, off, s[0:3], s33 offset:192 ; 4-byte Folded Reload
	v_ashrrev_i32_e32 v9, 31, v8
	s_trap 2
	s_mov_b64 s[36:37], 0
	s_waitcnt vmcnt(1)
	v_add_co_u32_e32 v6, vcc, v8, v1
	s_waitcnt vmcnt(0)
	v_addc_co_u32_e32 v7, vcc, v9, v2, vcc
	ds_read_b64 v[1:2], v0
	buffer_load_dword v10, off, s[0:3], s33 offset:200 ; 4-byte Folded Reload
	buffer_load_dword v11, off, s[0:3], s33 offset:204 ; 4-byte Folded Reload
	v_add_co_u32_e32 v29, vcc, v8, v56
	v_addc_co_u32_e32 v30, vcc, v9, v57, vcc
	s_waitcnt vmcnt(1)
	v_add_co_u32_e32 v16, vcc, v8, v10
	s_waitcnt vmcnt(0)
	v_addc_co_u32_e32 v17, vcc, v9, v11, vcc
	s_waitcnt lgkmcnt(0)
	v_add_co_u32_e32 v18, vcc, v1, v8
	v_addc_co_u32_e32 v19, vcc, v2, v9, vcc
.LBB4_3368:                             ;   Parent Loop BB4_47 Depth=1
                                        ;     Parent Loop BB4_2384 Depth=2
                                        ; =>    This Loop Header: Depth=3
                                        ;         Child Loop BB4_3797 Depth 4
	global_load_dwordx4 v[12:15], v[16:17], off glc slc
	global_load_dwordx4 v[8:11], v[18:19], off glc slc
	v_mov_b32_e32 v2, 0
	s_waitcnt vmcnt(1)
	v_cmp_ne_u16_sdwa s[42:43], v12, v3 src0_sel:BYTE_0 src1_sel:DWORD
	s_and_saveexec_b64 s[40:41], s[42:43]
	s_cbranch_execz .LBB4_3374
; %bb.3369:                             ;   in Loop: Header=BB4_3368 Depth=3
	v_cmp_ne_u16_sdwa s[44:45], v12, s70 src0_sel:BYTE_0 src1_sel:DWORD
	v_bfrev_b32_e32 v2, 1
	s_and_saveexec_b64 s[42:43], s[44:45]
	s_cbranch_execz .LBB4_3373
; %bb.3370:                             ;   in Loop: Header=BB4_3368 Depth=3
	v_and_b32_e32 v1, 0x7f, v12
	v_cmp_ne_u32_e32 vcc, s71, v1
	v_mov_b32_e32 v2, 0x7f800001
	s_and_saveexec_b64 s[38:39], vcc
	s_cbranch_execz .LBB4_3372
; %bb.3371:                             ;   in Loop: Header=BB4_3368 Depth=3
	v_and_b32_e32 v2, 7, v12
	v_lshrrev_b32_e32 v20, 3, v1
	v_cmp_gt_u32_e32 vcc, 8, v1
	v_ffbh_u32_e32 v1, v2
	v_min_u32_e32 v1, 32, v1
	v_subrev_u32_e32 v2, 28, v1
	v_sub_u32_e32 v1, 29, v1
	v_cndmask_b32_e32 v20, v20, v1, vcc
	v_cndmask_b32_e32 v1, 0, v2, vcc
	v_lshlrev_b64 v[1:2], v1, v[12:13]
	v_lshlrev_b32_e32 v2, 24, v12
	v_lshlrev_b32_e32 v1, 20, v1
	v_and_b32_e32 v1, 0x700000, v1
	v_and_b32_e32 v2, 0x80000000, v2
	v_lshl_add_u32 v20, v20, 23, v0
	v_or3_b32 v2, v2, v20, v1
.LBB4_3372:                             ;   in Loop: Header=BB4_3368 Depth=3
	s_or_b64 exec, exec, s[38:39]
.LBB4_3373:                             ;   in Loop: Header=BB4_3368 Depth=3
	s_or_b64 exec, exec, s[42:43]
.LBB4_3374:                             ;   in Loop: Header=BB4_3368 Depth=3
	s_or_b64 exec, exec, s[40:41]
	s_waitcnt vmcnt(0)
	v_cmp_gt_i16_sdwa s[42:43], v8, s71 src0_sel:BYTE_0 src1_sel:DWORD
	s_mov_b64 s[40:41], 0
	s_and_saveexec_b64 s[44:45], s[42:43]
	s_xor_b64 s[42:43], exec, s[44:45]
	s_cbranch_execz .LBB4_3799
; %bb.3375:                             ;   in Loop: Header=BB4_3368 Depth=3
	v_cmp_eq_u16_sdwa s[44:45], v8, s70 src0_sel:BYTE_0 src1_sel:DWORD
	s_mov_b64 s[40:41], -1
	s_and_saveexec_b64 vcc, s[44:45]
; %bb.3376:                             ;   in Loop: Header=BB4_3368 Depth=3
	s_xor_b64 s[40:41], exec, -1
; %bb.3377:                             ;   in Loop: Header=BB4_3368 Depth=3
	s_or_b64 exec, exec, vcc
	s_and_b64 s[40:41], s[40:41], exec
	s_or_saveexec_b64 s[42:43], s[42:43]
	v_bfrev_b32_e32 v1, 1
	s_xor_b64 exec, exec, s[42:43]
	s_cbranch_execnz .LBB4_3800
.LBB4_3378:                             ;   in Loop: Header=BB4_3368 Depth=3
	s_or_b64 exec, exec, s[42:43]
	s_and_saveexec_b64 s[42:43], s[40:41]
	s_cbranch_execz .LBB4_3380
.LBB4_3379:                             ;   in Loop: Header=BB4_3368 Depth=3
	v_and_b32_e32 v1, 7, v8
	v_ffbh_u32_e32 v1, v1
	v_and_b32_e32 v22, 0x7f, v8
	v_min_u32_e32 v1, 32, v1
	v_bfe_u32 v20, v8, 3, 4
	v_subrev_u32_e32 v21, 28, v1
	v_sub_u32_e32 v1, 29, v1
	v_cmp_gt_u32_e32 vcc, 8, v22
	v_cndmask_b32_e32 v1, v20, v1, vcc
	v_cndmask_b32_e32 v20, 0, v21, vcc
	v_lshlrev_b64 v[20:21], v20, v[8:9]
	v_lshlrev_b32_e32 v21, 24, v8
	v_lshlrev_b32_e32 v20, 20, v20
	v_and_b32_e32 v20, 0x700000, v20
	v_and_b32_e32 v21, 0x80000000, v21
	v_lshl_add_u32 v1, v1, 23, v0
	v_or3_b32 v1, v21, v1, v20
	v_cmp_ne_u32_e32 vcc, s71, v22
	v_mov_b32_e32 v20, 0x7f800001
	v_cndmask_b32_e32 v1, v20, v1, vcc
.LBB4_3380:                             ;   in Loop: Header=BB4_3368 Depth=3
	s_or_b64 exec, exec, s[42:43]
	v_mul_f32_e32 v20, v2, v1
	v_and_b32_e32 v2, 0x7f800000, v20
	v_cmp_ne_u64_e32 vcc, s[62:63], v[2:3]
                                        ; implicit-def: $vgpr31
	s_and_saveexec_b64 s[40:41], vcc
	s_xor_b64 s[42:43], exec, s[40:41]
	s_cbranch_execz .LBB4_3394
; %bb.3381:                             ;   in Loop: Header=BB4_3368 Depth=3
	v_and_b32_e32 v2, 0x7fffffff, v20
	v_cmp_gt_u64_e32 vcc, s[72:73], v[2:3]
	v_and_b32_sdwa v23, v20, s70 dst_sel:DWORD dst_unused:UNUSED_PAD src0_sel:BYTE_3 src1_sel:DWORD
                                        ; implicit-def: $vgpr31
	s_and_saveexec_b64 s[40:41], vcc
	s_xor_b64 s[38:39], exec, s[40:41]
	s_cbranch_execz .LBB4_3391
; %bb.3382:                             ;   in Loop: Header=BB4_3368 Depth=3
	v_mov_b32_e32 v31, 0
	v_cmp_ne_u32_e32 vcc, 0, v20
	s_and_saveexec_b64 s[48:49], vcc
	s_cbranch_execz .LBB4_3390
; %bb.3383:                             ;   in Loop: Header=BB4_3368 Depth=3
	v_bfe_u32 v31, v20, 23, 8
	v_cmp_gt_u32_e64 s[40:41], s80, v31
	v_sub_u32_e32 v2, 0x79, v31
	v_and_b32_e32 v1, 0x7fffff, v20
	v_cmp_eq_u32_e32 vcc, 0, v31
	v_cndmask_b32_e64 v2, 0, v2, s[40:41]
	v_mov_b32_e32 v21, 0x78
	v_or_b32_e32 v20, 0x800000, v1
	v_cndmask_b32_e32 v34, v2, v21, vcc
	v_cndmask_b32_e32 v2, v20, v1, vcc
	v_add_u32_e32 v1, 20, v34
	v_lshlrev_b64 v[20:21], v1, -1
	v_add_u32_e32 v1, 19, v34
	v_lshlrev_b64 v[35:36], v1, 1
	v_bfi_b32 v21, v21, 0, 0
	v_bfi_b32 v20, v20, 0, v2
	v_cmp_eq_u64_e64 s[40:41], v[20:21], v[35:36]
	v_lshrrev_b64 v[20:21], v34, v[2:3]
	v_mov_b32_e32 v22, v21
	v_mov_b32_e32 v21, v20
	s_and_saveexec_b64 s[50:51], s[40:41]
; %bb.3384:                             ;   in Loop: Header=BB4_3368 Depth=3
	v_bfe_u32 v1, v20, 20, 1
	v_add_co_u32_e64 v1, s[40:41], v20, v1
	v_add_co_u32_e64 v21, s[40:41], -1, v1
; %bb.3385:                             ;   in Loop: Header=BB4_3368 Depth=3
	s_or_b64 exec, exec, s[50:51]
	v_add_u32_e32 v1, 0xffffff81, v31
	v_mov_b32_e32 v2, 0xffffff82
	v_cndmask_b32_e32 v1, v1, v2, vcc
	v_lshrrev_b32_e32 v2, 23, v20
	v_add3_u32 v31, v34, v1, v2
	v_add_u32_e32 v1, 6, v31
	v_and_b32_e32 v2, 0xfffff, v21
	v_add_u32_e32 v2, v2, v20
	v_cmp_ne_u32_e32 vcc, 0, v1
                                        ; implicit-def: $vgpr20_vgpr21
                                        ; implicit-def: $vgpr22
	s_and_saveexec_b64 s[40:41], vcc
	s_xor_b64 s[40:41], exec, s[40:41]
; %bb.3386:                             ;   in Loop: Header=BB4_3368 Depth=3
	v_cmp_lt_u64_e32 vcc, s[88:89], v[2:3]
	v_add_u32_e32 v20, 7, v31
	v_cndmask_b32_e32 v22, v1, v20, vcc
	v_cndmask_b32_e64 v1, 0, 1, vcc
	v_lshrrev_b64 v[20:21], v1, v[2:3]
; %bb.3387:                             ;   in Loop: Header=BB4_3368 Depth=3
	s_andn2_saveexec_b64 s[40:41], s[40:41]
; %bb.3388:                             ;   in Loop: Header=BB4_3368 Depth=3
	v_mov_b32_e32 v21, v3
	v_bfe_u32 v22, v2, 23, 1
	v_mov_b32_e32 v20, v2
; %bb.3389:                             ;   in Loop: Header=BB4_3368 Depth=3
	s_or_b64 exec, exec, s[40:41]
	v_lshrrev_b64 v[1:2], 20, v[20:21]
	v_cmp_gt_i32_e32 vcc, 16, v22
	v_cndmask_b32_e32 v2, 0, v2, vcc
	v_cndmask_b32_e32 v1, 7, v1, vcc
	v_cmp_eq_u64_e64 s[40:41], 0, v[1:2]
	v_min_i32_e32 v2, 15, v22
	v_lshlrev_b32_e32 v2, 3, v2
	v_cmp_eq_u32_e32 vcc, 0, v22
	v_and_b32_e32 v2, 0xf8, v2
	v_and_or_b32 v1, v1, 7, v2
	s_and_b64 s[40:41], vcc, s[40:41]
	v_cndmask_b32_e64 v1, v1, 0, s[40:41]
	v_or_b32_e32 v31, v1, v23
.LBB4_3390:                             ;   in Loop: Header=BB4_3368 Depth=3
	s_or_b64 exec, exec, s[48:49]
                                        ; implicit-def: $vgpr23
.LBB4_3391:                             ;   in Loop: Header=BB4_3368 Depth=3
	s_andn2_saveexec_b64 s[40:41], s[38:39]
; %bb.3392:                             ;   in Loop: Header=BB4_3368 Depth=3
	v_or_b32_e32 v31, 0x7e, v23
; %bb.3393:                             ;   in Loop: Header=BB4_3368 Depth=3
	s_or_b64 exec, exec, s[40:41]
                                        ; implicit-def: $vgpr20
.LBB4_3394:                             ;   in Loop: Header=BB4_3368 Depth=3
	s_andn2_saveexec_b64 s[40:41], s[42:43]
; %bb.3395:                             ;   in Loop: Header=BB4_3368 Depth=3
	v_or_b32_sdwa v31, v20, s71 dst_sel:DWORD dst_unused:UNUSED_PAD src0_sel:BYTE_3 src1_sel:DWORD
; %bb.3396:                             ;   in Loop: Header=BB4_3368 Depth=3
	s_or_b64 exec, exec, s[40:41]
	v_lshrrev_b16_e32 v2, 8, v12
	v_cmp_ne_u16_e32 vcc, 0, v2
	v_mov_b32_e32 v20, 0
	s_and_saveexec_b64 s[40:41], vcc
	s_cbranch_execz .LBB4_3402
; %bb.3397:                             ;   in Loop: Header=BB4_3368 Depth=3
	v_cmp_ne_u16_e32 vcc, s70, v2
	v_bfrev_b32_e32 v20, 1
	s_and_saveexec_b64 s[42:43], vcc
	s_cbranch_execz .LBB4_3401
; %bb.3398:                             ;   in Loop: Header=BB4_3368 Depth=3
	v_and_b32_e32 v1, 0x7f, v2
	v_cmp_ne_u32_e32 vcc, s71, v1
	v_mov_b32_e32 v20, 0x7f800001
	s_and_saveexec_b64 s[38:39], vcc
	s_cbranch_execz .LBB4_3400
; %bb.3399:                             ;   in Loop: Header=BB4_3368 Depth=3
	v_and_b32_e32 v20, 7, v2
	v_lshrrev_b32_e32 v21, 3, v1
	v_cmp_gt_u32_e32 vcc, 8, v1
	v_ffbh_u32_e32 v1, v20
	v_min_u32_e32 v22, 32, v1
	v_subrev_u32_e32 v1, 28, v22
	v_lshlrev_b64 v[1:2], v1, v[2:3]
	v_sub_u32_e32 v2, 29, v22
	v_and_b32_e32 v1, 7, v1
	v_cndmask_b32_e32 v2, v21, v2, vcc
	v_cndmask_b32_e32 v1, v20, v1, vcc
	v_lshlrev_b32_e32 v20, 16, v12
	v_lshlrev_b32_e32 v1, 20, v1
	v_and_b32_e32 v20, 0x80000000, v20
	v_lshl_add_u32 v2, v2, 23, v0
	v_or3_b32 v20, v20, v2, v1
.LBB4_3400:                             ;   in Loop: Header=BB4_3368 Depth=3
	s_or_b64 exec, exec, s[38:39]
.LBB4_3401:                             ;   in Loop: Header=BB4_3368 Depth=3
	s_or_b64 exec, exec, s[42:43]
.LBB4_3402:                             ;   in Loop: Header=BB4_3368 Depth=3
	s_or_b64 exec, exec, s[40:41]
	v_lshrrev_b16_e32 v2, 8, v8
	v_cmp_lt_i16_e32 vcc, s71, v2
	s_mov_b64 s[40:41], 0
	s_and_saveexec_b64 s[42:43], vcc
	s_xor_b64 s[42:43], exec, s[42:43]
	s_cbranch_execz .LBB4_3801
; %bb.3403:                             ;   in Loop: Header=BB4_3368 Depth=3
	v_cmp_eq_u16_e32 vcc, s70, v2
	s_mov_b64 s[40:41], -1
	s_and_saveexec_b64 s[38:39], vcc
; %bb.3404:                             ;   in Loop: Header=BB4_3368 Depth=3
	s_xor_b64 s[40:41], exec, -1
; %bb.3405:                             ;   in Loop: Header=BB4_3368 Depth=3
	s_or_b64 exec, exec, s[38:39]
	s_and_b64 s[40:41], s[40:41], exec
	s_or_saveexec_b64 s[42:43], s[42:43]
	v_bfrev_b32_e32 v1, 1
	s_xor_b64 exec, exec, s[42:43]
	s_cbranch_execnz .LBB4_3802
.LBB4_3406:                             ;   in Loop: Header=BB4_3368 Depth=3
	s_or_b64 exec, exec, s[42:43]
	s_and_saveexec_b64 s[42:43], s[40:41]
	s_cbranch_execz .LBB4_3408
.LBB4_3407:                             ;   in Loop: Header=BB4_3368 Depth=3
	v_and_b32_e32 v1, 7, v2
	v_ffbh_u32_e32 v21, v1
	v_min_u32_e32 v35, 32, v21
	v_subrev_u32_e32 v21, 28, v35
	v_lshlrev_b64 v[21:22], v21, v[2:3]
	v_and_b32_e32 v23, 0x7f, v2
	v_bfe_u32 v34, v2, 3, 4
	v_sub_u32_e32 v22, 29, v35
	v_and_b32_e32 v21, 7, v21
	v_cmp_gt_u32_e32 vcc, 8, v23
	v_cndmask_b32_e32 v22, v34, v22, vcc
	v_cndmask_b32_e32 v1, v1, v21, vcc
	v_lshlrev_b32_e32 v2, 24, v2
	v_lshlrev_b32_e32 v1, 20, v1
	v_and_b32_e32 v2, 0x80000000, v2
	v_lshl_add_u32 v21, v22, 23, v0
	v_or3_b32 v1, v2, v21, v1
	v_cmp_ne_u32_e32 vcc, s71, v23
	v_mov_b32_e32 v2, 0x7f800001
	v_cndmask_b32_e32 v1, v2, v1, vcc
.LBB4_3408:                             ;   in Loop: Header=BB4_3368 Depth=3
	s_or_b64 exec, exec, s[42:43]
	v_mul_f32_e32 v20, v20, v1
	v_and_b32_e32 v2, 0x7f800000, v20
	v_cmp_ne_u64_e32 vcc, s[62:63], v[2:3]
                                        ; implicit-def: $vgpr34
	s_and_saveexec_b64 s[40:41], vcc
	s_xor_b64 s[42:43], exec, s[40:41]
	s_cbranch_execz .LBB4_3422
; %bb.3409:                             ;   in Loop: Header=BB4_3368 Depth=3
	v_and_b32_e32 v2, 0x7fffffff, v20
	v_cmp_gt_u64_e32 vcc, s[72:73], v[2:3]
	v_and_b32_sdwa v23, v20, s70 dst_sel:DWORD dst_unused:UNUSED_PAD src0_sel:BYTE_3 src1_sel:DWORD
                                        ; implicit-def: $vgpr34
	s_and_saveexec_b64 s[40:41], vcc
	s_xor_b64 s[38:39], exec, s[40:41]
	s_cbranch_execz .LBB4_3419
; %bb.3410:                             ;   in Loop: Header=BB4_3368 Depth=3
	v_mov_b32_e32 v34, 0
	v_cmp_ne_u32_e32 vcc, 0, v20
	s_and_saveexec_b64 s[48:49], vcc
	s_cbranch_execz .LBB4_3418
; %bb.3411:                             ;   in Loop: Header=BB4_3368 Depth=3
	v_bfe_u32 v34, v20, 23, 8
	v_cmp_gt_u32_e64 s[40:41], s80, v34
	v_sub_u32_e32 v2, 0x79, v34
	v_and_b32_e32 v1, 0x7fffff, v20
	v_cmp_eq_u32_e32 vcc, 0, v34
	v_cndmask_b32_e64 v2, 0, v2, s[40:41]
	v_mov_b32_e32 v21, 0x78
	v_or_b32_e32 v20, 0x800000, v1
	v_cndmask_b32_e32 v35, v2, v21, vcc
	v_cndmask_b32_e32 v2, v20, v1, vcc
	v_add_u32_e32 v1, 20, v35
	v_lshlrev_b64 v[20:21], v1, -1
	v_add_u32_e32 v1, 19, v35
	v_lshlrev_b64 v[36:37], v1, 1
	v_bfi_b32 v21, v21, 0, 0
	v_bfi_b32 v20, v20, 0, v2
	v_cmp_eq_u64_e64 s[40:41], v[20:21], v[36:37]
	v_lshrrev_b64 v[20:21], v35, v[2:3]
	v_mov_b32_e32 v22, v21
	v_mov_b32_e32 v21, v20
	s_and_saveexec_b64 s[50:51], s[40:41]
; %bb.3412:                             ;   in Loop: Header=BB4_3368 Depth=3
	v_bfe_u32 v1, v20, 20, 1
	v_add_co_u32_e64 v1, s[40:41], v20, v1
	v_add_co_u32_e64 v21, s[40:41], -1, v1
; %bb.3413:                             ;   in Loop: Header=BB4_3368 Depth=3
	s_or_b64 exec, exec, s[50:51]
	v_add_u32_e32 v1, 0xffffff81, v34
	v_mov_b32_e32 v2, 0xffffff82
	v_cndmask_b32_e32 v1, v1, v2, vcc
	v_lshrrev_b32_e32 v2, 23, v20
	v_add3_u32 v34, v35, v1, v2
	v_add_u32_e32 v1, 6, v34
	v_and_b32_e32 v2, 0xfffff, v21
	v_add_u32_e32 v2, v2, v20
	v_cmp_ne_u32_e32 vcc, 0, v1
                                        ; implicit-def: $vgpr20_vgpr21
                                        ; implicit-def: $vgpr22
	s_and_saveexec_b64 s[40:41], vcc
	s_xor_b64 s[40:41], exec, s[40:41]
; %bb.3414:                             ;   in Loop: Header=BB4_3368 Depth=3
	v_cmp_lt_u64_e32 vcc, s[88:89], v[2:3]
	v_add_u32_e32 v20, 7, v34
	v_cndmask_b32_e32 v22, v1, v20, vcc
	v_cndmask_b32_e64 v1, 0, 1, vcc
	v_lshrrev_b64 v[20:21], v1, v[2:3]
; %bb.3415:                             ;   in Loop: Header=BB4_3368 Depth=3
	s_andn2_saveexec_b64 s[40:41], s[40:41]
; %bb.3416:                             ;   in Loop: Header=BB4_3368 Depth=3
	v_mov_b32_e32 v21, v3
	v_bfe_u32 v22, v2, 23, 1
	v_mov_b32_e32 v20, v2
; %bb.3417:                             ;   in Loop: Header=BB4_3368 Depth=3
	s_or_b64 exec, exec, s[40:41]
	v_lshrrev_b64 v[1:2], 20, v[20:21]
	v_cmp_gt_i32_e32 vcc, 16, v22
	v_cndmask_b32_e32 v2, 0, v2, vcc
	v_cndmask_b32_e32 v1, 7, v1, vcc
	v_cmp_eq_u64_e64 s[40:41], 0, v[1:2]
	v_min_i32_e32 v2, 15, v22
	v_lshlrev_b32_e32 v2, 3, v2
	v_cmp_eq_u32_e32 vcc, 0, v22
	v_and_b32_e32 v2, 0xf8, v2
	v_and_or_b32 v1, v1, 7, v2
	s_and_b64 s[40:41], vcc, s[40:41]
	v_cndmask_b32_e64 v1, v1, 0, s[40:41]
	v_or_b32_e32 v34, v1, v23
.LBB4_3418:                             ;   in Loop: Header=BB4_3368 Depth=3
	s_or_b64 exec, exec, s[48:49]
                                        ; implicit-def: $vgpr23
.LBB4_3419:                             ;   in Loop: Header=BB4_3368 Depth=3
	s_andn2_saveexec_b64 s[40:41], s[38:39]
; %bb.3420:                             ;   in Loop: Header=BB4_3368 Depth=3
	v_or_b32_e32 v34, 0x7e, v23
; %bb.3421:                             ;   in Loop: Header=BB4_3368 Depth=3
	s_or_b64 exec, exec, s[40:41]
                                        ; implicit-def: $vgpr20
.LBB4_3422:                             ;   in Loop: Header=BB4_3368 Depth=3
	s_andn2_saveexec_b64 s[40:41], s[42:43]
; %bb.3423:                             ;   in Loop: Header=BB4_3368 Depth=3
	v_or_b32_sdwa v34, v20, s71 dst_sel:DWORD dst_unused:UNUSED_PAD src0_sel:BYTE_3 src1_sel:DWORD
; %bb.3424:                             ;   in Loop: Header=BB4_3368 Depth=3
	s_or_b64 exec, exec, s[40:41]
	v_lshrrev_b32_e32 v2, 16, v12
	v_cmp_ne_u16_sdwa s[42:43], v2, v3 src0_sel:BYTE_0 src1_sel:DWORD
	v_mov_b32_e32 v20, 0
	s_and_saveexec_b64 s[40:41], s[42:43]
	s_cbranch_execz .LBB4_3430
; %bb.3425:                             ;   in Loop: Header=BB4_3368 Depth=3
	v_cmp_ne_u16_sdwa s[44:45], v2, s70 src0_sel:BYTE_0 src1_sel:DWORD
	v_bfrev_b32_e32 v20, 1
	s_and_saveexec_b64 s[42:43], s[44:45]
	s_cbranch_execz .LBB4_3429
; %bb.3426:                             ;   in Loop: Header=BB4_3368 Depth=3
	v_bfe_u32 v1, v12, 16, 7
	v_cmp_ne_u32_e32 vcc, s71, v1
	v_mov_b32_e32 v20, 0x7f800001
	s_and_saveexec_b64 s[38:39], vcc
	s_cbranch_execz .LBB4_3428
; %bb.3427:                             ;   in Loop: Header=BB4_3368 Depth=3
	v_and_b32_e32 v22, 7, v2
	v_lshrrev_b32_e32 v23, 3, v1
	v_cmp_gt_u32_e32 vcc, 8, v1
	v_ffbh_u32_e32 v1, v22
	v_min_u32_e32 v1, 32, v1
	v_subrev_u32_e32 v20, 28, v1
	v_lshlrev_b64 v[20:21], v20, v[2:3]
	v_sub_u32_e32 v1, 29, v1
	v_and_b32_e32 v20, 7, v20
	v_cndmask_b32_e32 v1, v23, v1, vcc
	v_cndmask_b32_e32 v20, v22, v20, vcc
	v_lshlrev_b32_e32 v2, 24, v2
	v_lshlrev_b32_e32 v20, 20, v20
	v_and_b32_e32 v2, 0x80000000, v2
	v_lshl_add_u32 v1, v1, 23, v0
	v_or3_b32 v20, v2, v1, v20
.LBB4_3428:                             ;   in Loop: Header=BB4_3368 Depth=3
	s_or_b64 exec, exec, s[38:39]
.LBB4_3429:                             ;   in Loop: Header=BB4_3368 Depth=3
	s_or_b64 exec, exec, s[42:43]
.LBB4_3430:                             ;   in Loop: Header=BB4_3368 Depth=3
	s_or_b64 exec, exec, s[40:41]
	v_lshrrev_b32_e32 v2, 16, v8
	v_cmp_gt_i16_sdwa s[42:43], v2, s71 src0_sel:BYTE_0 src1_sel:DWORD
	s_mov_b64 s[40:41], 0
	s_and_saveexec_b64 s[44:45], s[42:43]
	s_xor_b64 s[42:43], exec, s[44:45]
	s_cbranch_execz .LBB4_3803
; %bb.3431:                             ;   in Loop: Header=BB4_3368 Depth=3
	v_cmp_eq_u16_sdwa s[44:45], v2, s70 src0_sel:BYTE_0 src1_sel:DWORD
	s_mov_b64 s[40:41], -1
	s_and_saveexec_b64 vcc, s[44:45]
; %bb.3432:                             ;   in Loop: Header=BB4_3368 Depth=3
	s_xor_b64 s[40:41], exec, -1
; %bb.3433:                             ;   in Loop: Header=BB4_3368 Depth=3
	s_or_b64 exec, exec, vcc
	s_and_b64 s[40:41], s[40:41], exec
	s_or_saveexec_b64 s[42:43], s[42:43]
	v_bfrev_b32_e32 v1, 1
	s_xor_b64 exec, exec, s[42:43]
	s_cbranch_execnz .LBB4_3804
.LBB4_3434:                             ;   in Loop: Header=BB4_3368 Depth=3
	s_or_b64 exec, exec, s[42:43]
	s_and_saveexec_b64 s[42:43], s[40:41]
	s_cbranch_execz .LBB4_3436
.LBB4_3435:                             ;   in Loop: Header=BB4_3368 Depth=3
	v_and_b32_e32 v1, 7, v2
	v_ffbh_u32_e32 v21, v1
	v_min_u32_e32 v36, 32, v21
	v_subrev_u32_e32 v21, 28, v36
	v_lshlrev_b64 v[21:22], v21, v[2:3]
	v_and_b32_e32 v23, 0x7f, v2
	v_bfe_u32 v35, v2, 3, 4
	v_sub_u32_e32 v22, 29, v36
	v_and_b32_e32 v21, 7, v21
	v_cmp_gt_u32_e32 vcc, 8, v23
	v_cndmask_b32_e32 v22, v35, v22, vcc
	v_cndmask_b32_e32 v1, v1, v21, vcc
	v_lshlrev_b32_e32 v2, 24, v2
	v_lshlrev_b32_e32 v1, 20, v1
	v_and_b32_e32 v2, 0x80000000, v2
	v_lshl_add_u32 v21, v22, 23, v0
	v_or3_b32 v1, v2, v21, v1
	v_cmp_ne_u32_e32 vcc, s71, v23
	v_mov_b32_e32 v2, 0x7f800001
	v_cndmask_b32_e32 v1, v2, v1, vcc
.LBB4_3436:                             ;   in Loop: Header=BB4_3368 Depth=3
	s_or_b64 exec, exec, s[42:43]
	v_mul_f32_e32 v20, v20, v1
	v_and_b32_e32 v2, 0x7f800000, v20
	v_cmp_ne_u64_e32 vcc, s[62:63], v[2:3]
                                        ; implicit-def: $vgpr35
	s_and_saveexec_b64 s[40:41], vcc
	s_xor_b64 s[42:43], exec, s[40:41]
	s_cbranch_execz .LBB4_3450
; %bb.3437:                             ;   in Loop: Header=BB4_3368 Depth=3
	v_and_b32_e32 v2, 0x7fffffff, v20
	v_cmp_gt_u64_e32 vcc, s[72:73], v[2:3]
	v_and_b32_sdwa v23, v20, s70 dst_sel:DWORD dst_unused:UNUSED_PAD src0_sel:BYTE_3 src1_sel:DWORD
                                        ; implicit-def: $vgpr35
	s_and_saveexec_b64 s[40:41], vcc
	s_xor_b64 s[38:39], exec, s[40:41]
	s_cbranch_execz .LBB4_3447
; %bb.3438:                             ;   in Loop: Header=BB4_3368 Depth=3
	v_mov_b32_e32 v35, 0
	v_cmp_ne_u32_e32 vcc, 0, v20
	s_and_saveexec_b64 s[48:49], vcc
	s_cbranch_execz .LBB4_3446
; %bb.3439:                             ;   in Loop: Header=BB4_3368 Depth=3
	v_bfe_u32 v35, v20, 23, 8
	v_cmp_gt_u32_e64 s[40:41], s80, v35
	v_sub_u32_e32 v2, 0x79, v35
	v_and_b32_e32 v1, 0x7fffff, v20
	v_cmp_eq_u32_e32 vcc, 0, v35
	v_cndmask_b32_e64 v2, 0, v2, s[40:41]
	v_mov_b32_e32 v21, 0x78
	v_or_b32_e32 v20, 0x800000, v1
	v_cndmask_b32_e32 v36, v2, v21, vcc
	v_cndmask_b32_e32 v2, v20, v1, vcc
	v_add_u32_e32 v1, 20, v36
	v_lshlrev_b64 v[20:21], v1, -1
	v_add_u32_e32 v1, 19, v36
	v_lshlrev_b64 v[50:51], v1, 1
	v_bfi_b32 v21, v21, 0, 0
	v_bfi_b32 v20, v20, 0, v2
	v_cmp_eq_u64_e64 s[40:41], v[20:21], v[50:51]
	v_lshrrev_b64 v[20:21], v36, v[2:3]
	v_mov_b32_e32 v22, v21
	v_mov_b32_e32 v21, v20
	s_and_saveexec_b64 s[50:51], s[40:41]
; %bb.3440:                             ;   in Loop: Header=BB4_3368 Depth=3
	v_bfe_u32 v1, v20, 20, 1
	v_add_co_u32_e64 v1, s[40:41], v20, v1
	v_add_co_u32_e64 v21, s[40:41], -1, v1
; %bb.3441:                             ;   in Loop: Header=BB4_3368 Depth=3
	s_or_b64 exec, exec, s[50:51]
	v_add_u32_e32 v1, 0xffffff81, v35
	v_mov_b32_e32 v2, 0xffffff82
	v_cndmask_b32_e32 v1, v1, v2, vcc
	v_lshrrev_b32_e32 v2, 23, v20
	v_add3_u32 v35, v36, v1, v2
	v_add_u32_e32 v1, 6, v35
	v_and_b32_e32 v2, 0xfffff, v21
	v_add_u32_e32 v2, v2, v20
	v_cmp_ne_u32_e32 vcc, 0, v1
                                        ; implicit-def: $vgpr20_vgpr21
                                        ; implicit-def: $vgpr22
	s_and_saveexec_b64 s[40:41], vcc
	s_xor_b64 s[40:41], exec, s[40:41]
; %bb.3442:                             ;   in Loop: Header=BB4_3368 Depth=3
	v_cmp_lt_u64_e32 vcc, s[88:89], v[2:3]
	v_add_u32_e32 v20, 7, v35
	v_cndmask_b32_e32 v22, v1, v20, vcc
	v_cndmask_b32_e64 v1, 0, 1, vcc
	v_lshrrev_b64 v[20:21], v1, v[2:3]
; %bb.3443:                             ;   in Loop: Header=BB4_3368 Depth=3
	s_andn2_saveexec_b64 s[40:41], s[40:41]
; %bb.3444:                             ;   in Loop: Header=BB4_3368 Depth=3
	v_mov_b32_e32 v21, v3
	v_bfe_u32 v22, v2, 23, 1
	v_mov_b32_e32 v20, v2
; %bb.3445:                             ;   in Loop: Header=BB4_3368 Depth=3
	s_or_b64 exec, exec, s[40:41]
	v_lshrrev_b64 v[1:2], 20, v[20:21]
	v_cmp_gt_i32_e32 vcc, 16, v22
	v_cndmask_b32_e32 v2, 0, v2, vcc
	v_cndmask_b32_e32 v1, 7, v1, vcc
	v_cmp_eq_u64_e64 s[40:41], 0, v[1:2]
	v_min_i32_e32 v2, 15, v22
	v_lshlrev_b32_e32 v2, 3, v2
	v_cmp_eq_u32_e32 vcc, 0, v22
	v_and_b32_e32 v2, 0xf8, v2
	v_and_or_b32 v1, v1, 7, v2
	s_and_b64 s[40:41], vcc, s[40:41]
	v_cndmask_b32_e64 v1, v1, 0, s[40:41]
	v_or_b32_e32 v35, v1, v23
.LBB4_3446:                             ;   in Loop: Header=BB4_3368 Depth=3
	s_or_b64 exec, exec, s[48:49]
                                        ; implicit-def: $vgpr23
.LBB4_3447:                             ;   in Loop: Header=BB4_3368 Depth=3
	s_andn2_saveexec_b64 s[40:41], s[38:39]
; %bb.3448:                             ;   in Loop: Header=BB4_3368 Depth=3
	v_or_b32_e32 v35, 0x7e, v23
; %bb.3449:                             ;   in Loop: Header=BB4_3368 Depth=3
	s_or_b64 exec, exec, s[40:41]
                                        ; implicit-def: $vgpr20
.LBB4_3450:                             ;   in Loop: Header=BB4_3368 Depth=3
	s_andn2_saveexec_b64 s[40:41], s[42:43]
; %bb.3451:                             ;   in Loop: Header=BB4_3368 Depth=3
	v_or_b32_sdwa v35, v20, s71 dst_sel:DWORD dst_unused:UNUSED_PAD src0_sel:BYTE_3 src1_sel:DWORD
; %bb.3452:                             ;   in Loop: Header=BB4_3368 Depth=3
	s_or_b64 exec, exec, s[40:41]
	v_cmp_lt_u32_e32 vcc, s57, v12
	v_mov_b32_e32 v20, 0
	s_and_saveexec_b64 s[40:41], vcc
	s_cbranch_execz .LBB4_3458
; %bb.3453:                             ;   in Loop: Header=BB4_3368 Depth=3
	v_lshrrev_b32_e32 v2, 24, v12
	v_cmp_ne_u32_e32 vcc, s70, v2
	v_bfrev_b32_e32 v20, 1
	s_and_saveexec_b64 s[42:43], vcc
	s_cbranch_execz .LBB4_3457
; %bb.3454:                             ;   in Loop: Header=BB4_3368 Depth=3
	v_bfe_u32 v1, v12, 24, 7
	v_cmp_ne_u32_e32 vcc, s71, v1
	v_mov_b32_e32 v20, 0x7f800001
	s_and_saveexec_b64 s[38:39], vcc
	s_cbranch_execz .LBB4_3456
; %bb.3455:                             ;   in Loop: Header=BB4_3368 Depth=3
	v_and_b32_e32 v22, 7, v2
	v_lshrrev_b32_e32 v23, 3, v1
	v_cmp_gt_u32_e32 vcc, 8, v1
	v_ffbh_u32_e32 v1, v22
	v_min_u32_e32 v1, 32, v1
	v_subrev_u32_e32 v20, 28, v1
	v_lshlrev_b64 v[20:21], v20, v[2:3]
	v_sub_u32_e32 v1, 29, v1
	v_and_b32_e32 v20, 7, v20
	v_cndmask_b32_e32 v1, v23, v1, vcc
	v_cndmask_b32_e32 v20, v22, v20, vcc
	v_lshlrev_b32_e32 v2, 24, v2
	v_lshlrev_b32_e32 v20, 20, v20
	v_and_b32_e32 v2, 0x80000000, v2
	v_lshl_add_u32 v1, v1, 23, v0
	v_or3_b32 v20, v2, v1, v20
.LBB4_3456:                             ;   in Loop: Header=BB4_3368 Depth=3
	s_or_b64 exec, exec, s[38:39]
.LBB4_3457:                             ;   in Loop: Header=BB4_3368 Depth=3
	s_or_b64 exec, exec, s[42:43]
.LBB4_3458:                             ;   in Loop: Header=BB4_3368 Depth=3
	s_or_b64 exec, exec, s[40:41]
	v_bfe_u32 v2, v8, 24, 3
	v_ffbh_u32_e32 v21, v2
	v_min_u32_e32 v37, 32, v21
	v_lshrrev_b32_e32 v1, 24, v8
	v_subrev_u32_e32 v21, 28, v37
	v_lshlrev_b64 v[21:22], v21, v[1:2]
	v_bfe_u32 v23, v8, 24, 7
	v_bfe_u32 v36, v1, 3, 4
	v_sub_u32_e32 v22, 29, v37
	v_and_b32_e32 v21, 7, v21
	v_cmp_gt_u32_e32 vcc, 8, v23
	v_cndmask_b32_e32 v22, v36, v22, vcc
	v_cndmask_b32_e32 v2, v2, v21, vcc
	v_lshlrev_b32_e32 v2, 20, v2
	v_and_b32_e32 v21, 0x80000000, v8
	v_lshl_add_u32 v22, v22, 23, v0
	v_or3_b32 v2, v21, v22, v2
	v_cmp_ne_u32_e32 vcc, s71, v23
	v_mov_b32_e32 v21, 0x7f800001
	v_cndmask_b32_e32 v2, v21, v2, vcc
	v_cmp_ne_u32_e32 vcc, s70, v1
	v_bfrev_b32_e32 v1, 1
	v_cndmask_b32_e32 v1, v1, v2, vcc
	v_cmp_lt_u32_e32 vcc, s57, v8
	v_cndmask_b32_e32 v1, 0, v1, vcc
	v_mul_f32_e32 v20, v1, v20
	v_and_b32_e32 v2, 0x7f800000, v20
	v_cmp_ne_u64_e32 vcc, s[62:63], v[2:3]
                                        ; implicit-def: $vgpr37
	s_and_saveexec_b64 s[40:41], vcc
	s_xor_b64 s[42:43], exec, s[40:41]
	s_cbranch_execz .LBB4_3472
; %bb.3459:                             ;   in Loop: Header=BB4_3368 Depth=3
	v_and_b32_e32 v2, 0x7fffffff, v20
	v_cmp_gt_u64_e32 vcc, s[72:73], v[2:3]
	v_and_b32_sdwa v23, v20, s70 dst_sel:DWORD dst_unused:UNUSED_PAD src0_sel:BYTE_3 src1_sel:DWORD
                                        ; implicit-def: $vgpr37
	s_and_saveexec_b64 s[40:41], vcc
	s_xor_b64 s[38:39], exec, s[40:41]
	s_cbranch_execz .LBB4_3469
; %bb.3460:                             ;   in Loop: Header=BB4_3368 Depth=3
	v_mov_b32_e32 v37, 0
	v_cmp_ne_u32_e32 vcc, 0, v20
	s_and_saveexec_b64 s[48:49], vcc
	s_cbranch_execz .LBB4_3468
; %bb.3461:                             ;   in Loop: Header=BB4_3368 Depth=3
	v_bfe_u32 v36, v20, 23, 8
	v_cmp_gt_u32_e64 s[40:41], s80, v36
	v_sub_u32_e32 v2, 0x79, v36
	v_and_b32_e32 v1, 0x7fffff, v20
	v_cmp_eq_u32_e32 vcc, 0, v36
	v_cndmask_b32_e64 v2, 0, v2, s[40:41]
	v_mov_b32_e32 v21, 0x78
	v_or_b32_e32 v20, 0x800000, v1
	v_cndmask_b32_e32 v37, v2, v21, vcc
	v_cndmask_b32_e32 v2, v20, v1, vcc
	v_add_u32_e32 v1, 20, v37
	v_lshlrev_b64 v[20:21], v1, -1
	v_add_u32_e32 v1, 19, v37
	v_lshlrev_b64 v[50:51], v1, 1
	v_bfi_b32 v21, v21, 0, 0
	v_bfi_b32 v20, v20, 0, v2
	v_cmp_eq_u64_e64 s[40:41], v[20:21], v[50:51]
	v_lshrrev_b64 v[20:21], v37, v[2:3]
	v_mov_b32_e32 v22, v21
	v_mov_b32_e32 v21, v20
	s_and_saveexec_b64 s[50:51], s[40:41]
; %bb.3462:                             ;   in Loop: Header=BB4_3368 Depth=3
	v_bfe_u32 v1, v20, 20, 1
	v_add_co_u32_e64 v1, s[40:41], v20, v1
	v_add_co_u32_e64 v21, s[40:41], -1, v1
; %bb.3463:                             ;   in Loop: Header=BB4_3368 Depth=3
	s_or_b64 exec, exec, s[50:51]
	v_add_u32_e32 v1, 0xffffff81, v36
	v_mov_b32_e32 v2, 0xffffff82
	v_cndmask_b32_e32 v1, v1, v2, vcc
	v_lshrrev_b32_e32 v2, 23, v20
	v_add3_u32 v36, v37, v1, v2
	v_add_u32_e32 v1, 6, v36
	v_and_b32_e32 v2, 0xfffff, v21
	v_add_u32_e32 v2, v2, v20
	v_cmp_ne_u32_e32 vcc, 0, v1
                                        ; implicit-def: $vgpr20_vgpr21
                                        ; implicit-def: $vgpr22
	s_and_saveexec_b64 s[40:41], vcc
	s_xor_b64 s[40:41], exec, s[40:41]
; %bb.3464:                             ;   in Loop: Header=BB4_3368 Depth=3
	v_cmp_lt_u64_e32 vcc, s[88:89], v[2:3]
	v_add_u32_e32 v20, 7, v36
	v_cndmask_b32_e32 v22, v1, v20, vcc
	v_cndmask_b32_e64 v1, 0, 1, vcc
	v_lshrrev_b64 v[20:21], v1, v[2:3]
; %bb.3465:                             ;   in Loop: Header=BB4_3368 Depth=3
	s_andn2_saveexec_b64 s[40:41], s[40:41]
; %bb.3466:                             ;   in Loop: Header=BB4_3368 Depth=3
	v_mov_b32_e32 v21, v3
	v_bfe_u32 v22, v2, 23, 1
	v_mov_b32_e32 v20, v2
; %bb.3467:                             ;   in Loop: Header=BB4_3368 Depth=3
	s_or_b64 exec, exec, s[40:41]
	v_lshrrev_b64 v[1:2], 20, v[20:21]
	v_cmp_gt_i32_e32 vcc, 16, v22
	v_cndmask_b32_e32 v2, 0, v2, vcc
	v_cndmask_b32_e32 v1, 7, v1, vcc
	v_cmp_eq_u64_e64 s[40:41], 0, v[1:2]
	v_min_i32_e32 v2, 15, v22
	v_lshlrev_b32_e32 v2, 3, v2
	v_cmp_eq_u32_e32 vcc, 0, v22
	v_and_b32_e32 v2, 0xf8, v2
	v_and_or_b32 v1, v1, 7, v2
	s_and_b64 s[40:41], vcc, s[40:41]
	v_cndmask_b32_e64 v1, v1, 0, s[40:41]
	v_or_b32_e32 v37, v1, v23
.LBB4_3468:                             ;   in Loop: Header=BB4_3368 Depth=3
	s_or_b64 exec, exec, s[48:49]
                                        ; implicit-def: $vgpr23
.LBB4_3469:                             ;   in Loop: Header=BB4_3368 Depth=3
	s_andn2_saveexec_b64 s[40:41], s[38:39]
; %bb.3470:                             ;   in Loop: Header=BB4_3368 Depth=3
	v_or_b32_e32 v37, 0x7e, v23
; %bb.3471:                             ;   in Loop: Header=BB4_3368 Depth=3
	s_or_b64 exec, exec, s[40:41]
                                        ; implicit-def: $vgpr20
.LBB4_3472:                             ;   in Loop: Header=BB4_3368 Depth=3
	s_andn2_saveexec_b64 s[40:41], s[42:43]
; %bb.3473:                             ;   in Loop: Header=BB4_3368 Depth=3
	v_or_b32_sdwa v37, v20, s71 dst_sel:DWORD dst_unused:UNUSED_PAD src0_sel:BYTE_3 src1_sel:DWORD
; %bb.3474:                             ;   in Loop: Header=BB4_3368 Depth=3
	s_or_b64 exec, exec, s[40:41]
	v_mov_b32_e32 v2, v13
	v_cmp_ne_u16_sdwa s[42:43], v13, v3 src0_sel:BYTE_0 src1_sel:DWORD
	v_mov_b32_e32 v22, 0
	s_and_saveexec_b64 s[40:41], s[42:43]
	s_cbranch_execz .LBB4_3480
; %bb.3475:                             ;   in Loop: Header=BB4_3368 Depth=3
	v_cmp_ne_u16_sdwa s[44:45], v13, s70 src0_sel:BYTE_0 src1_sel:DWORD
	v_bfrev_b32_e32 v22, 1
	s_and_saveexec_b64 s[42:43], s[44:45]
	s_cbranch_execz .LBB4_3479
; %bb.3476:                             ;   in Loop: Header=BB4_3368 Depth=3
	v_and_b32_e32 v1, 0x7f, v13
	v_cmp_ne_u32_e32 vcc, s71, v1
	v_mov_b32_e32 v22, 0x7f800001
	s_and_saveexec_b64 s[38:39], vcc
	s_cbranch_execz .LBB4_3478
; %bb.3477:                             ;   in Loop: Header=BB4_3368 Depth=3
	v_and_b32_e32 v20, 7, v13
	v_lshrrev_b32_e32 v21, 3, v1
	v_cmp_gt_u32_e32 vcc, 8, v1
	v_ffbh_u32_e32 v1, v20
	v_min_u32_e32 v1, 32, v1
	v_subrev_u32_e32 v20, 28, v1
	v_sub_u32_e32 v1, 29, v1
	v_cndmask_b32_e32 v20, 0, v20, vcc
	v_cndmask_b32_e32 v1, v21, v1, vcc
	v_lshlrev_b64 v[20:21], v20, v[2:3]
	v_lshlrev_b32_e32 v21, 24, v2
	v_lshlrev_b32_e32 v20, 20, v20
	v_and_b32_e32 v20, 0x700000, v20
	v_and_b32_e32 v21, 0x80000000, v21
	v_lshl_add_u32 v1, v1, 23, v0
	v_or3_b32 v22, v21, v1, v20
.LBB4_3478:                             ;   in Loop: Header=BB4_3368 Depth=3
	s_or_b64 exec, exec, s[38:39]
.LBB4_3479:                             ;   in Loop: Header=BB4_3368 Depth=3
	s_or_b64 exec, exec, s[42:43]
.LBB4_3480:                             ;   in Loop: Header=BB4_3368 Depth=3
	s_or_b64 exec, exec, s[40:41]
	v_cmp_gt_i16_sdwa s[42:43], v9, s71 src0_sel:BYTE_0 src1_sel:DWORD
	s_mov_b64 s[40:41], 0
	s_and_saveexec_b64 s[44:45], s[42:43]
	s_xor_b64 s[42:43], exec, s[44:45]
	s_cbranch_execz .LBB4_3484
; %bb.3481:                             ;   in Loop: Header=BB4_3368 Depth=3
	v_cmp_eq_u16_sdwa s[44:45], v9, s70 src0_sel:BYTE_0 src1_sel:DWORD
	s_mov_b64 s[40:41], -1
	s_and_saveexec_b64 vcc, s[44:45]
; %bb.3482:                             ;   in Loop: Header=BB4_3368 Depth=3
	s_xor_b64 s[40:41], exec, -1
; %bb.3483:                             ;   in Loop: Header=BB4_3368 Depth=3
	s_or_b64 exec, exec, vcc
	s_and_b64 s[40:41], s[40:41], exec
.LBB4_3484:                             ;   in Loop: Header=BB4_3368 Depth=3
	s_or_saveexec_b64 s[42:43], s[42:43]
	v_bfrev_b32_e32 v1, 1
	s_xor_b64 exec, exec, s[42:43]
; %bb.3485:                             ;   in Loop: Header=BB4_3368 Depth=3
	v_cmp_ne_u16_sdwa s[44:45], v9, v3 src0_sel:BYTE_0 src1_sel:DWORD
	s_andn2_b64 s[40:41], s[40:41], exec
	s_and_b64 s[44:45], s[44:45], exec
	v_mov_b32_e32 v1, 0
	s_or_b64 s[40:41], s[40:41], s[44:45]
; %bb.3486:                             ;   in Loop: Header=BB4_3368 Depth=3
	s_or_b64 exec, exec, s[42:43]
	v_mov_b32_e32 v20, v9
	v_mov_b32_e32 v21, v3
	s_and_saveexec_b64 s[42:43], s[40:41]
	s_cbranch_execz .LBB4_3488
; %bb.3487:                             ;   in Loop: Header=BB4_3368 Depth=3
	v_and_b32_e32 v1, 7, v9
	v_ffbh_u32_e32 v1, v1
	v_and_b32_e32 v23, 0x7f, v9
	v_min_u32_e32 v1, 32, v1
	v_bfe_u32 v36, v9, 3, 4
	v_subrev_u32_e32 v50, 28, v1
	v_sub_u32_e32 v1, 29, v1
	v_cmp_gt_u32_e32 vcc, 8, v23
	v_cndmask_b32_e32 v1, v36, v1, vcc
	v_cndmask_b32_e32 v36, 0, v50, vcc
	v_lshlrev_b64 v[50:51], v36, v[20:21]
	v_lshlrev_b32_e32 v36, 24, v20
	v_lshlrev_b32_e32 v21, 20, v50
	v_and_b32_e32 v21, 0x700000, v21
	v_and_b32_e32 v36, 0x80000000, v36
	v_lshl_add_u32 v1, v1, 23, v0
	v_or3_b32 v1, v36, v1, v21
	v_cmp_ne_u32_e32 vcc, s71, v23
	v_mov_b32_e32 v21, 0x7f800001
	v_cndmask_b32_e32 v1, v21, v1, vcc
.LBB4_3488:                             ;   in Loop: Header=BB4_3368 Depth=3
	s_or_b64 exec, exec, s[42:43]
	v_mul_f32_e32 v21, v22, v1
	v_and_b32_e32 v22, 0x7f800000, v21
	v_mov_b32_e32 v23, v3
	v_cmp_ne_u64_e32 vcc, s[62:63], v[22:23]
                                        ; implicit-def: $vgpr23
	s_and_saveexec_b64 s[40:41], vcc
	s_xor_b64 s[42:43], exec, s[40:41]
	s_cbranch_execz .LBB4_3502
; %bb.3489:                             ;   in Loop: Header=BB4_3368 Depth=3
	v_and_b32_e32 v22, 0x7fffffff, v21
	v_mov_b32_e32 v23, v3
	v_cmp_gt_u64_e32 vcc, s[72:73], v[22:23]
	v_and_b32_sdwa v36, v21, s70 dst_sel:DWORD dst_unused:UNUSED_PAD src0_sel:BYTE_3 src1_sel:DWORD
                                        ; implicit-def: $vgpr23
	s_and_saveexec_b64 s[40:41], vcc
	s_xor_b64 s[38:39], exec, s[40:41]
	s_cbranch_execz .LBB4_3499
; %bb.3490:                             ;   in Loop: Header=BB4_3368 Depth=3
	v_mov_b32_e32 v23, 0
	v_cmp_ne_u32_e32 vcc, 0, v21
	s_and_saveexec_b64 s[48:49], vcc
	s_cbranch_execz .LBB4_3498
; %bb.3491:                             ;   in Loop: Header=BB4_3368 Depth=3
	v_bfe_u32 v50, v21, 23, 8
	v_and_b32_e32 v1, 0x7fffff, v21
	v_cmp_gt_u32_e64 s[40:41], s80, v50
	v_sub_u32_e32 v21, 0x79, v50
	v_cmp_eq_u32_e32 vcc, 0, v50
	v_cndmask_b32_e64 v21, 0, v21, s[40:41]
	v_mov_b32_e32 v23, 0x78
	v_or_b32_e32 v22, 0x800000, v1
	v_cndmask_b32_e32 v51, v21, v23, vcc
	v_cndmask_b32_e32 v21, v22, v1, vcc
	v_add_u32_e32 v1, 20, v51
	v_lshlrev_b64 v[52:53], v1, -1
	v_mov_b32_e32 v22, v3
	v_add_u32_e32 v1, 19, v51
	v_bfi_b32 v52, v52, 0, v21
	v_lshlrev_b64 v[54:55], v1, 1
	v_lshrrev_b64 v[21:22], v51, v[21:22]
	v_bfi_b32 v53, v53, 0, 0
	v_cmp_eq_u64_e64 s[40:41], v[52:53], v[54:55]
	v_mov_b32_e32 v23, v22
	v_mov_b32_e32 v22, v21
	s_and_saveexec_b64 s[50:51], s[40:41]
; %bb.3492:                             ;   in Loop: Header=BB4_3368 Depth=3
	v_bfe_u32 v1, v21, 20, 1
	v_add_co_u32_e64 v1, s[40:41], v21, v1
	v_add_co_u32_e64 v22, s[40:41], -1, v1
; %bb.3493:                             ;   in Loop: Header=BB4_3368 Depth=3
	s_or_b64 exec, exec, s[50:51]
	v_add_u32_e32 v1, 0xffffff81, v50
	v_mov_b32_e32 v23, 0xffffff82
	v_cndmask_b32_e32 v1, v1, v23, vcc
	v_lshrrev_b32_e32 v23, 23, v21
	v_add3_u32 v50, v51, v1, v23
	v_add_u32_e32 v1, 6, v50
	v_and_b32_e32 v22, 0xfffff, v22
	v_add_u32_e32 v21, v22, v21
	v_mov_b32_e32 v22, v3
	v_cmp_ne_u32_e32 vcc, 0, v1
                                        ; implicit-def: $vgpr23
	s_and_saveexec_b64 s[40:41], vcc
	s_xor_b64 s[40:41], exec, s[40:41]
; %bb.3494:                             ;   in Loop: Header=BB4_3368 Depth=3
	v_cmp_lt_u64_e32 vcc, s[88:89], v[21:22]
	v_add_u32_e32 v23, 7, v50
	v_cndmask_b32_e32 v23, v1, v23, vcc
	v_cndmask_b32_e64 v1, 0, 1, vcc
	v_lshrrev_b64 v[21:22], v1, v[21:22]
; %bb.3495:                             ;   in Loop: Header=BB4_3368 Depth=3
	s_andn2_saveexec_b64 s[40:41], s[40:41]
; %bb.3496:                             ;   in Loop: Header=BB4_3368 Depth=3
	v_bfe_u32 v23, v21, 23, 1
; %bb.3497:                             ;   in Loop: Header=BB4_3368 Depth=3
	s_or_b64 exec, exec, s[40:41]
	v_lshrrev_b64 v[21:22], 20, v[21:22]
	v_cmp_gt_i32_e32 vcc, 16, v23
	v_cndmask_b32_e32 v22, 0, v22, vcc
	v_cndmask_b32_e32 v21, 7, v21, vcc
	v_min_i32_e32 v1, 15, v23
	v_cmp_eq_u64_e64 s[40:41], 0, v[21:22]
	v_lshlrev_b32_e32 v1, 3, v1
	v_cmp_eq_u32_e32 vcc, 0, v23
	v_and_b32_e32 v1, 0xf8, v1
	v_and_or_b32 v1, v21, 7, v1
	s_and_b64 s[40:41], vcc, s[40:41]
	v_cndmask_b32_e64 v1, v1, 0, s[40:41]
	v_or_b32_e32 v23, v1, v36
.LBB4_3498:                             ;   in Loop: Header=BB4_3368 Depth=3
	s_or_b64 exec, exec, s[48:49]
                                        ; implicit-def: $vgpr36
.LBB4_3499:                             ;   in Loop: Header=BB4_3368 Depth=3
	s_andn2_saveexec_b64 s[40:41], s[38:39]
; %bb.3500:                             ;   in Loop: Header=BB4_3368 Depth=3
	v_or_b32_e32 v23, 0x7e, v36
; %bb.3501:                             ;   in Loop: Header=BB4_3368 Depth=3
	s_or_b64 exec, exec, s[40:41]
                                        ; implicit-def: $vgpr21
.LBB4_3502:                             ;   in Loop: Header=BB4_3368 Depth=3
	s_andn2_saveexec_b64 s[40:41], s[42:43]
; %bb.3503:                             ;   in Loop: Header=BB4_3368 Depth=3
	v_or_b32_sdwa v23, v21, s71 dst_sel:DWORD dst_unused:UNUSED_PAD src0_sel:BYTE_3 src1_sel:DWORD
; %bb.3504:                             ;   in Loop: Header=BB4_3368 Depth=3
	s_or_b64 exec, exec, s[40:41]
	v_lshrrev_b16_e32 v21, 8, v2
	v_cmp_ne_u16_e32 vcc, 0, v21
	v_mov_b32_e32 v22, 0
	s_and_saveexec_b64 s[40:41], vcc
	s_cbranch_execz .LBB4_3510
; %bb.3505:                             ;   in Loop: Header=BB4_3368 Depth=3
	v_cmp_ne_u16_e32 vcc, s70, v21
	v_bfrev_b32_e32 v22, 1
	s_and_saveexec_b64 s[42:43], vcc
	s_cbranch_execz .LBB4_3509
; %bb.3506:                             ;   in Loop: Header=BB4_3368 Depth=3
	v_and_b32_e32 v1, 0x7f, v21
	v_cmp_ne_u32_e32 vcc, s71, v1
	v_mov_b32_e32 v22, 0x7f800001
	s_and_saveexec_b64 s[38:39], vcc
	s_cbranch_execz .LBB4_3508
; %bb.3507:                             ;   in Loop: Header=BB4_3368 Depth=3
	v_and_b32_e32 v36, 7, v21
	v_lshrrev_b32_e32 v50, 3, v1
	v_cmp_gt_u32_e32 vcc, 8, v1
	v_ffbh_u32_e32 v1, v36
	v_min_u32_e32 v1, 32, v1
	v_subrev_u32_e32 v22, 28, v1
	v_lshlrev_b64 v[21:22], v22, v[21:22]
	v_sub_u32_e32 v1, 29, v1
	v_and_b32_e32 v21, 7, v21
	v_cndmask_b32_e32 v1, v50, v1, vcc
	v_cndmask_b32_e32 v21, v36, v21, vcc
	v_lshlrev_b32_e32 v2, 16, v2
	v_lshlrev_b32_e32 v21, 20, v21
	v_and_b32_e32 v2, 0x80000000, v2
	v_lshl_add_u32 v1, v1, 23, v0
	v_or3_b32 v22, v2, v1, v21
.LBB4_3508:                             ;   in Loop: Header=BB4_3368 Depth=3
	s_or_b64 exec, exec, s[38:39]
.LBB4_3509:                             ;   in Loop: Header=BB4_3368 Depth=3
	s_or_b64 exec, exec, s[42:43]
.LBB4_3510:                             ;   in Loop: Header=BB4_3368 Depth=3
	s_or_b64 exec, exec, s[40:41]
	v_lshrrev_b16_e32 v2, 8, v20
	v_cmp_lt_i16_e32 vcc, s71, v2
	s_mov_b64 s[40:41], 0
	s_and_saveexec_b64 s[42:43], vcc
	s_xor_b64 s[42:43], exec, s[42:43]
	s_cbranch_execz .LBB4_3805
; %bb.3511:                             ;   in Loop: Header=BB4_3368 Depth=3
	v_cmp_eq_u16_e32 vcc, s70, v2
	s_mov_b64 s[40:41], -1
	s_and_saveexec_b64 s[38:39], vcc
; %bb.3512:                             ;   in Loop: Header=BB4_3368 Depth=3
	s_xor_b64 s[40:41], exec, -1
; %bb.3513:                             ;   in Loop: Header=BB4_3368 Depth=3
	s_or_b64 exec, exec, s[38:39]
	s_and_b64 s[40:41], s[40:41], exec
	s_or_saveexec_b64 s[42:43], s[42:43]
	v_bfrev_b32_e32 v1, 1
	s_xor_b64 exec, exec, s[42:43]
	s_cbranch_execnz .LBB4_3806
.LBB4_3514:                             ;   in Loop: Header=BB4_3368 Depth=3
	s_or_b64 exec, exec, s[42:43]
	s_and_saveexec_b64 s[42:43], s[40:41]
	s_cbranch_execz .LBB4_3516
.LBB4_3515:                             ;   in Loop: Header=BB4_3368 Depth=3
	v_and_b32_e32 v1, 7, v2
	v_ffbh_u32_e32 v20, v1
	v_min_u32_e32 v51, 32, v20
	v_subrev_u32_e32 v20, 28, v51
	v_lshlrev_b64 v[20:21], v20, v[2:3]
	v_and_b32_e32 v36, 0x7f, v2
	v_bfe_u32 v50, v2, 3, 4
	v_sub_u32_e32 v21, 29, v51
	v_and_b32_e32 v20, 7, v20
	v_cmp_gt_u32_e32 vcc, 8, v36
	v_cndmask_b32_e32 v21, v50, v21, vcc
	v_cndmask_b32_e32 v1, v1, v20, vcc
	v_lshlrev_b32_e32 v2, 24, v2
	v_lshlrev_b32_e32 v1, 20, v1
	v_and_b32_e32 v2, 0x80000000, v2
	v_lshl_add_u32 v20, v21, 23, v0
	v_or3_b32 v1, v2, v20, v1
	v_cmp_ne_u32_e32 vcc, s71, v36
	v_mov_b32_e32 v2, 0x7f800001
	v_cndmask_b32_e32 v1, v2, v1, vcc
.LBB4_3516:                             ;   in Loop: Header=BB4_3368 Depth=3
	s_or_b64 exec, exec, s[42:43]
	v_mul_f32_e32 v20, v22, v1
	v_and_b32_e32 v2, 0x7f800000, v20
	v_cmp_ne_u64_e32 vcc, s[62:63], v[2:3]
                                        ; implicit-def: $vgpr36
	s_and_saveexec_b64 s[40:41], vcc
	s_xor_b64 s[42:43], exec, s[40:41]
	s_cbranch_execz .LBB4_3530
; %bb.3517:                             ;   in Loop: Header=BB4_3368 Depth=3
	v_and_b32_e32 v2, 0x7fffffff, v20
	v_cmp_gt_u64_e32 vcc, s[72:73], v[2:3]
	v_and_b32_sdwa v50, v20, s70 dst_sel:DWORD dst_unused:UNUSED_PAD src0_sel:BYTE_3 src1_sel:DWORD
                                        ; implicit-def: $vgpr36
	s_and_saveexec_b64 s[40:41], vcc
	s_xor_b64 s[38:39], exec, s[40:41]
	s_cbranch_execz .LBB4_3527
; %bb.3518:                             ;   in Loop: Header=BB4_3368 Depth=3
	v_mov_b32_e32 v36, 0
	v_cmp_ne_u32_e32 vcc, 0, v20
	s_and_saveexec_b64 s[48:49], vcc
	s_cbranch_execz .LBB4_3526
; %bb.3519:                             ;   in Loop: Header=BB4_3368 Depth=3
	v_bfe_u32 v36, v20, 23, 8
	v_cmp_gt_u32_e64 s[40:41], s80, v36
	v_sub_u32_e32 v2, 0x79, v36
	v_and_b32_e32 v1, 0x7fffff, v20
	v_cmp_eq_u32_e32 vcc, 0, v36
	v_cndmask_b32_e64 v2, 0, v2, s[40:41]
	v_mov_b32_e32 v21, 0x78
	v_or_b32_e32 v20, 0x800000, v1
	v_cndmask_b32_e32 v51, v2, v21, vcc
	v_cndmask_b32_e32 v2, v20, v1, vcc
	v_add_u32_e32 v1, 20, v51
	v_lshlrev_b64 v[20:21], v1, -1
	v_add_u32_e32 v1, 19, v51
	v_lshlrev_b64 v[52:53], v1, 1
	v_bfi_b32 v21, v21, 0, 0
	v_bfi_b32 v20, v20, 0, v2
	v_cmp_eq_u64_e64 s[40:41], v[20:21], v[52:53]
	v_lshrrev_b64 v[20:21], v51, v[2:3]
	v_mov_b32_e32 v22, v21
	v_mov_b32_e32 v21, v20
	s_and_saveexec_b64 s[50:51], s[40:41]
; %bb.3520:                             ;   in Loop: Header=BB4_3368 Depth=3
	v_bfe_u32 v1, v20, 20, 1
	v_add_co_u32_e64 v1, s[40:41], v20, v1
	v_add_co_u32_e64 v21, s[40:41], -1, v1
; %bb.3521:                             ;   in Loop: Header=BB4_3368 Depth=3
	s_or_b64 exec, exec, s[50:51]
	v_add_u32_e32 v1, 0xffffff81, v36
	v_mov_b32_e32 v2, 0xffffff82
	v_cndmask_b32_e32 v1, v1, v2, vcc
	v_lshrrev_b32_e32 v2, 23, v20
	v_add3_u32 v36, v51, v1, v2
	v_add_u32_e32 v1, 6, v36
	v_and_b32_e32 v2, 0xfffff, v21
	v_add_u32_e32 v2, v2, v20
	v_cmp_ne_u32_e32 vcc, 0, v1
                                        ; implicit-def: $vgpr20_vgpr21
                                        ; implicit-def: $vgpr22
	s_and_saveexec_b64 s[40:41], vcc
	s_xor_b64 s[40:41], exec, s[40:41]
; %bb.3522:                             ;   in Loop: Header=BB4_3368 Depth=3
	v_cmp_lt_u64_e32 vcc, s[88:89], v[2:3]
	v_add_u32_e32 v20, 7, v36
	v_cndmask_b32_e32 v22, v1, v20, vcc
	v_cndmask_b32_e64 v1, 0, 1, vcc
	v_lshrrev_b64 v[20:21], v1, v[2:3]
; %bb.3523:                             ;   in Loop: Header=BB4_3368 Depth=3
	s_andn2_saveexec_b64 s[40:41], s[40:41]
; %bb.3524:                             ;   in Loop: Header=BB4_3368 Depth=3
	v_mov_b32_e32 v21, v3
	v_bfe_u32 v22, v2, 23, 1
	v_mov_b32_e32 v20, v2
; %bb.3525:                             ;   in Loop: Header=BB4_3368 Depth=3
	s_or_b64 exec, exec, s[40:41]
	v_lshrrev_b64 v[1:2], 20, v[20:21]
	v_cmp_gt_i32_e32 vcc, 16, v22
	v_cndmask_b32_e32 v2, 0, v2, vcc
	v_cndmask_b32_e32 v1, 7, v1, vcc
	v_cmp_eq_u64_e64 s[40:41], 0, v[1:2]
	v_min_i32_e32 v2, 15, v22
	v_lshlrev_b32_e32 v2, 3, v2
	v_cmp_eq_u32_e32 vcc, 0, v22
	v_and_b32_e32 v2, 0xf8, v2
	v_and_or_b32 v1, v1, 7, v2
	s_and_b64 s[40:41], vcc, s[40:41]
	v_cndmask_b32_e64 v1, v1, 0, s[40:41]
	v_or_b32_e32 v36, v1, v50
.LBB4_3526:                             ;   in Loop: Header=BB4_3368 Depth=3
	s_or_b64 exec, exec, s[48:49]
                                        ; implicit-def: $vgpr50
.LBB4_3527:                             ;   in Loop: Header=BB4_3368 Depth=3
	s_andn2_saveexec_b64 s[40:41], s[38:39]
; %bb.3528:                             ;   in Loop: Header=BB4_3368 Depth=3
	v_or_b32_e32 v36, 0x7e, v50
; %bb.3529:                             ;   in Loop: Header=BB4_3368 Depth=3
	s_or_b64 exec, exec, s[40:41]
                                        ; implicit-def: $vgpr20
.LBB4_3530:                             ;   in Loop: Header=BB4_3368 Depth=3
	s_andn2_saveexec_b64 s[40:41], s[42:43]
; %bb.3531:                             ;   in Loop: Header=BB4_3368 Depth=3
	v_or_b32_sdwa v36, v20, s71 dst_sel:DWORD dst_unused:UNUSED_PAD src0_sel:BYTE_3 src1_sel:DWORD
; %bb.3532:                             ;   in Loop: Header=BB4_3368 Depth=3
	s_or_b64 exec, exec, s[40:41]
	v_lshrrev_b32_e32 v2, 16, v13
	v_cmp_ne_u16_sdwa s[42:43], v2, v3 src0_sel:BYTE_0 src1_sel:DWORD
	v_mov_b32_e32 v20, 0
	s_and_saveexec_b64 s[40:41], s[42:43]
	s_cbranch_execz .LBB4_3538
; %bb.3533:                             ;   in Loop: Header=BB4_3368 Depth=3
	v_cmp_ne_u16_sdwa s[44:45], v2, s70 src0_sel:BYTE_0 src1_sel:DWORD
	v_bfrev_b32_e32 v20, 1
	s_and_saveexec_b64 s[42:43], s[44:45]
	s_cbranch_execz .LBB4_3537
; %bb.3534:                             ;   in Loop: Header=BB4_3368 Depth=3
	v_bfe_u32 v1, v13, 16, 7
	v_cmp_ne_u32_e32 vcc, s71, v1
	v_mov_b32_e32 v20, 0x7f800001
	s_and_saveexec_b64 s[38:39], vcc
	s_cbranch_execz .LBB4_3536
; %bb.3535:                             ;   in Loop: Header=BB4_3368 Depth=3
	v_and_b32_e32 v22, 7, v2
	v_lshrrev_b32_e32 v50, 3, v1
	v_cmp_gt_u32_e32 vcc, 8, v1
	v_ffbh_u32_e32 v1, v22
	v_min_u32_e32 v1, 32, v1
	v_subrev_u32_e32 v20, 28, v1
	v_lshlrev_b64 v[20:21], v20, v[2:3]
	v_sub_u32_e32 v1, 29, v1
	v_and_b32_e32 v20, 7, v20
	v_cndmask_b32_e32 v1, v50, v1, vcc
	v_cndmask_b32_e32 v20, v22, v20, vcc
	v_lshlrev_b32_e32 v2, 24, v2
	v_lshlrev_b32_e32 v20, 20, v20
	v_and_b32_e32 v2, 0x80000000, v2
	v_lshl_add_u32 v1, v1, 23, v0
	v_or3_b32 v20, v2, v1, v20
.LBB4_3536:                             ;   in Loop: Header=BB4_3368 Depth=3
	s_or_b64 exec, exec, s[38:39]
.LBB4_3537:                             ;   in Loop: Header=BB4_3368 Depth=3
	s_or_b64 exec, exec, s[42:43]
.LBB4_3538:                             ;   in Loop: Header=BB4_3368 Depth=3
	s_or_b64 exec, exec, s[40:41]
	v_lshrrev_b32_e32 v2, 16, v9
	v_cmp_gt_i16_sdwa s[42:43], v2, s71 src0_sel:BYTE_0 src1_sel:DWORD
	s_mov_b64 s[40:41], 0
	s_and_saveexec_b64 s[44:45], s[42:43]
	s_xor_b64 s[42:43], exec, s[44:45]
	s_cbranch_execz .LBB4_3807
; %bb.3539:                             ;   in Loop: Header=BB4_3368 Depth=3
	v_cmp_eq_u16_sdwa s[44:45], v2, s70 src0_sel:BYTE_0 src1_sel:DWORD
	s_mov_b64 s[40:41], -1
	s_and_saveexec_b64 vcc, s[44:45]
; %bb.3540:                             ;   in Loop: Header=BB4_3368 Depth=3
	s_xor_b64 s[40:41], exec, -1
; %bb.3541:                             ;   in Loop: Header=BB4_3368 Depth=3
	s_or_b64 exec, exec, vcc
	s_and_b64 s[40:41], s[40:41], exec
	s_or_saveexec_b64 s[42:43], s[42:43]
	v_bfrev_b32_e32 v1, 1
	s_xor_b64 exec, exec, s[42:43]
	s_cbranch_execnz .LBB4_3808
.LBB4_3542:                             ;   in Loop: Header=BB4_3368 Depth=3
	s_or_b64 exec, exec, s[42:43]
	s_and_saveexec_b64 s[42:43], s[40:41]
	s_cbranch_execz .LBB4_3544
.LBB4_3543:                             ;   in Loop: Header=BB4_3368 Depth=3
	v_and_b32_e32 v1, 7, v2
	v_ffbh_u32_e32 v21, v1
	v_min_u32_e32 v52, 32, v21
	v_subrev_u32_e32 v21, 28, v52
	v_lshlrev_b64 v[21:22], v21, v[2:3]
	v_and_b32_e32 v50, 0x7f, v2
	v_bfe_u32 v51, v2, 3, 4
	v_sub_u32_e32 v22, 29, v52
	v_and_b32_e32 v21, 7, v21
	v_cmp_gt_u32_e32 vcc, 8, v50
	v_cndmask_b32_e32 v22, v51, v22, vcc
	v_cndmask_b32_e32 v1, v1, v21, vcc
	v_lshlrev_b32_e32 v2, 24, v2
	v_lshlrev_b32_e32 v1, 20, v1
	v_and_b32_e32 v2, 0x80000000, v2
	v_lshl_add_u32 v21, v22, 23, v0
	v_or3_b32 v1, v2, v21, v1
	v_cmp_ne_u32_e32 vcc, s71, v50
	v_mov_b32_e32 v2, 0x7f800001
	v_cndmask_b32_e32 v1, v2, v1, vcc
.LBB4_3544:                             ;   in Loop: Header=BB4_3368 Depth=3
	s_or_b64 exec, exec, s[42:43]
	v_mul_f32_e32 v20, v20, v1
	v_and_b32_e32 v2, 0x7f800000, v20
	v_cmp_ne_u64_e32 vcc, s[62:63], v[2:3]
                                        ; implicit-def: $vgpr22
	s_and_saveexec_b64 s[40:41], vcc
	s_xor_b64 s[42:43], exec, s[40:41]
	s_cbranch_execz .LBB4_3558
; %bb.3545:                             ;   in Loop: Header=BB4_3368 Depth=3
	v_and_b32_e32 v2, 0x7fffffff, v20
	v_cmp_gt_u64_e32 vcc, s[72:73], v[2:3]
	v_and_b32_sdwa v50, v20, s70 dst_sel:DWORD dst_unused:UNUSED_PAD src0_sel:BYTE_3 src1_sel:DWORD
                                        ; implicit-def: $vgpr22
	s_and_saveexec_b64 s[40:41], vcc
	s_xor_b64 s[38:39], exec, s[40:41]
	s_cbranch_execz .LBB4_3555
; %bb.3546:                             ;   in Loop: Header=BB4_3368 Depth=3
	v_mov_b32_e32 v22, 0
	v_cmp_ne_u32_e32 vcc, 0, v20
	s_and_saveexec_b64 s[48:49], vcc
	s_cbranch_execz .LBB4_3554
; %bb.3547:                             ;   in Loop: Header=BB4_3368 Depth=3
	v_bfe_u32 v51, v20, 23, 8
	v_cmp_gt_u32_e64 s[40:41], s80, v51
	v_sub_u32_e32 v2, 0x79, v51
	v_and_b32_e32 v1, 0x7fffff, v20
	v_cmp_eq_u32_e32 vcc, 0, v51
	v_cndmask_b32_e64 v2, 0, v2, s[40:41]
	v_mov_b32_e32 v21, 0x78
	v_or_b32_e32 v20, 0x800000, v1
	v_cndmask_b32_e32 v52, v2, v21, vcc
	v_cndmask_b32_e32 v2, v20, v1, vcc
	v_add_u32_e32 v1, 20, v52
	v_lshlrev_b64 v[20:21], v1, -1
	v_add_u32_e32 v1, 19, v52
	v_lshlrev_b64 v[53:54], v1, 1
	v_bfi_b32 v21, v21, 0, 0
	v_bfi_b32 v20, v20, 0, v2
	v_cmp_eq_u64_e64 s[40:41], v[20:21], v[53:54]
	v_lshrrev_b64 v[20:21], v52, v[2:3]
	v_mov_b32_e32 v22, v21
	v_mov_b32_e32 v21, v20
	s_and_saveexec_b64 s[50:51], s[40:41]
; %bb.3548:                             ;   in Loop: Header=BB4_3368 Depth=3
	v_bfe_u32 v1, v20, 20, 1
	v_add_co_u32_e64 v1, s[40:41], v20, v1
	v_add_co_u32_e64 v21, s[40:41], -1, v1
; %bb.3549:                             ;   in Loop: Header=BB4_3368 Depth=3
	s_or_b64 exec, exec, s[50:51]
	v_add_u32_e32 v1, 0xffffff81, v51
	v_mov_b32_e32 v2, 0xffffff82
	v_cndmask_b32_e32 v1, v1, v2, vcc
	v_lshrrev_b32_e32 v2, 23, v20
	v_add3_u32 v51, v52, v1, v2
	v_add_u32_e32 v1, 6, v51
	v_and_b32_e32 v2, 0xfffff, v21
	v_add_u32_e32 v2, v2, v20
	v_cmp_ne_u32_e32 vcc, 0, v1
                                        ; implicit-def: $vgpr20_vgpr21
                                        ; implicit-def: $vgpr22
	s_and_saveexec_b64 s[40:41], vcc
	s_xor_b64 s[40:41], exec, s[40:41]
; %bb.3550:                             ;   in Loop: Header=BB4_3368 Depth=3
	v_cmp_lt_u64_e32 vcc, s[88:89], v[2:3]
	v_add_u32_e32 v20, 7, v51
	v_cndmask_b32_e32 v22, v1, v20, vcc
	v_cndmask_b32_e64 v1, 0, 1, vcc
	v_lshrrev_b64 v[20:21], v1, v[2:3]
; %bb.3551:                             ;   in Loop: Header=BB4_3368 Depth=3
	s_andn2_saveexec_b64 s[40:41], s[40:41]
; %bb.3552:                             ;   in Loop: Header=BB4_3368 Depth=3
	v_mov_b32_e32 v21, v3
	v_bfe_u32 v22, v2, 23, 1
	v_mov_b32_e32 v20, v2
; %bb.3553:                             ;   in Loop: Header=BB4_3368 Depth=3
	s_or_b64 exec, exec, s[40:41]
	v_lshrrev_b64 v[1:2], 20, v[20:21]
	v_cmp_gt_i32_e32 vcc, 16, v22
	v_cndmask_b32_e32 v2, 0, v2, vcc
	v_cndmask_b32_e32 v1, 7, v1, vcc
	v_cmp_eq_u64_e64 s[40:41], 0, v[1:2]
	v_min_i32_e32 v2, 15, v22
	v_lshlrev_b32_e32 v2, 3, v2
	v_cmp_eq_u32_e32 vcc, 0, v22
	v_and_b32_e32 v2, 0xf8, v2
	v_and_or_b32 v1, v1, 7, v2
	s_and_b64 s[40:41], vcc, s[40:41]
	v_cndmask_b32_e64 v1, v1, 0, s[40:41]
	v_or_b32_e32 v22, v1, v50
.LBB4_3554:                             ;   in Loop: Header=BB4_3368 Depth=3
	s_or_b64 exec, exec, s[48:49]
                                        ; implicit-def: $vgpr50
.LBB4_3555:                             ;   in Loop: Header=BB4_3368 Depth=3
	s_andn2_saveexec_b64 s[40:41], s[38:39]
; %bb.3556:                             ;   in Loop: Header=BB4_3368 Depth=3
	v_or_b32_e32 v22, 0x7e, v50
; %bb.3557:                             ;   in Loop: Header=BB4_3368 Depth=3
	s_or_b64 exec, exec, s[40:41]
                                        ; implicit-def: $vgpr20
.LBB4_3558:                             ;   in Loop: Header=BB4_3368 Depth=3
	s_andn2_saveexec_b64 s[40:41], s[42:43]
; %bb.3559:                             ;   in Loop: Header=BB4_3368 Depth=3
	v_or_b32_sdwa v22, v20, s71 dst_sel:DWORD dst_unused:UNUSED_PAD src0_sel:BYTE_3 src1_sel:DWORD
; %bb.3560:                             ;   in Loop: Header=BB4_3368 Depth=3
	s_or_b64 exec, exec, s[40:41]
	v_cmp_lt_u64_e32 vcc, s[56:57], v[12:13]
	v_mov_b32_e32 v12, 0
	s_and_saveexec_b64 s[40:41], vcc
	s_cbranch_execz .LBB4_3566
; %bb.3561:                             ;   in Loop: Header=BB4_3368 Depth=3
	v_lshrrev_b32_e32 v2, 24, v13
	v_cmp_ne_u32_e32 vcc, s70, v2
	v_bfrev_b32_e32 v12, 1
	s_and_saveexec_b64 s[42:43], vcc
	s_cbranch_execz .LBB4_3565
; %bb.3562:                             ;   in Loop: Header=BB4_3368 Depth=3
	v_bfe_u32 v1, v13, 24, 7
	v_cmp_ne_u32_e32 vcc, s71, v1
	v_mov_b32_e32 v12, 0x7f800001
	s_and_saveexec_b64 s[38:39], vcc
	s_cbranch_execz .LBB4_3564
; %bb.3563:                             ;   in Loop: Header=BB4_3368 Depth=3
	v_and_b32_e32 v20, 7, v2
	v_lshrrev_b32_e32 v21, 3, v1
	v_cmp_gt_u32_e32 vcc, 8, v1
	v_ffbh_u32_e32 v1, v20
	v_min_u32_e32 v1, 32, v1
	v_subrev_u32_e32 v12, 28, v1
	v_lshlrev_b64 v[12:13], v12, v[2:3]
	v_sub_u32_e32 v1, 29, v1
	v_and_b32_e32 v12, 7, v12
	v_cndmask_b32_e32 v1, v21, v1, vcc
	v_cndmask_b32_e32 v12, v20, v12, vcc
	v_lshlrev_b32_e32 v2, 24, v2
	v_lshlrev_b32_e32 v12, 20, v12
	v_and_b32_e32 v2, 0x80000000, v2
	v_lshl_add_u32 v1, v1, 23, v0
	v_or3_b32 v12, v2, v1, v12
.LBB4_3564:                             ;   in Loop: Header=BB4_3368 Depth=3
	s_or_b64 exec, exec, s[38:39]
.LBB4_3565:                             ;   in Loop: Header=BB4_3368 Depth=3
	s_or_b64 exec, exec, s[42:43]
.LBB4_3566:                             ;   in Loop: Header=BB4_3368 Depth=3
	s_or_b64 exec, exec, s[40:41]
	v_bfe_u32 v2, v9, 24, 3
	v_ffbh_u32_e32 v20, v2
	v_min_u32_e32 v51, 32, v20
	v_lshrrev_b32_e32 v1, 24, v9
	v_subrev_u32_e32 v20, 28, v51
	v_lshlrev_b64 v[20:21], v20, v[1:2]
	v_bfe_u32 v13, v9, 24, 7
	v_bfe_u32 v50, v1, 3, 4
	v_sub_u32_e32 v21, 29, v51
	v_and_b32_e32 v20, 7, v20
	v_cmp_gt_u32_e32 vcc, 8, v13
	v_cndmask_b32_e32 v21, v50, v21, vcc
	v_cndmask_b32_e32 v2, v2, v20, vcc
	v_lshlrev_b32_e32 v2, 20, v2
	v_and_b32_e32 v20, 0x80000000, v9
	v_lshl_add_u32 v21, v21, 23, v0
	v_or3_b32 v2, v20, v21, v2
	v_cmp_ne_u32_e32 vcc, s71, v13
	v_mov_b32_e32 v13, 0x7f800001
	v_cndmask_b32_e32 v2, v13, v2, vcc
	v_cmp_ne_u32_e32 vcc, s70, v1
	v_bfrev_b32_e32 v1, 1
	v_cndmask_b32_e32 v1, v1, v2, vcc
	v_cmp_lt_u64_e32 vcc, s[56:57], v[8:9]
                                        ; implicit-def: $vgpr52
	v_cndmask_b32_e32 v1, 0, v1, vcc
	v_mul_f32_e32 v8, v1, v12
	v_and_b32_e32 v2, 0x7f800000, v8
	v_cmp_ne_u64_e32 vcc, s[62:63], v[2:3]
	s_and_saveexec_b64 s[40:41], vcc
	s_xor_b64 s[42:43], exec, s[40:41]
	s_cbranch_execz .LBB4_3580
; %bb.3567:                             ;   in Loop: Header=BB4_3368 Depth=3
	v_and_b32_e32 v2, 0x7fffffff, v8
	v_cmp_gt_u64_e32 vcc, s[72:73], v[2:3]
	v_and_b32_sdwa v20, v8, s70 dst_sel:DWORD dst_unused:UNUSED_PAD src0_sel:BYTE_3 src1_sel:DWORD
                                        ; implicit-def: $vgpr52
	s_and_saveexec_b64 s[40:41], vcc
	s_xor_b64 s[38:39], exec, s[40:41]
	s_cbranch_execz .LBB4_3577
; %bb.3568:                             ;   in Loop: Header=BB4_3368 Depth=3
	v_mov_b32_e32 v52, 0
	v_cmp_ne_u32_e32 vcc, 0, v8
	s_and_saveexec_b64 s[48:49], vcc
	s_cbranch_execz .LBB4_3576
; %bb.3569:                             ;   in Loop: Header=BB4_3368 Depth=3
	v_bfe_u32 v21, v8, 23, 8
	v_cmp_gt_u32_e64 s[40:41], s80, v21
	v_sub_u32_e32 v2, 0x79, v21
	v_and_b32_e32 v1, 0x7fffff, v8
	v_cmp_eq_u32_e32 vcc, 0, v21
	v_cndmask_b32_e64 v2, 0, v2, s[40:41]
	v_mov_b32_e32 v9, 0x78
	v_or_b32_e32 v8, 0x800000, v1
	v_cndmask_b32_e32 v50, v2, v9, vcc
	v_cndmask_b32_e32 v2, v8, v1, vcc
	v_add_u32_e32 v1, 20, v50
	v_lshlrev_b64 v[8:9], v1, -1
	v_add_u32_e32 v1, 19, v50
	v_lshlrev_b64 v[12:13], v1, 1
	v_bfi_b32 v9, v9, 0, 0
	v_bfi_b32 v8, v8, 0, v2
	v_cmp_eq_u64_e64 s[40:41], v[8:9], v[12:13]
	v_lshrrev_b64 v[8:9], v50, v[2:3]
	v_mov_b32_e32 v13, v9
	v_mov_b32_e32 v12, v8
	s_and_saveexec_b64 s[50:51], s[40:41]
; %bb.3570:                             ;   in Loop: Header=BB4_3368 Depth=3
	v_bfe_u32 v1, v8, 20, 1
	v_add_co_u32_e64 v1, s[40:41], v8, v1
	v_add_co_u32_e64 v12, s[40:41], -1, v1
; %bb.3571:                             ;   in Loop: Header=BB4_3368 Depth=3
	s_or_b64 exec, exec, s[50:51]
	v_add_u32_e32 v1, 0xffffff81, v21
	v_mov_b32_e32 v2, 0xffffff82
	v_cndmask_b32_e32 v1, v1, v2, vcc
	v_lshrrev_b32_e32 v2, 23, v8
	v_add3_u32 v13, v50, v1, v2
	v_add_u32_e32 v1, 6, v13
	v_and_b32_e32 v2, 0xfffff, v12
	v_add_u32_e32 v2, v2, v8
	v_cmp_ne_u32_e32 vcc, 0, v1
                                        ; implicit-def: $vgpr8_vgpr9
                                        ; implicit-def: $vgpr12
	s_and_saveexec_b64 s[40:41], vcc
	s_xor_b64 s[40:41], exec, s[40:41]
; %bb.3572:                             ;   in Loop: Header=BB4_3368 Depth=3
	v_cmp_lt_u64_e32 vcc, s[88:89], v[2:3]
	v_add_u32_e32 v8, 7, v13
	v_cndmask_b32_e32 v12, v1, v8, vcc
	v_cndmask_b32_e64 v1, 0, 1, vcc
	v_lshrrev_b64 v[8:9], v1, v[2:3]
; %bb.3573:                             ;   in Loop: Header=BB4_3368 Depth=3
	s_andn2_saveexec_b64 s[40:41], s[40:41]
; %bb.3574:                             ;   in Loop: Header=BB4_3368 Depth=3
	v_mov_b32_e32 v9, v3
	v_bfe_u32 v12, v2, 23, 1
	v_mov_b32_e32 v8, v2
; %bb.3575:                             ;   in Loop: Header=BB4_3368 Depth=3
	s_or_b64 exec, exec, s[40:41]
	v_lshrrev_b64 v[1:2], 20, v[8:9]
	v_cmp_gt_i32_e32 vcc, 16, v12
	v_cndmask_b32_e32 v2, 0, v2, vcc
	v_cndmask_b32_e32 v1, 7, v1, vcc
	v_cmp_eq_u64_e64 s[40:41], 0, v[1:2]
	v_min_i32_e32 v2, 15, v12
	v_lshlrev_b32_e32 v2, 3, v2
	v_cmp_eq_u32_e32 vcc, 0, v12
	v_and_b32_e32 v2, 0xf8, v2
	v_and_or_b32 v1, v1, 7, v2
	s_and_b64 s[40:41], vcc, s[40:41]
	v_cndmask_b32_e64 v1, v1, 0, s[40:41]
	v_or_b32_e32 v52, v1, v20
.LBB4_3576:                             ;   in Loop: Header=BB4_3368 Depth=3
	s_or_b64 exec, exec, s[48:49]
                                        ; implicit-def: $vgpr20
.LBB4_3577:                             ;   in Loop: Header=BB4_3368 Depth=3
	s_andn2_saveexec_b64 s[40:41], s[38:39]
; %bb.3578:                             ;   in Loop: Header=BB4_3368 Depth=3
	v_or_b32_e32 v52, 0x7e, v20
; %bb.3579:                             ;   in Loop: Header=BB4_3368 Depth=3
	s_or_b64 exec, exec, s[40:41]
                                        ; implicit-def: $vgpr8
.LBB4_3580:                             ;   in Loop: Header=BB4_3368 Depth=3
	s_andn2_saveexec_b64 s[40:41], s[42:43]
; %bb.3581:                             ;   in Loop: Header=BB4_3368 Depth=3
	v_or_b32_sdwa v52, v8, s71 dst_sel:DWORD dst_unused:UNUSED_PAD src0_sel:BYTE_3 src1_sel:DWORD
; %bb.3582:                             ;   in Loop: Header=BB4_3368 Depth=3
	s_or_b64 exec, exec, s[40:41]
	v_cmp_ne_u16_sdwa s[42:43], v14, v3 src0_sel:BYTE_0 src1_sel:DWORD
	v_mov_b32_e32 v2, 0
	s_and_saveexec_b64 s[40:41], s[42:43]
	s_cbranch_execz .LBB4_3588
; %bb.3583:                             ;   in Loop: Header=BB4_3368 Depth=3
	v_cmp_ne_u16_sdwa s[44:45], v14, s70 src0_sel:BYTE_0 src1_sel:DWORD
	v_bfrev_b32_e32 v2, 1
	s_and_saveexec_b64 s[42:43], s[44:45]
	s_cbranch_execz .LBB4_3587
; %bb.3584:                             ;   in Loop: Header=BB4_3368 Depth=3
	v_and_b32_e32 v1, 0x7f, v14
	v_cmp_ne_u32_e32 vcc, s71, v1
	v_mov_b32_e32 v2, 0x7f800001
	s_and_saveexec_b64 s[38:39], vcc
	s_cbranch_execz .LBB4_3586
; %bb.3585:                             ;   in Loop: Header=BB4_3368 Depth=3
	v_and_b32_e32 v2, 7, v14
	v_lshrrev_b32_e32 v8, 3, v1
	v_cmp_gt_u32_e32 vcc, 8, v1
	v_ffbh_u32_e32 v1, v2
	v_min_u32_e32 v1, 32, v1
	v_subrev_u32_e32 v2, 28, v1
	v_sub_u32_e32 v1, 29, v1
	v_cndmask_b32_e32 v8, v8, v1, vcc
	v_cndmask_b32_e32 v1, 0, v2, vcc
	v_lshlrev_b64 v[1:2], v1, v[14:15]
	v_lshlrev_b32_e32 v2, 24, v14
	v_lshlrev_b32_e32 v1, 20, v1
	v_and_b32_e32 v1, 0x700000, v1
	v_and_b32_e32 v2, 0x80000000, v2
	v_lshl_add_u32 v8, v8, 23, v0
	v_or3_b32 v2, v2, v8, v1
.LBB4_3586:                             ;   in Loop: Header=BB4_3368 Depth=3
	s_or_b64 exec, exec, s[38:39]
.LBB4_3587:                             ;   in Loop: Header=BB4_3368 Depth=3
	s_or_b64 exec, exec, s[42:43]
.LBB4_3588:                             ;   in Loop: Header=BB4_3368 Depth=3
	s_or_b64 exec, exec, s[40:41]
	v_cmp_gt_i16_sdwa s[42:43], v10, s71 src0_sel:BYTE_0 src1_sel:DWORD
	s_mov_b64 s[40:41], 0
	s_and_saveexec_b64 s[44:45], s[42:43]
	s_xor_b64 s[42:43], exec, s[44:45]
	s_cbranch_execz .LBB4_3809
; %bb.3589:                             ;   in Loop: Header=BB4_3368 Depth=3
	v_cmp_eq_u16_sdwa s[44:45], v10, s70 src0_sel:BYTE_0 src1_sel:DWORD
	s_mov_b64 s[40:41], -1
	s_and_saveexec_b64 vcc, s[44:45]
; %bb.3590:                             ;   in Loop: Header=BB4_3368 Depth=3
	s_xor_b64 s[40:41], exec, -1
; %bb.3591:                             ;   in Loop: Header=BB4_3368 Depth=3
	s_or_b64 exec, exec, vcc
	s_and_b64 s[40:41], s[40:41], exec
	s_or_saveexec_b64 s[42:43], s[42:43]
	v_bfrev_b32_e32 v1, 1
	s_xor_b64 exec, exec, s[42:43]
	s_cbranch_execnz .LBB4_3810
.LBB4_3592:                             ;   in Loop: Header=BB4_3368 Depth=3
	s_or_b64 exec, exec, s[42:43]
	s_and_saveexec_b64 s[42:43], s[40:41]
	s_cbranch_execz .LBB4_3594
.LBB4_3593:                             ;   in Loop: Header=BB4_3368 Depth=3
	v_and_b32_e32 v1, 7, v10
	v_ffbh_u32_e32 v1, v1
	v_and_b32_e32 v12, 0x7f, v10
	v_min_u32_e32 v1, 32, v1
	v_bfe_u32 v8, v10, 3, 4
	v_subrev_u32_e32 v9, 28, v1
	v_sub_u32_e32 v1, 29, v1
	v_cmp_gt_u32_e32 vcc, 8, v12
	v_cndmask_b32_e32 v1, v8, v1, vcc
	v_cndmask_b32_e32 v8, 0, v9, vcc
	v_lshlrev_b64 v[8:9], v8, v[10:11]
	v_lshlrev_b32_e32 v9, 24, v10
	v_lshlrev_b32_e32 v8, 20, v8
	v_and_b32_e32 v8, 0x700000, v8
	v_and_b32_e32 v9, 0x80000000, v9
	v_lshl_add_u32 v1, v1, 23, v0
	v_or3_b32 v1, v9, v1, v8
	v_cmp_ne_u32_e32 vcc, s71, v12
	v_mov_b32_e32 v8, 0x7f800001
	v_cndmask_b32_e32 v1, v8, v1, vcc
.LBB4_3594:                             ;   in Loop: Header=BB4_3368 Depth=3
	s_or_b64 exec, exec, s[42:43]
	v_mul_f32_e32 v8, v2, v1
	v_and_b32_e32 v2, 0x7f800000, v8
	v_cmp_ne_u64_e32 vcc, s[62:63], v[2:3]
                                        ; implicit-def: $vgpr53
	s_and_saveexec_b64 s[40:41], vcc
	s_xor_b64 s[42:43], exec, s[40:41]
	s_cbranch_execz .LBB4_3608
; %bb.3595:                             ;   in Loop: Header=BB4_3368 Depth=3
	v_and_b32_e32 v2, 0x7fffffff, v8
	v_cmp_gt_u64_e32 vcc, s[72:73], v[2:3]
	v_and_b32_sdwa v20, v8, s70 dst_sel:DWORD dst_unused:UNUSED_PAD src0_sel:BYTE_3 src1_sel:DWORD
                                        ; implicit-def: $vgpr53
	s_and_saveexec_b64 s[40:41], vcc
	s_xor_b64 s[38:39], exec, s[40:41]
	s_cbranch_execz .LBB4_3605
; %bb.3596:                             ;   in Loop: Header=BB4_3368 Depth=3
	v_mov_b32_e32 v53, 0
	v_cmp_ne_u32_e32 vcc, 0, v8
	s_and_saveexec_b64 s[48:49], vcc
	s_cbranch_execz .LBB4_3604
; %bb.3597:                             ;   in Loop: Header=BB4_3368 Depth=3
	v_bfe_u32 v21, v8, 23, 8
	v_cmp_gt_u32_e64 s[40:41], s80, v21
	v_sub_u32_e32 v2, 0x79, v21
	v_and_b32_e32 v1, 0x7fffff, v8
	v_cmp_eq_u32_e32 vcc, 0, v21
	v_cndmask_b32_e64 v2, 0, v2, s[40:41]
	v_mov_b32_e32 v9, 0x78
	v_or_b32_e32 v8, 0x800000, v1
	v_cndmask_b32_e32 v50, v2, v9, vcc
	v_cndmask_b32_e32 v2, v8, v1, vcc
	v_add_u32_e32 v1, 20, v50
	v_lshlrev_b64 v[8:9], v1, -1
	v_add_u32_e32 v1, 19, v50
	v_lshlrev_b64 v[12:13], v1, 1
	v_bfi_b32 v9, v9, 0, 0
	v_bfi_b32 v8, v8, 0, v2
	v_cmp_eq_u64_e64 s[40:41], v[8:9], v[12:13]
	v_lshrrev_b64 v[8:9], v50, v[2:3]
	v_mov_b32_e32 v13, v9
	v_mov_b32_e32 v12, v8
	s_and_saveexec_b64 s[50:51], s[40:41]
; %bb.3598:                             ;   in Loop: Header=BB4_3368 Depth=3
	v_bfe_u32 v1, v8, 20, 1
	v_add_co_u32_e64 v1, s[40:41], v8, v1
	v_add_co_u32_e64 v12, s[40:41], -1, v1
; %bb.3599:                             ;   in Loop: Header=BB4_3368 Depth=3
	s_or_b64 exec, exec, s[50:51]
	v_add_u32_e32 v1, 0xffffff81, v21
	v_mov_b32_e32 v2, 0xffffff82
	v_cndmask_b32_e32 v1, v1, v2, vcc
	v_lshrrev_b32_e32 v2, 23, v8
	v_add3_u32 v13, v50, v1, v2
	v_add_u32_e32 v1, 6, v13
	v_and_b32_e32 v2, 0xfffff, v12
	v_add_u32_e32 v2, v2, v8
	v_cmp_ne_u32_e32 vcc, 0, v1
                                        ; implicit-def: $vgpr8_vgpr9
                                        ; implicit-def: $vgpr12
	s_and_saveexec_b64 s[40:41], vcc
	s_xor_b64 s[40:41], exec, s[40:41]
; %bb.3600:                             ;   in Loop: Header=BB4_3368 Depth=3
	v_cmp_lt_u64_e32 vcc, s[88:89], v[2:3]
	v_add_u32_e32 v8, 7, v13
	v_cndmask_b32_e32 v12, v1, v8, vcc
	v_cndmask_b32_e64 v1, 0, 1, vcc
	v_lshrrev_b64 v[8:9], v1, v[2:3]
; %bb.3601:                             ;   in Loop: Header=BB4_3368 Depth=3
	s_andn2_saveexec_b64 s[40:41], s[40:41]
; %bb.3602:                             ;   in Loop: Header=BB4_3368 Depth=3
	v_mov_b32_e32 v9, v3
	v_bfe_u32 v12, v2, 23, 1
	v_mov_b32_e32 v8, v2
; %bb.3603:                             ;   in Loop: Header=BB4_3368 Depth=3
	s_or_b64 exec, exec, s[40:41]
	v_lshrrev_b64 v[1:2], 20, v[8:9]
	v_cmp_gt_i32_e32 vcc, 16, v12
	v_cndmask_b32_e32 v2, 0, v2, vcc
	v_cndmask_b32_e32 v1, 7, v1, vcc
	v_cmp_eq_u64_e64 s[40:41], 0, v[1:2]
	v_min_i32_e32 v2, 15, v12
	v_lshlrev_b32_e32 v2, 3, v2
	v_cmp_eq_u32_e32 vcc, 0, v12
	v_and_b32_e32 v2, 0xf8, v2
	v_and_or_b32 v1, v1, 7, v2
	s_and_b64 s[40:41], vcc, s[40:41]
	v_cndmask_b32_e64 v1, v1, 0, s[40:41]
	v_or_b32_e32 v53, v1, v20
.LBB4_3604:                             ;   in Loop: Header=BB4_3368 Depth=3
	s_or_b64 exec, exec, s[48:49]
                                        ; implicit-def: $vgpr20
.LBB4_3605:                             ;   in Loop: Header=BB4_3368 Depth=3
	s_andn2_saveexec_b64 s[40:41], s[38:39]
; %bb.3606:                             ;   in Loop: Header=BB4_3368 Depth=3
	v_or_b32_e32 v53, 0x7e, v20
; %bb.3607:                             ;   in Loop: Header=BB4_3368 Depth=3
	s_or_b64 exec, exec, s[40:41]
                                        ; implicit-def: $vgpr8
.LBB4_3608:                             ;   in Loop: Header=BB4_3368 Depth=3
	s_andn2_saveexec_b64 s[40:41], s[42:43]
; %bb.3609:                             ;   in Loop: Header=BB4_3368 Depth=3
	v_or_b32_sdwa v53, v8, s71 dst_sel:DWORD dst_unused:UNUSED_PAD src0_sel:BYTE_3 src1_sel:DWORD
; %bb.3610:                             ;   in Loop: Header=BB4_3368 Depth=3
	s_or_b64 exec, exec, s[40:41]
	v_lshrrev_b16_e32 v2, 8, v14
	v_cmp_ne_u16_e32 vcc, 0, v2
	v_mov_b32_e32 v8, 0
	s_and_saveexec_b64 s[40:41], vcc
	s_cbranch_execz .LBB4_3616
; %bb.3611:                             ;   in Loop: Header=BB4_3368 Depth=3
	v_cmp_ne_u16_e32 vcc, s70, v2
	v_bfrev_b32_e32 v8, 1
	s_and_saveexec_b64 s[42:43], vcc
	s_cbranch_execz .LBB4_3615
; %bb.3612:                             ;   in Loop: Header=BB4_3368 Depth=3
	v_and_b32_e32 v1, 0x7f, v2
	v_cmp_ne_u32_e32 vcc, s71, v1
	v_mov_b32_e32 v8, 0x7f800001
	s_and_saveexec_b64 s[38:39], vcc
	s_cbranch_execz .LBB4_3614
; %bb.3613:                             ;   in Loop: Header=BB4_3368 Depth=3
	v_and_b32_e32 v8, 7, v2
	v_lshrrev_b32_e32 v9, 3, v1
	v_cmp_gt_u32_e32 vcc, 8, v1
	v_ffbh_u32_e32 v1, v8
	v_min_u32_e32 v12, 32, v1
	v_subrev_u32_e32 v1, 28, v12
	v_lshlrev_b64 v[1:2], v1, v[2:3]
	v_sub_u32_e32 v2, 29, v12
	v_and_b32_e32 v1, 7, v1
	v_cndmask_b32_e32 v2, v9, v2, vcc
	v_cndmask_b32_e32 v1, v8, v1, vcc
	v_lshlrev_b32_e32 v8, 16, v14
	v_lshlrev_b32_e32 v1, 20, v1
	v_and_b32_e32 v8, 0x80000000, v8
	v_lshl_add_u32 v2, v2, 23, v0
	v_or3_b32 v8, v8, v2, v1
.LBB4_3614:                             ;   in Loop: Header=BB4_3368 Depth=3
	s_or_b64 exec, exec, s[38:39]
.LBB4_3615:                             ;   in Loop: Header=BB4_3368 Depth=3
	s_or_b64 exec, exec, s[42:43]
.LBB4_3616:                             ;   in Loop: Header=BB4_3368 Depth=3
	s_or_b64 exec, exec, s[40:41]
	v_lshrrev_b16_e32 v2, 8, v10
	v_cmp_lt_i16_e32 vcc, s71, v2
	s_mov_b64 s[40:41], 0
	s_and_saveexec_b64 s[42:43], vcc
	s_xor_b64 s[42:43], exec, s[42:43]
	s_cbranch_execz .LBB4_3811
; %bb.3617:                             ;   in Loop: Header=BB4_3368 Depth=3
	v_cmp_eq_u16_e32 vcc, s70, v2
	s_mov_b64 s[40:41], -1
	s_and_saveexec_b64 s[38:39], vcc
; %bb.3618:                             ;   in Loop: Header=BB4_3368 Depth=3
	s_xor_b64 s[40:41], exec, -1
; %bb.3619:                             ;   in Loop: Header=BB4_3368 Depth=3
	s_or_b64 exec, exec, s[38:39]
	s_and_b64 s[40:41], s[40:41], exec
	s_or_saveexec_b64 s[42:43], s[42:43]
	v_bfrev_b32_e32 v1, 1
	s_xor_b64 exec, exec, s[42:43]
	s_cbranch_execnz .LBB4_3812
.LBB4_3620:                             ;   in Loop: Header=BB4_3368 Depth=3
	s_or_b64 exec, exec, s[42:43]
	s_and_saveexec_b64 s[42:43], s[40:41]
	s_cbranch_execz .LBB4_3622
.LBB4_3621:                             ;   in Loop: Header=BB4_3368 Depth=3
	v_and_b32_e32 v1, 7, v2
	v_ffbh_u32_e32 v12, v1
	v_min_u32_e32 v21, 32, v12
	v_subrev_u32_e32 v12, 28, v21
	v_lshlrev_b64 v[12:13], v12, v[2:3]
	v_and_b32_e32 v9, 0x7f, v2
	v_bfe_u32 v20, v2, 3, 4
	v_sub_u32_e32 v13, 29, v21
	v_and_b32_e32 v12, 7, v12
	v_cmp_gt_u32_e32 vcc, 8, v9
	v_cndmask_b32_e32 v13, v20, v13, vcc
	v_cndmask_b32_e32 v1, v1, v12, vcc
	v_lshlrev_b32_e32 v2, 24, v2
	v_lshlrev_b32_e32 v1, 20, v1
	v_and_b32_e32 v2, 0x80000000, v2
	v_lshl_add_u32 v12, v13, 23, v0
	v_or3_b32 v1, v2, v12, v1
	v_cmp_ne_u32_e32 vcc, s71, v9
	v_mov_b32_e32 v2, 0x7f800001
	v_cndmask_b32_e32 v1, v2, v1, vcc
.LBB4_3622:                             ;   in Loop: Header=BB4_3368 Depth=3
	s_or_b64 exec, exec, s[42:43]
	v_mul_f32_e32 v8, v8, v1
	v_and_b32_e32 v2, 0x7f800000, v8
	v_cmp_ne_u64_e32 vcc, s[62:63], v[2:3]
                                        ; implicit-def: $vgpr54
	s_and_saveexec_b64 s[40:41], vcc
	s_xor_b64 s[42:43], exec, s[40:41]
	s_cbranch_execz .LBB4_3636
; %bb.3623:                             ;   in Loop: Header=BB4_3368 Depth=3
	v_and_b32_e32 v2, 0x7fffffff, v8
	v_cmp_gt_u64_e32 vcc, s[72:73], v[2:3]
	v_and_b32_sdwa v20, v8, s70 dst_sel:DWORD dst_unused:UNUSED_PAD src0_sel:BYTE_3 src1_sel:DWORD
                                        ; implicit-def: $vgpr54
	s_and_saveexec_b64 s[40:41], vcc
	s_xor_b64 s[38:39], exec, s[40:41]
	s_cbranch_execz .LBB4_3633
; %bb.3624:                             ;   in Loop: Header=BB4_3368 Depth=3
	v_mov_b32_e32 v54, 0
	v_cmp_ne_u32_e32 vcc, 0, v8
	s_and_saveexec_b64 s[48:49], vcc
	s_cbranch_execz .LBB4_3632
; %bb.3625:                             ;   in Loop: Header=BB4_3368 Depth=3
	v_bfe_u32 v21, v8, 23, 8
	v_cmp_gt_u32_e64 s[40:41], s80, v21
	v_sub_u32_e32 v2, 0x79, v21
	v_and_b32_e32 v1, 0x7fffff, v8
	v_cmp_eq_u32_e32 vcc, 0, v21
	v_cndmask_b32_e64 v2, 0, v2, s[40:41]
	v_mov_b32_e32 v9, 0x78
	v_or_b32_e32 v8, 0x800000, v1
	v_cndmask_b32_e32 v50, v2, v9, vcc
	v_cndmask_b32_e32 v2, v8, v1, vcc
	v_add_u32_e32 v1, 20, v50
	v_lshlrev_b64 v[8:9], v1, -1
	v_add_u32_e32 v1, 19, v50
	v_lshlrev_b64 v[12:13], v1, 1
	v_bfi_b32 v9, v9, 0, 0
	v_bfi_b32 v8, v8, 0, v2
	v_cmp_eq_u64_e64 s[40:41], v[8:9], v[12:13]
	v_lshrrev_b64 v[8:9], v50, v[2:3]
	v_mov_b32_e32 v13, v9
	v_mov_b32_e32 v12, v8
	s_and_saveexec_b64 s[50:51], s[40:41]
; %bb.3626:                             ;   in Loop: Header=BB4_3368 Depth=3
	v_bfe_u32 v1, v8, 20, 1
	v_add_co_u32_e64 v1, s[40:41], v8, v1
	v_add_co_u32_e64 v12, s[40:41], -1, v1
; %bb.3627:                             ;   in Loop: Header=BB4_3368 Depth=3
	s_or_b64 exec, exec, s[50:51]
	v_add_u32_e32 v1, 0xffffff81, v21
	v_mov_b32_e32 v2, 0xffffff82
	v_cndmask_b32_e32 v1, v1, v2, vcc
	v_lshrrev_b32_e32 v2, 23, v8
	v_add3_u32 v13, v50, v1, v2
	v_add_u32_e32 v1, 6, v13
	v_and_b32_e32 v2, 0xfffff, v12
	v_add_u32_e32 v2, v2, v8
	v_cmp_ne_u32_e32 vcc, 0, v1
                                        ; implicit-def: $vgpr8_vgpr9
                                        ; implicit-def: $vgpr12
	s_and_saveexec_b64 s[40:41], vcc
	s_xor_b64 s[40:41], exec, s[40:41]
; %bb.3628:                             ;   in Loop: Header=BB4_3368 Depth=3
	v_cmp_lt_u64_e32 vcc, s[88:89], v[2:3]
	v_add_u32_e32 v8, 7, v13
	v_cndmask_b32_e32 v12, v1, v8, vcc
	v_cndmask_b32_e64 v1, 0, 1, vcc
	v_lshrrev_b64 v[8:9], v1, v[2:3]
; %bb.3629:                             ;   in Loop: Header=BB4_3368 Depth=3
	s_andn2_saveexec_b64 s[40:41], s[40:41]
; %bb.3630:                             ;   in Loop: Header=BB4_3368 Depth=3
	v_mov_b32_e32 v9, v3
	v_bfe_u32 v12, v2, 23, 1
	v_mov_b32_e32 v8, v2
; %bb.3631:                             ;   in Loop: Header=BB4_3368 Depth=3
	s_or_b64 exec, exec, s[40:41]
	v_lshrrev_b64 v[1:2], 20, v[8:9]
	v_cmp_gt_i32_e32 vcc, 16, v12
	v_cndmask_b32_e32 v2, 0, v2, vcc
	v_cndmask_b32_e32 v1, 7, v1, vcc
	v_cmp_eq_u64_e64 s[40:41], 0, v[1:2]
	v_min_i32_e32 v2, 15, v12
	v_lshlrev_b32_e32 v2, 3, v2
	v_cmp_eq_u32_e32 vcc, 0, v12
	v_and_b32_e32 v2, 0xf8, v2
	v_and_or_b32 v1, v1, 7, v2
	s_and_b64 s[40:41], vcc, s[40:41]
	v_cndmask_b32_e64 v1, v1, 0, s[40:41]
	v_or_b32_e32 v54, v1, v20
.LBB4_3632:                             ;   in Loop: Header=BB4_3368 Depth=3
	s_or_b64 exec, exec, s[48:49]
                                        ; implicit-def: $vgpr20
.LBB4_3633:                             ;   in Loop: Header=BB4_3368 Depth=3
	s_andn2_saveexec_b64 s[40:41], s[38:39]
; %bb.3634:                             ;   in Loop: Header=BB4_3368 Depth=3
	v_or_b32_e32 v54, 0x7e, v20
; %bb.3635:                             ;   in Loop: Header=BB4_3368 Depth=3
	s_or_b64 exec, exec, s[40:41]
                                        ; implicit-def: $vgpr8
.LBB4_3636:                             ;   in Loop: Header=BB4_3368 Depth=3
	s_andn2_saveexec_b64 s[40:41], s[42:43]
; %bb.3637:                             ;   in Loop: Header=BB4_3368 Depth=3
	v_or_b32_sdwa v54, v8, s71 dst_sel:DWORD dst_unused:UNUSED_PAD src0_sel:BYTE_3 src1_sel:DWORD
; %bb.3638:                             ;   in Loop: Header=BB4_3368 Depth=3
	s_or_b64 exec, exec, s[40:41]
	v_lshrrev_b32_e32 v2, 16, v14
	v_cmp_ne_u16_sdwa s[42:43], v2, v3 src0_sel:BYTE_0 src1_sel:DWORD
	v_mov_b32_e32 v8, 0
	s_and_saveexec_b64 s[40:41], s[42:43]
	s_cbranch_execz .LBB4_3644
; %bb.3639:                             ;   in Loop: Header=BB4_3368 Depth=3
	v_cmp_ne_u16_sdwa s[44:45], v2, s70 src0_sel:BYTE_0 src1_sel:DWORD
	v_bfrev_b32_e32 v8, 1
	s_and_saveexec_b64 s[42:43], s[44:45]
	s_cbranch_execz .LBB4_3643
; %bb.3640:                             ;   in Loop: Header=BB4_3368 Depth=3
	v_bfe_u32 v1, v14, 16, 7
	v_cmp_ne_u32_e32 vcc, s71, v1
	v_mov_b32_e32 v8, 0x7f800001
	s_and_saveexec_b64 s[38:39], vcc
	s_cbranch_execz .LBB4_3642
; %bb.3641:                             ;   in Loop: Header=BB4_3368 Depth=3
	v_and_b32_e32 v12, 7, v2
	v_lshrrev_b32_e32 v13, 3, v1
	v_cmp_gt_u32_e32 vcc, 8, v1
	v_ffbh_u32_e32 v1, v12
	v_min_u32_e32 v1, 32, v1
	v_subrev_u32_e32 v8, 28, v1
	v_lshlrev_b64 v[8:9], v8, v[2:3]
	v_sub_u32_e32 v1, 29, v1
	v_and_b32_e32 v8, 7, v8
	v_cndmask_b32_e32 v1, v13, v1, vcc
	v_cndmask_b32_e32 v8, v12, v8, vcc
	v_lshlrev_b32_e32 v2, 24, v2
	v_lshlrev_b32_e32 v8, 20, v8
	v_and_b32_e32 v2, 0x80000000, v2
	v_lshl_add_u32 v1, v1, 23, v0
	v_or3_b32 v8, v2, v1, v8
.LBB4_3642:                             ;   in Loop: Header=BB4_3368 Depth=3
	s_or_b64 exec, exec, s[38:39]
.LBB4_3643:                             ;   in Loop: Header=BB4_3368 Depth=3
	s_or_b64 exec, exec, s[42:43]
.LBB4_3644:                             ;   in Loop: Header=BB4_3368 Depth=3
	s_or_b64 exec, exec, s[40:41]
	v_lshrrev_b32_e32 v2, 16, v10
	v_cmp_gt_i16_sdwa s[42:43], v2, s71 src0_sel:BYTE_0 src1_sel:DWORD
	s_mov_b64 s[40:41], 0
	s_and_saveexec_b64 s[44:45], s[42:43]
	s_xor_b64 s[42:43], exec, s[44:45]
	s_cbranch_execz .LBB4_3813
; %bb.3645:                             ;   in Loop: Header=BB4_3368 Depth=3
	v_cmp_eq_u16_sdwa s[44:45], v2, s70 src0_sel:BYTE_0 src1_sel:DWORD
	s_mov_b64 s[40:41], -1
	s_and_saveexec_b64 vcc, s[44:45]
; %bb.3646:                             ;   in Loop: Header=BB4_3368 Depth=3
	s_xor_b64 s[40:41], exec, -1
; %bb.3647:                             ;   in Loop: Header=BB4_3368 Depth=3
	s_or_b64 exec, exec, vcc
	s_and_b64 s[40:41], s[40:41], exec
	s_or_saveexec_b64 s[42:43], s[42:43]
	v_bfrev_b32_e32 v1, 1
	s_xor_b64 exec, exec, s[42:43]
	s_cbranch_execnz .LBB4_3814
.LBB4_3648:                             ;   in Loop: Header=BB4_3368 Depth=3
	s_or_b64 exec, exec, s[42:43]
	s_and_saveexec_b64 s[42:43], s[40:41]
	s_cbranch_execz .LBB4_3650
.LBB4_3649:                             ;   in Loop: Header=BB4_3368 Depth=3
	v_and_b32_e32 v1, 7, v2
	v_ffbh_u32_e32 v12, v1
	v_min_u32_e32 v21, 32, v12
	v_subrev_u32_e32 v12, 28, v21
	v_lshlrev_b64 v[12:13], v12, v[2:3]
	v_and_b32_e32 v9, 0x7f, v2
	v_bfe_u32 v20, v2, 3, 4
	v_sub_u32_e32 v13, 29, v21
	v_and_b32_e32 v12, 7, v12
	v_cmp_gt_u32_e32 vcc, 8, v9
	v_cndmask_b32_e32 v13, v20, v13, vcc
	v_cndmask_b32_e32 v1, v1, v12, vcc
	v_lshlrev_b32_e32 v2, 24, v2
	v_lshlrev_b32_e32 v1, 20, v1
	v_and_b32_e32 v2, 0x80000000, v2
	v_lshl_add_u32 v12, v13, 23, v0
	v_or3_b32 v1, v2, v12, v1
	v_cmp_ne_u32_e32 vcc, s71, v9
	v_mov_b32_e32 v2, 0x7f800001
	v_cndmask_b32_e32 v1, v2, v1, vcc
.LBB4_3650:                             ;   in Loop: Header=BB4_3368 Depth=3
	s_or_b64 exec, exec, s[42:43]
	v_mul_f32_e32 v8, v8, v1
	v_and_b32_e32 v2, 0x7f800000, v8
	v_cmp_ne_u64_e32 vcc, s[62:63], v[2:3]
                                        ; implicit-def: $vgpr55
	s_and_saveexec_b64 s[40:41], vcc
	s_xor_b64 s[42:43], exec, s[40:41]
	s_cbranch_execz .LBB4_3664
; %bb.3651:                             ;   in Loop: Header=BB4_3368 Depth=3
	v_and_b32_e32 v2, 0x7fffffff, v8
	v_cmp_gt_u64_e32 vcc, s[72:73], v[2:3]
	v_and_b32_sdwa v20, v8, s70 dst_sel:DWORD dst_unused:UNUSED_PAD src0_sel:BYTE_3 src1_sel:DWORD
                                        ; implicit-def: $vgpr55
	s_and_saveexec_b64 s[40:41], vcc
	s_xor_b64 s[38:39], exec, s[40:41]
	s_cbranch_execz .LBB4_3661
; %bb.3652:                             ;   in Loop: Header=BB4_3368 Depth=3
	v_mov_b32_e32 v55, 0
	v_cmp_ne_u32_e32 vcc, 0, v8
	s_and_saveexec_b64 s[48:49], vcc
	s_cbranch_execz .LBB4_3660
; %bb.3653:                             ;   in Loop: Header=BB4_3368 Depth=3
	v_bfe_u32 v21, v8, 23, 8
	v_cmp_gt_u32_e64 s[40:41], s80, v21
	v_sub_u32_e32 v2, 0x79, v21
	v_and_b32_e32 v1, 0x7fffff, v8
	v_cmp_eq_u32_e32 vcc, 0, v21
	v_cndmask_b32_e64 v2, 0, v2, s[40:41]
	v_mov_b32_e32 v9, 0x78
	v_or_b32_e32 v8, 0x800000, v1
	v_cndmask_b32_e32 v50, v2, v9, vcc
	v_cndmask_b32_e32 v2, v8, v1, vcc
	v_add_u32_e32 v1, 20, v50
	v_lshlrev_b64 v[8:9], v1, -1
	v_add_u32_e32 v1, 19, v50
	v_lshlrev_b64 v[12:13], v1, 1
	v_bfi_b32 v9, v9, 0, 0
	v_bfi_b32 v8, v8, 0, v2
	v_cmp_eq_u64_e64 s[40:41], v[8:9], v[12:13]
	v_lshrrev_b64 v[8:9], v50, v[2:3]
	v_mov_b32_e32 v13, v9
	v_mov_b32_e32 v12, v8
	s_and_saveexec_b64 s[50:51], s[40:41]
; %bb.3654:                             ;   in Loop: Header=BB4_3368 Depth=3
	v_bfe_u32 v1, v8, 20, 1
	v_add_co_u32_e64 v1, s[40:41], v8, v1
	v_add_co_u32_e64 v12, s[40:41], -1, v1
; %bb.3655:                             ;   in Loop: Header=BB4_3368 Depth=3
	s_or_b64 exec, exec, s[50:51]
	v_add_u32_e32 v1, 0xffffff81, v21
	v_mov_b32_e32 v2, 0xffffff82
	v_cndmask_b32_e32 v1, v1, v2, vcc
	v_lshrrev_b32_e32 v2, 23, v8
	v_add3_u32 v13, v50, v1, v2
	v_add_u32_e32 v1, 6, v13
	v_and_b32_e32 v2, 0xfffff, v12
	v_add_u32_e32 v2, v2, v8
	v_cmp_ne_u32_e32 vcc, 0, v1
                                        ; implicit-def: $vgpr8_vgpr9
                                        ; implicit-def: $vgpr12
	s_and_saveexec_b64 s[40:41], vcc
	s_xor_b64 s[40:41], exec, s[40:41]
; %bb.3656:                             ;   in Loop: Header=BB4_3368 Depth=3
	v_cmp_lt_u64_e32 vcc, s[88:89], v[2:3]
	v_add_u32_e32 v8, 7, v13
	v_cndmask_b32_e32 v12, v1, v8, vcc
	v_cndmask_b32_e64 v1, 0, 1, vcc
	v_lshrrev_b64 v[8:9], v1, v[2:3]
; %bb.3657:                             ;   in Loop: Header=BB4_3368 Depth=3
	s_andn2_saveexec_b64 s[40:41], s[40:41]
; %bb.3658:                             ;   in Loop: Header=BB4_3368 Depth=3
	v_mov_b32_e32 v9, v3
	v_bfe_u32 v12, v2, 23, 1
	v_mov_b32_e32 v8, v2
; %bb.3659:                             ;   in Loop: Header=BB4_3368 Depth=3
	s_or_b64 exec, exec, s[40:41]
	v_lshrrev_b64 v[1:2], 20, v[8:9]
	v_cmp_gt_i32_e32 vcc, 16, v12
	v_cndmask_b32_e32 v2, 0, v2, vcc
	v_cndmask_b32_e32 v1, 7, v1, vcc
	v_cmp_eq_u64_e64 s[40:41], 0, v[1:2]
	v_min_i32_e32 v2, 15, v12
	v_lshlrev_b32_e32 v2, 3, v2
	v_cmp_eq_u32_e32 vcc, 0, v12
	v_and_b32_e32 v2, 0xf8, v2
	v_and_or_b32 v1, v1, 7, v2
	s_and_b64 s[40:41], vcc, s[40:41]
	v_cndmask_b32_e64 v1, v1, 0, s[40:41]
	v_or_b32_e32 v55, v1, v20
.LBB4_3660:                             ;   in Loop: Header=BB4_3368 Depth=3
	s_or_b64 exec, exec, s[48:49]
                                        ; implicit-def: $vgpr20
.LBB4_3661:                             ;   in Loop: Header=BB4_3368 Depth=3
	s_andn2_saveexec_b64 s[40:41], s[38:39]
; %bb.3662:                             ;   in Loop: Header=BB4_3368 Depth=3
	v_or_b32_e32 v55, 0x7e, v20
; %bb.3663:                             ;   in Loop: Header=BB4_3368 Depth=3
	s_or_b64 exec, exec, s[40:41]
                                        ; implicit-def: $vgpr8
.LBB4_3664:                             ;   in Loop: Header=BB4_3368 Depth=3
	s_andn2_saveexec_b64 s[40:41], s[42:43]
; %bb.3665:                             ;   in Loop: Header=BB4_3368 Depth=3
	v_or_b32_sdwa v55, v8, s71 dst_sel:DWORD dst_unused:UNUSED_PAD src0_sel:BYTE_3 src1_sel:DWORD
; %bb.3666:                             ;   in Loop: Header=BB4_3368 Depth=3
	s_or_b64 exec, exec, s[40:41]
	v_cmp_lt_u32_e32 vcc, s57, v14
	v_mov_b32_e32 v8, 0
	s_and_saveexec_b64 s[40:41], vcc
	s_cbranch_execz .LBB4_3672
; %bb.3667:                             ;   in Loop: Header=BB4_3368 Depth=3
	v_lshrrev_b32_e32 v2, 24, v14
	v_cmp_ne_u32_e32 vcc, s70, v2
	v_bfrev_b32_e32 v8, 1
	s_and_saveexec_b64 s[42:43], vcc
	s_cbranch_execz .LBB4_3671
; %bb.3668:                             ;   in Loop: Header=BB4_3368 Depth=3
	v_bfe_u32 v1, v14, 24, 7
	v_cmp_ne_u32_e32 vcc, s71, v1
	v_mov_b32_e32 v8, 0x7f800001
	s_and_saveexec_b64 s[38:39], vcc
	s_cbranch_execz .LBB4_3670
; %bb.3669:                             ;   in Loop: Header=BB4_3368 Depth=3
	v_and_b32_e32 v12, 7, v2
	v_lshrrev_b32_e32 v13, 3, v1
	v_cmp_gt_u32_e32 vcc, 8, v1
	v_ffbh_u32_e32 v1, v12
	v_min_u32_e32 v1, 32, v1
	v_subrev_u32_e32 v8, 28, v1
	v_lshlrev_b64 v[8:9], v8, v[2:3]
	v_sub_u32_e32 v1, 29, v1
	v_and_b32_e32 v8, 7, v8
	v_cndmask_b32_e32 v1, v13, v1, vcc
	v_cndmask_b32_e32 v8, v12, v8, vcc
	v_lshlrev_b32_e32 v2, 24, v2
	v_lshlrev_b32_e32 v8, 20, v8
	v_and_b32_e32 v2, 0x80000000, v2
	v_lshl_add_u32 v1, v1, 23, v0
	v_or3_b32 v8, v2, v1, v8
.LBB4_3670:                             ;   in Loop: Header=BB4_3368 Depth=3
	s_or_b64 exec, exec, s[38:39]
.LBB4_3671:                             ;   in Loop: Header=BB4_3368 Depth=3
	s_or_b64 exec, exec, s[42:43]
.LBB4_3672:                             ;   in Loop: Header=BB4_3368 Depth=3
	s_or_b64 exec, exec, s[40:41]
	v_bfe_u32 v2, v10, 24, 3
	v_ffbh_u32_e32 v12, v2
	v_min_u32_e32 v21, 32, v12
	v_lshrrev_b32_e32 v1, 24, v10
	v_subrev_u32_e32 v12, 28, v21
	v_lshlrev_b64 v[12:13], v12, v[1:2]
	v_bfe_u32 v9, v10, 24, 7
	v_bfe_u32 v20, v1, 3, 4
	v_sub_u32_e32 v13, 29, v21
	v_and_b32_e32 v12, 7, v12
	v_cmp_gt_u32_e32 vcc, 8, v9
	v_cndmask_b32_e32 v13, v20, v13, vcc
	v_cndmask_b32_e32 v2, v2, v12, vcc
	v_lshlrev_b32_e32 v2, 20, v2
	v_and_b32_e32 v12, 0x80000000, v10
	v_lshl_add_u32 v13, v13, 23, v0
	v_or3_b32 v2, v12, v13, v2
	v_cmp_ne_u32_e32 vcc, s71, v9
	v_mov_b32_e32 v9, 0x7f800001
	v_cndmask_b32_e32 v2, v9, v2, vcc
	v_cmp_ne_u32_e32 vcc, s70, v1
	v_bfrev_b32_e32 v1, 1
	v_cndmask_b32_e32 v1, v1, v2, vcc
	v_cmp_lt_u32_e32 vcc, s57, v10
	v_cndmask_b32_e32 v1, 0, v1, vcc
	v_mul_f32_e32 v8, v1, v8
	v_and_b32_e32 v2, 0x7f800000, v8
	v_cmp_ne_u64_e32 vcc, s[62:63], v[2:3]
                                        ; implicit-def: $vgpr51
	s_and_saveexec_b64 s[40:41], vcc
	s_xor_b64 s[42:43], exec, s[40:41]
	s_cbranch_execz .LBB4_3686
; %bb.3673:                             ;   in Loop: Header=BB4_3368 Depth=3
	v_and_b32_e32 v2, 0x7fffffff, v8
	v_cmp_gt_u64_e32 vcc, s[72:73], v[2:3]
	v_and_b32_sdwa v20, v8, s70 dst_sel:DWORD dst_unused:UNUSED_PAD src0_sel:BYTE_3 src1_sel:DWORD
                                        ; implicit-def: $vgpr51
	s_and_saveexec_b64 s[40:41], vcc
	s_xor_b64 s[38:39], exec, s[40:41]
	s_cbranch_execz .LBB4_3683
; %bb.3674:                             ;   in Loop: Header=BB4_3368 Depth=3
	v_mov_b32_e32 v51, 0
	v_cmp_ne_u32_e32 vcc, 0, v8
	s_and_saveexec_b64 s[48:49], vcc
	s_cbranch_execz .LBB4_3682
; %bb.3675:                             ;   in Loop: Header=BB4_3368 Depth=3
	v_bfe_u32 v21, v8, 23, 8
	v_cmp_gt_u32_e64 s[40:41], s80, v21
	v_sub_u32_e32 v2, 0x79, v21
	v_and_b32_e32 v1, 0x7fffff, v8
	v_cmp_eq_u32_e32 vcc, 0, v21
	v_cndmask_b32_e64 v2, 0, v2, s[40:41]
	v_mov_b32_e32 v9, 0x78
	v_or_b32_e32 v8, 0x800000, v1
	v_cndmask_b32_e32 v50, v2, v9, vcc
	v_cndmask_b32_e32 v2, v8, v1, vcc
	v_add_u32_e32 v1, 20, v50
	v_lshlrev_b64 v[8:9], v1, -1
	v_add_u32_e32 v1, 19, v50
	v_lshlrev_b64 v[12:13], v1, 1
	v_bfi_b32 v9, v9, 0, 0
	v_bfi_b32 v8, v8, 0, v2
	v_cmp_eq_u64_e64 s[40:41], v[8:9], v[12:13]
	v_lshrrev_b64 v[8:9], v50, v[2:3]
	v_mov_b32_e32 v13, v9
	v_mov_b32_e32 v12, v8
	s_and_saveexec_b64 s[50:51], s[40:41]
; %bb.3676:                             ;   in Loop: Header=BB4_3368 Depth=3
	v_bfe_u32 v1, v8, 20, 1
	v_add_co_u32_e64 v1, s[40:41], v8, v1
	v_add_co_u32_e64 v12, s[40:41], -1, v1
; %bb.3677:                             ;   in Loop: Header=BB4_3368 Depth=3
	s_or_b64 exec, exec, s[50:51]
	v_add_u32_e32 v1, 0xffffff81, v21
	v_mov_b32_e32 v2, 0xffffff82
	v_cndmask_b32_e32 v1, v1, v2, vcc
	v_lshrrev_b32_e32 v2, 23, v8
	v_add3_u32 v13, v50, v1, v2
	v_add_u32_e32 v1, 6, v13
	v_and_b32_e32 v2, 0xfffff, v12
	v_add_u32_e32 v2, v2, v8
	v_cmp_ne_u32_e32 vcc, 0, v1
                                        ; implicit-def: $vgpr8_vgpr9
                                        ; implicit-def: $vgpr12
	s_and_saveexec_b64 s[40:41], vcc
	s_xor_b64 s[40:41], exec, s[40:41]
; %bb.3678:                             ;   in Loop: Header=BB4_3368 Depth=3
	v_cmp_lt_u64_e32 vcc, s[88:89], v[2:3]
	v_add_u32_e32 v8, 7, v13
	v_cndmask_b32_e32 v12, v1, v8, vcc
	v_cndmask_b32_e64 v1, 0, 1, vcc
	v_lshrrev_b64 v[8:9], v1, v[2:3]
; %bb.3679:                             ;   in Loop: Header=BB4_3368 Depth=3
	s_andn2_saveexec_b64 s[40:41], s[40:41]
; %bb.3680:                             ;   in Loop: Header=BB4_3368 Depth=3
	v_mov_b32_e32 v9, v3
	v_bfe_u32 v12, v2, 23, 1
	v_mov_b32_e32 v8, v2
; %bb.3681:                             ;   in Loop: Header=BB4_3368 Depth=3
	s_or_b64 exec, exec, s[40:41]
	v_lshrrev_b64 v[1:2], 20, v[8:9]
	v_cmp_gt_i32_e32 vcc, 16, v12
	v_cndmask_b32_e32 v2, 0, v2, vcc
	v_cndmask_b32_e32 v1, 7, v1, vcc
	v_cmp_eq_u64_e64 s[40:41], 0, v[1:2]
	v_min_i32_e32 v2, 15, v12
	v_lshlrev_b32_e32 v2, 3, v2
	v_cmp_eq_u32_e32 vcc, 0, v12
	v_and_b32_e32 v2, 0xf8, v2
	v_and_or_b32 v1, v1, 7, v2
	s_and_b64 s[40:41], vcc, s[40:41]
	v_cndmask_b32_e64 v1, v1, 0, s[40:41]
	v_or_b32_e32 v51, v1, v20
.LBB4_3682:                             ;   in Loop: Header=BB4_3368 Depth=3
	s_or_b64 exec, exec, s[48:49]
                                        ; implicit-def: $vgpr20
.LBB4_3683:                             ;   in Loop: Header=BB4_3368 Depth=3
	s_andn2_saveexec_b64 s[40:41], s[38:39]
; %bb.3684:                             ;   in Loop: Header=BB4_3368 Depth=3
	v_or_b32_e32 v51, 0x7e, v20
; %bb.3685:                             ;   in Loop: Header=BB4_3368 Depth=3
	s_or_b64 exec, exec, s[40:41]
                                        ; implicit-def: $vgpr8
.LBB4_3686:                             ;   in Loop: Header=BB4_3368 Depth=3
	s_andn2_saveexec_b64 s[40:41], s[42:43]
; %bb.3687:                             ;   in Loop: Header=BB4_3368 Depth=3
	v_or_b32_sdwa v51, v8, s71 dst_sel:DWORD dst_unused:UNUSED_PAD src0_sel:BYTE_3 src1_sel:DWORD
; %bb.3688:                             ;   in Loop: Header=BB4_3368 Depth=3
	s_or_b64 exec, exec, s[40:41]
	v_mov_b32_e32 v2, v15
	v_cmp_ne_u16_sdwa s[42:43], v15, v3 src0_sel:BYTE_0 src1_sel:DWORD
	v_mov_b32_e32 v12, 0
	s_and_saveexec_b64 s[40:41], s[42:43]
	s_cbranch_execz .LBB4_3694
; %bb.3689:                             ;   in Loop: Header=BB4_3368 Depth=3
	v_cmp_ne_u16_sdwa s[44:45], v15, s70 src0_sel:BYTE_0 src1_sel:DWORD
	v_bfrev_b32_e32 v12, 1
	s_and_saveexec_b64 s[42:43], s[44:45]
	s_cbranch_execz .LBB4_3693
; %bb.3690:                             ;   in Loop: Header=BB4_3368 Depth=3
	v_and_b32_e32 v1, 0x7f, v15
	v_cmp_ne_u32_e32 vcc, s71, v1
	v_mov_b32_e32 v12, 0x7f800001
	s_and_saveexec_b64 s[38:39], vcc
	s_cbranch_execz .LBB4_3692
; %bb.3691:                             ;   in Loop: Header=BB4_3368 Depth=3
	v_and_b32_e32 v8, 7, v15
	v_lshrrev_b32_e32 v9, 3, v1
	v_cmp_gt_u32_e32 vcc, 8, v1
	v_ffbh_u32_e32 v1, v8
	v_min_u32_e32 v1, 32, v1
	v_subrev_u32_e32 v8, 28, v1
	v_sub_u32_e32 v1, 29, v1
	v_cndmask_b32_e32 v8, 0, v8, vcc
	v_cndmask_b32_e32 v1, v9, v1, vcc
	v_lshlrev_b64 v[8:9], v8, v[2:3]
	v_lshlrev_b32_e32 v9, 24, v2
	v_lshlrev_b32_e32 v8, 20, v8
	v_and_b32_e32 v8, 0x700000, v8
	v_and_b32_e32 v9, 0x80000000, v9
	v_lshl_add_u32 v1, v1, 23, v0
	v_or3_b32 v12, v9, v1, v8
.LBB4_3692:                             ;   in Loop: Header=BB4_3368 Depth=3
	s_or_b64 exec, exec, s[38:39]
.LBB4_3693:                             ;   in Loop: Header=BB4_3368 Depth=3
	s_or_b64 exec, exec, s[42:43]
.LBB4_3694:                             ;   in Loop: Header=BB4_3368 Depth=3
	s_or_b64 exec, exec, s[40:41]
	v_cmp_gt_i16_sdwa s[42:43], v11, s71 src0_sel:BYTE_0 src1_sel:DWORD
	s_mov_b64 s[40:41], 0
	s_and_saveexec_b64 s[44:45], s[42:43]
	s_xor_b64 s[42:43], exec, s[44:45]
	s_cbranch_execz .LBB4_3698
; %bb.3695:                             ;   in Loop: Header=BB4_3368 Depth=3
	v_cmp_eq_u16_sdwa s[44:45], v11, s70 src0_sel:BYTE_0 src1_sel:DWORD
	s_mov_b64 s[40:41], -1
	s_and_saveexec_b64 vcc, s[44:45]
; %bb.3696:                             ;   in Loop: Header=BB4_3368 Depth=3
	s_xor_b64 s[40:41], exec, -1
; %bb.3697:                             ;   in Loop: Header=BB4_3368 Depth=3
	s_or_b64 exec, exec, vcc
	s_and_b64 s[40:41], s[40:41], exec
.LBB4_3698:                             ;   in Loop: Header=BB4_3368 Depth=3
	s_or_saveexec_b64 s[42:43], s[42:43]
	v_bfrev_b32_e32 v1, 1
	s_xor_b64 exec, exec, s[42:43]
; %bb.3699:                             ;   in Loop: Header=BB4_3368 Depth=3
	v_cmp_ne_u16_sdwa s[44:45], v11, v3 src0_sel:BYTE_0 src1_sel:DWORD
	s_andn2_b64 s[40:41], s[40:41], exec
	s_and_b64 s[44:45], s[44:45], exec
	v_mov_b32_e32 v1, 0
	s_or_b64 s[40:41], s[40:41], s[44:45]
; %bb.3700:                             ;   in Loop: Header=BB4_3368 Depth=3
	s_or_b64 exec, exec, s[42:43]
	v_mov_b32_e32 v8, v11
	v_mov_b32_e32 v9, v3
	s_and_saveexec_b64 s[42:43], s[40:41]
	s_cbranch_execz .LBB4_3702
; %bb.3701:                             ;   in Loop: Header=BB4_3368 Depth=3
	v_and_b32_e32 v1, 7, v11
	v_ffbh_u32_e32 v1, v1
	v_and_b32_e32 v13, 0x7f, v11
	v_min_u32_e32 v1, 32, v1
	v_bfe_u32 v20, v11, 3, 4
	v_subrev_u32_e32 v21, 28, v1
	v_sub_u32_e32 v1, 29, v1
	v_cmp_gt_u32_e32 vcc, 8, v13
	v_cndmask_b32_e32 v1, v20, v1, vcc
	v_cndmask_b32_e32 v20, 0, v21, vcc
	v_lshlrev_b64 v[20:21], v20, v[8:9]
	v_lshl_add_u32 v1, v1, 23, v0
	v_lshlrev_b32_e32 v9, 20, v20
	v_lshlrev_b32_e32 v20, 24, v8
	v_and_b32_e32 v9, 0x700000, v9
	v_and_b32_e32 v20, 0x80000000, v20
	v_or3_b32 v1, v20, v1, v9
	v_cmp_ne_u32_e32 vcc, s71, v13
	v_mov_b32_e32 v9, 0x7f800001
	v_cndmask_b32_e32 v1, v9, v1, vcc
.LBB4_3702:                             ;   in Loop: Header=BB4_3368 Depth=3
	s_or_b64 exec, exec, s[42:43]
	v_mul_f32_e32 v12, v12, v1
	v_and_b32_e32 v20, 0x7f800000, v12
	v_mov_b32_e32 v21, v3
	v_cmp_ne_u64_e32 vcc, s[62:63], v[20:21]
                                        ; implicit-def: $vgpr20
	s_and_saveexec_b64 s[40:41], vcc
	s_xor_b64 s[42:43], exec, s[40:41]
	s_cbranch_execz .LBB4_3716
; %bb.3703:                             ;   in Loop: Header=BB4_3368 Depth=3
	v_and_b32_e32 v20, 0x7fffffff, v12
	v_mov_b32_e32 v21, v3
	v_cmp_gt_u64_e32 vcc, s[72:73], v[20:21]
	v_and_b32_sdwa v9, v12, s70 dst_sel:DWORD dst_unused:UNUSED_PAD src0_sel:BYTE_3 src1_sel:DWORD
                                        ; implicit-def: $vgpr20
	s_and_saveexec_b64 s[40:41], vcc
	s_xor_b64 s[38:39], exec, s[40:41]
	s_cbranch_execz .LBB4_3713
; %bb.3704:                             ;   in Loop: Header=BB4_3368 Depth=3
	v_mov_b32_e32 v20, 0
	v_cmp_ne_u32_e32 vcc, 0, v12
	s_and_saveexec_b64 s[48:49], vcc
	s_cbranch_execz .LBB4_3712
; %bb.3705:                             ;   in Loop: Header=BB4_3368 Depth=3
	v_bfe_u32 v50, v12, 23, 8
	v_and_b32_e32 v1, 0x7fffff, v12
	v_cmp_gt_u32_e64 s[40:41], s80, v50
	v_sub_u32_e32 v12, 0x79, v50
	v_cmp_eq_u32_e32 vcc, 0, v50
	v_cndmask_b32_e64 v12, 0, v12, s[40:41]
	v_mov_b32_e32 v20, 0x78
	v_or_b32_e32 v13, 0x800000, v1
	v_cndmask_b32_e32 v42, v12, v20, vcc
	v_cndmask_b32_e32 v12, v13, v1, vcc
	v_add_u32_e32 v1, 20, v42
	v_lshlrev_b64 v[20:21], v1, -1
	v_mov_b32_e32 v13, v3
	v_add_u32_e32 v1, 19, v42
	v_bfi_b32 v20, v20, 0, v12
	v_lshlrev_b64 v[43:44], v1, 1
	v_lshrrev_b64 v[12:13], v42, v[12:13]
	v_bfi_b32 v21, v21, 0, 0
	v_cmp_eq_u64_e64 s[40:41], v[20:21], v[43:44]
	v_mov_b32_e32 v21, v13
	v_mov_b32_e32 v20, v12
	s_and_saveexec_b64 s[50:51], s[40:41]
; %bb.3706:                             ;   in Loop: Header=BB4_3368 Depth=3
	v_bfe_u32 v1, v12, 20, 1
	v_add_co_u32_e64 v1, s[40:41], v12, v1
	v_add_co_u32_e64 v20, s[40:41], -1, v1
; %bb.3707:                             ;   in Loop: Header=BB4_3368 Depth=3
	s_or_b64 exec, exec, s[50:51]
	v_add_u32_e32 v1, 0xffffff81, v50
	v_mov_b32_e32 v13, 0xffffff82
	v_cndmask_b32_e32 v1, v1, v13, vcc
	v_lshrrev_b32_e32 v13, 23, v12
	v_add3_u32 v21, v42, v1, v13
	v_add_u32_e32 v1, 6, v21
	v_and_b32_e32 v13, 0xfffff, v20
	v_add_u32_e32 v12, v13, v12
	v_mov_b32_e32 v13, v3
	v_cmp_ne_u32_e32 vcc, 0, v1
                                        ; implicit-def: $vgpr20
	s_and_saveexec_b64 s[40:41], vcc
	s_xor_b64 s[40:41], exec, s[40:41]
; %bb.3708:                             ;   in Loop: Header=BB4_3368 Depth=3
	v_cmp_lt_u64_e32 vcc, s[88:89], v[12:13]
	v_add_u32_e32 v20, 7, v21
	v_cndmask_b32_e32 v20, v1, v20, vcc
	v_cndmask_b32_e64 v1, 0, 1, vcc
	v_lshrrev_b64 v[12:13], v1, v[12:13]
; %bb.3709:                             ;   in Loop: Header=BB4_3368 Depth=3
	s_andn2_saveexec_b64 s[40:41], s[40:41]
; %bb.3710:                             ;   in Loop: Header=BB4_3368 Depth=3
	v_bfe_u32 v20, v12, 23, 1
; %bb.3711:                             ;   in Loop: Header=BB4_3368 Depth=3
	s_or_b64 exec, exec, s[40:41]
	v_lshrrev_b64 v[12:13], 20, v[12:13]
	v_cmp_gt_i32_e32 vcc, 16, v20
	v_cndmask_b32_e32 v13, 0, v13, vcc
	v_cndmask_b32_e32 v12, 7, v12, vcc
	v_min_i32_e32 v1, 15, v20
	v_cmp_eq_u64_e64 s[40:41], 0, v[12:13]
	v_lshlrev_b32_e32 v1, 3, v1
	v_cmp_eq_u32_e32 vcc, 0, v20
	v_and_b32_e32 v1, 0xf8, v1
	v_and_or_b32 v1, v12, 7, v1
	s_and_b64 s[40:41], vcc, s[40:41]
	v_cndmask_b32_e64 v1, v1, 0, s[40:41]
	v_or_b32_e32 v20, v1, v9
.LBB4_3712:                             ;   in Loop: Header=BB4_3368 Depth=3
	s_or_b64 exec, exec, s[48:49]
                                        ; implicit-def: $vgpr9
.LBB4_3713:                             ;   in Loop: Header=BB4_3368 Depth=3
	s_andn2_saveexec_b64 s[40:41], s[38:39]
; %bb.3714:                             ;   in Loop: Header=BB4_3368 Depth=3
	v_or_b32_e32 v20, 0x7e, v9
; %bb.3715:                             ;   in Loop: Header=BB4_3368 Depth=3
	s_or_b64 exec, exec, s[40:41]
                                        ; implicit-def: $vgpr12
.LBB4_3716:                             ;   in Loop: Header=BB4_3368 Depth=3
	s_andn2_saveexec_b64 s[40:41], s[42:43]
; %bb.3717:                             ;   in Loop: Header=BB4_3368 Depth=3
	v_or_b32_sdwa v20, v12, s71 dst_sel:DWORD dst_unused:UNUSED_PAD src0_sel:BYTE_3 src1_sel:DWORD
; %bb.3718:                             ;   in Loop: Header=BB4_3368 Depth=3
	s_or_b64 exec, exec, s[40:41]
	v_lshrrev_b16_e32 v9, 8, v2
	v_cmp_ne_u16_e32 vcc, 0, v9
	v_mov_b32_e32 v12, 0
	s_and_saveexec_b64 s[40:41], vcc
	s_cbranch_execz .LBB4_3724
; %bb.3719:                             ;   in Loop: Header=BB4_3368 Depth=3
	v_cmp_ne_u16_e32 vcc, s70, v9
	v_bfrev_b32_e32 v12, 1
	s_and_saveexec_b64 s[42:43], vcc
	s_cbranch_execz .LBB4_3723
; %bb.3720:                             ;   in Loop: Header=BB4_3368 Depth=3
	v_and_b32_e32 v1, 0x7f, v9
	v_cmp_ne_u32_e32 vcc, s71, v1
	v_mov_b32_e32 v12, 0x7f800001
	s_and_saveexec_b64 s[38:39], vcc
	s_cbranch_execz .LBB4_3722
; %bb.3721:                             ;   in Loop: Header=BB4_3368 Depth=3
	v_and_b32_e32 v21, 7, v9
	v_lshrrev_b32_e32 v50, 3, v1
	v_cmp_gt_u32_e32 vcc, 8, v1
	v_ffbh_u32_e32 v1, v21
	v_min_u32_e32 v1, 32, v1
	v_subrev_u32_e32 v12, 28, v1
	v_lshlrev_b64 v[12:13], v12, v[9:10]
	v_sub_u32_e32 v1, 29, v1
	v_and_b32_e32 v9, 7, v12
	v_cndmask_b32_e32 v1, v50, v1, vcc
	v_cndmask_b32_e32 v9, v21, v9, vcc
	v_lshlrev_b32_e32 v2, 16, v2
	v_lshlrev_b32_e32 v9, 20, v9
	v_and_b32_e32 v2, 0x80000000, v2
	v_lshl_add_u32 v1, v1, 23, v0
	v_or3_b32 v12, v2, v1, v9
.LBB4_3722:                             ;   in Loop: Header=BB4_3368 Depth=3
	s_or_b64 exec, exec, s[38:39]
.LBB4_3723:                             ;   in Loop: Header=BB4_3368 Depth=3
	s_or_b64 exec, exec, s[42:43]
.LBB4_3724:                             ;   in Loop: Header=BB4_3368 Depth=3
	s_or_b64 exec, exec, s[40:41]
	v_lshrrev_b16_e32 v2, 8, v8
	v_cmp_lt_i16_e32 vcc, s71, v2
	s_mov_b64 s[40:41], 0
	s_and_saveexec_b64 s[42:43], vcc
	s_xor_b64 s[42:43], exec, s[42:43]
	s_cbranch_execz .LBB4_3815
; %bb.3725:                             ;   in Loop: Header=BB4_3368 Depth=3
	v_cmp_eq_u16_e32 vcc, s70, v2
	s_mov_b64 s[40:41], -1
	s_and_saveexec_b64 s[38:39], vcc
; %bb.3726:                             ;   in Loop: Header=BB4_3368 Depth=3
	s_xor_b64 s[40:41], exec, -1
; %bb.3727:                             ;   in Loop: Header=BB4_3368 Depth=3
	s_or_b64 exec, exec, s[38:39]
	s_and_b64 s[40:41], s[40:41], exec
	s_or_saveexec_b64 s[42:43], s[42:43]
	v_bfrev_b32_e32 v1, 1
	s_xor_b64 exec, exec, s[42:43]
	s_cbranch_execnz .LBB4_3816
.LBB4_3728:                             ;   in Loop: Header=BB4_3368 Depth=3
	s_or_b64 exec, exec, s[42:43]
	s_and_saveexec_b64 s[42:43], s[40:41]
	s_cbranch_execz .LBB4_3730
.LBB4_3729:                             ;   in Loop: Header=BB4_3368 Depth=3
	v_and_b32_e32 v1, 7, v2
	v_ffbh_u32_e32 v8, v1
	v_min_u32_e32 v50, 32, v8
	v_subrev_u32_e32 v8, 28, v50
	v_lshlrev_b64 v[8:9], v8, v[2:3]
	v_and_b32_e32 v13, 0x7f, v2
	v_bfe_u32 v21, v2, 3, 4
	v_sub_u32_e32 v9, 29, v50
	v_and_b32_e32 v8, 7, v8
	v_cmp_gt_u32_e32 vcc, 8, v13
	v_cndmask_b32_e32 v9, v21, v9, vcc
	v_cndmask_b32_e32 v1, v1, v8, vcc
	v_lshlrev_b32_e32 v2, 24, v2
	v_lshlrev_b32_e32 v1, 20, v1
	v_and_b32_e32 v2, 0x80000000, v2
	v_lshl_add_u32 v8, v9, 23, v0
	v_or3_b32 v1, v2, v8, v1
	v_cmp_ne_u32_e32 vcc, s71, v13
	v_mov_b32_e32 v2, 0x7f800001
	v_cndmask_b32_e32 v1, v2, v1, vcc
.LBB4_3730:                             ;   in Loop: Header=BB4_3368 Depth=3
	s_or_b64 exec, exec, s[42:43]
	v_mul_f32_e32 v8, v12, v1
	v_and_b32_e32 v2, 0x7f800000, v8
	v_cmp_ne_u64_e32 vcc, s[62:63], v[2:3]
                                        ; implicit-def: $vgpr21
	s_and_saveexec_b64 s[40:41], vcc
	s_xor_b64 s[42:43], exec, s[40:41]
	s_cbranch_execz .LBB4_3744
; %bb.3731:                             ;   in Loop: Header=BB4_3368 Depth=3
	v_and_b32_e32 v2, 0x7fffffff, v8
	v_cmp_gt_u64_e32 vcc, s[72:73], v[2:3]
	v_and_b32_sdwa v50, v8, s70 dst_sel:DWORD dst_unused:UNUSED_PAD src0_sel:BYTE_3 src1_sel:DWORD
                                        ; implicit-def: $vgpr21
	s_and_saveexec_b64 s[40:41], vcc
	s_xor_b64 s[38:39], exec, s[40:41]
	s_cbranch_execz .LBB4_3741
; %bb.3732:                             ;   in Loop: Header=BB4_3368 Depth=3
	v_mov_b32_e32 v21, 0
	v_cmp_ne_u32_e32 vcc, 0, v8
	s_and_saveexec_b64 s[48:49], vcc
	s_cbranch_execz .LBB4_3740
; %bb.3733:                             ;   in Loop: Header=BB4_3368 Depth=3
	v_bfe_u32 v21, v8, 23, 8
	v_cmp_gt_u32_e64 s[40:41], s80, v21
	v_sub_u32_e32 v2, 0x79, v21
	v_and_b32_e32 v1, 0x7fffff, v8
	v_cmp_eq_u32_e32 vcc, 0, v21
	v_cndmask_b32_e64 v2, 0, v2, s[40:41]
	v_mov_b32_e32 v9, 0x78
	v_or_b32_e32 v8, 0x800000, v1
	v_cndmask_b32_e32 v42, v2, v9, vcc
	v_cndmask_b32_e32 v2, v8, v1, vcc
	v_add_u32_e32 v1, 20, v42
	v_lshlrev_b64 v[8:9], v1, -1
	v_add_u32_e32 v1, 19, v42
	v_lshlrev_b64 v[12:13], v1, 1
	v_bfi_b32 v9, v9, 0, 0
	v_bfi_b32 v8, v8, 0, v2
	v_cmp_eq_u64_e64 s[40:41], v[8:9], v[12:13]
	v_lshrrev_b64 v[8:9], v42, v[2:3]
	v_mov_b32_e32 v13, v9
	v_mov_b32_e32 v12, v8
	s_and_saveexec_b64 s[50:51], s[40:41]
; %bb.3734:                             ;   in Loop: Header=BB4_3368 Depth=3
	v_bfe_u32 v1, v8, 20, 1
	v_add_co_u32_e64 v1, s[40:41], v8, v1
	v_add_co_u32_e64 v12, s[40:41], -1, v1
; %bb.3735:                             ;   in Loop: Header=BB4_3368 Depth=3
	s_or_b64 exec, exec, s[50:51]
	v_add_u32_e32 v1, 0xffffff81, v21
	v_mov_b32_e32 v2, 0xffffff82
	v_cndmask_b32_e32 v1, v1, v2, vcc
	v_lshrrev_b32_e32 v2, 23, v8
	v_add3_u32 v13, v42, v1, v2
	v_add_u32_e32 v1, 6, v13
	v_and_b32_e32 v2, 0xfffff, v12
	v_add_u32_e32 v2, v2, v8
	v_cmp_ne_u32_e32 vcc, 0, v1
                                        ; implicit-def: $vgpr8_vgpr9
                                        ; implicit-def: $vgpr12
	s_and_saveexec_b64 s[40:41], vcc
	s_xor_b64 s[40:41], exec, s[40:41]
; %bb.3736:                             ;   in Loop: Header=BB4_3368 Depth=3
	v_cmp_lt_u64_e32 vcc, s[88:89], v[2:3]
	v_add_u32_e32 v8, 7, v13
	v_cndmask_b32_e32 v12, v1, v8, vcc
	v_cndmask_b32_e64 v1, 0, 1, vcc
	v_lshrrev_b64 v[8:9], v1, v[2:3]
; %bb.3737:                             ;   in Loop: Header=BB4_3368 Depth=3
	s_andn2_saveexec_b64 s[40:41], s[40:41]
; %bb.3738:                             ;   in Loop: Header=BB4_3368 Depth=3
	v_mov_b32_e32 v9, v3
	v_bfe_u32 v12, v2, 23, 1
	v_mov_b32_e32 v8, v2
; %bb.3739:                             ;   in Loop: Header=BB4_3368 Depth=3
	s_or_b64 exec, exec, s[40:41]
	v_lshrrev_b64 v[1:2], 20, v[8:9]
	v_cmp_gt_i32_e32 vcc, 16, v12
	v_cndmask_b32_e32 v2, 0, v2, vcc
	v_cndmask_b32_e32 v1, 7, v1, vcc
	v_cmp_eq_u64_e64 s[40:41], 0, v[1:2]
	v_min_i32_e32 v2, 15, v12
	v_lshlrev_b32_e32 v2, 3, v2
	v_cmp_eq_u32_e32 vcc, 0, v12
	v_and_b32_e32 v2, 0xf8, v2
	v_and_or_b32 v1, v1, 7, v2
	s_and_b64 s[40:41], vcc, s[40:41]
	v_cndmask_b32_e64 v1, v1, 0, s[40:41]
	v_or_b32_e32 v21, v1, v50
.LBB4_3740:                             ;   in Loop: Header=BB4_3368 Depth=3
	s_or_b64 exec, exec, s[48:49]
                                        ; implicit-def: $vgpr50
.LBB4_3741:                             ;   in Loop: Header=BB4_3368 Depth=3
	s_andn2_saveexec_b64 s[40:41], s[38:39]
; %bb.3742:                             ;   in Loop: Header=BB4_3368 Depth=3
	v_or_b32_e32 v21, 0x7e, v50
; %bb.3743:                             ;   in Loop: Header=BB4_3368 Depth=3
	s_or_b64 exec, exec, s[40:41]
                                        ; implicit-def: $vgpr8
.LBB4_3744:                             ;   in Loop: Header=BB4_3368 Depth=3
	s_andn2_saveexec_b64 s[40:41], s[42:43]
; %bb.3745:                             ;   in Loop: Header=BB4_3368 Depth=3
	v_or_b32_sdwa v21, v8, s71 dst_sel:DWORD dst_unused:UNUSED_PAD src0_sel:BYTE_3 src1_sel:DWORD
; %bb.3746:                             ;   in Loop: Header=BB4_3368 Depth=3
	s_or_b64 exec, exec, s[40:41]
	v_lshrrev_b32_e32 v2, 16, v15
	v_cmp_ne_u16_sdwa s[42:43], v2, v3 src0_sel:BYTE_0 src1_sel:DWORD
	v_mov_b32_e32 v8, 0
	s_and_saveexec_b64 s[40:41], s[42:43]
	s_cbranch_execz .LBB4_3752
; %bb.3747:                             ;   in Loop: Header=BB4_3368 Depth=3
	v_cmp_ne_u16_sdwa s[44:45], v2, s70 src0_sel:BYTE_0 src1_sel:DWORD
	v_bfrev_b32_e32 v8, 1
	s_and_saveexec_b64 s[42:43], s[44:45]
	s_cbranch_execz .LBB4_3751
; %bb.3748:                             ;   in Loop: Header=BB4_3368 Depth=3
	v_bfe_u32 v1, v15, 16, 7
	v_cmp_ne_u32_e32 vcc, s71, v1
	v_mov_b32_e32 v8, 0x7f800001
	s_and_saveexec_b64 s[38:39], vcc
	s_cbranch_execz .LBB4_3750
; %bb.3749:                             ;   in Loop: Header=BB4_3368 Depth=3
	v_and_b32_e32 v12, 7, v2
	v_lshrrev_b32_e32 v13, 3, v1
	v_cmp_gt_u32_e32 vcc, 8, v1
	v_ffbh_u32_e32 v1, v12
	v_min_u32_e32 v1, 32, v1
	v_subrev_u32_e32 v8, 28, v1
	v_lshlrev_b64 v[8:9], v8, v[2:3]
	v_sub_u32_e32 v1, 29, v1
	v_and_b32_e32 v8, 7, v8
	v_cndmask_b32_e32 v1, v13, v1, vcc
	v_cndmask_b32_e32 v8, v12, v8, vcc
	v_lshlrev_b32_e32 v2, 24, v2
	v_lshlrev_b32_e32 v8, 20, v8
	v_and_b32_e32 v2, 0x80000000, v2
	v_lshl_add_u32 v1, v1, 23, v0
	v_or3_b32 v8, v2, v1, v8
.LBB4_3750:                             ;   in Loop: Header=BB4_3368 Depth=3
	s_or_b64 exec, exec, s[38:39]
.LBB4_3751:                             ;   in Loop: Header=BB4_3368 Depth=3
	s_or_b64 exec, exec, s[42:43]
.LBB4_3752:                             ;   in Loop: Header=BB4_3368 Depth=3
	s_or_b64 exec, exec, s[40:41]
	v_lshrrev_b32_e32 v2, 16, v11
	v_cmp_gt_i16_sdwa s[42:43], v2, s71 src0_sel:BYTE_0 src1_sel:DWORD
	s_mov_b64 s[40:41], 0
	s_and_saveexec_b64 s[44:45], s[42:43]
	s_xor_b64 s[42:43], exec, s[44:45]
	s_cbranch_execz .LBB4_3817
; %bb.3753:                             ;   in Loop: Header=BB4_3368 Depth=3
	v_cmp_eq_u16_sdwa s[44:45], v2, s70 src0_sel:BYTE_0 src1_sel:DWORD
	s_mov_b64 s[40:41], -1
	s_and_saveexec_b64 vcc, s[44:45]
; %bb.3754:                             ;   in Loop: Header=BB4_3368 Depth=3
	s_xor_b64 s[40:41], exec, -1
; %bb.3755:                             ;   in Loop: Header=BB4_3368 Depth=3
	s_or_b64 exec, exec, vcc
	s_and_b64 s[40:41], s[40:41], exec
	s_or_saveexec_b64 s[42:43], s[42:43]
	v_bfrev_b32_e32 v1, 1
	s_xor_b64 exec, exec, s[42:43]
	s_cbranch_execnz .LBB4_3818
.LBB4_3756:                             ;   in Loop: Header=BB4_3368 Depth=3
	s_or_b64 exec, exec, s[42:43]
	s_and_saveexec_b64 s[42:43], s[40:41]
	s_cbranch_execz .LBB4_3758
.LBB4_3757:                             ;   in Loop: Header=BB4_3368 Depth=3
	v_and_b32_e32 v1, 7, v2
	v_ffbh_u32_e32 v12, v1
	v_mov_b32_e32 v42, v40
	v_min_u32_e32 v40, 32, v12
	v_subrev_u32_e32 v12, 28, v40
	v_lshlrev_b64 v[12:13], v12, v[2:3]
	v_and_b32_e32 v9, 0x7f, v2
	v_bfe_u32 v50, v2, 3, 4
	v_sub_u32_e32 v13, 29, v40
	v_and_b32_e32 v12, 7, v12
	v_cmp_gt_u32_e32 vcc, 8, v9
	v_cndmask_b32_e32 v13, v50, v13, vcc
	v_cndmask_b32_e32 v1, v1, v12, vcc
	v_lshlrev_b32_e32 v2, 24, v2
	v_lshlrev_b32_e32 v1, 20, v1
	v_and_b32_e32 v2, 0x80000000, v2
	v_lshl_add_u32 v12, v13, 23, v0
	v_or3_b32 v1, v2, v12, v1
	v_cmp_ne_u32_e32 vcc, s71, v9
	v_mov_b32_e32 v2, 0x7f800001
	v_mov_b32_e32 v40, v42
	v_cndmask_b32_e32 v1, v2, v1, vcc
.LBB4_3758:                             ;   in Loop: Header=BB4_3368 Depth=3
	s_or_b64 exec, exec, s[42:43]
	v_mul_f32_e32 v8, v8, v1
	v_and_b32_e32 v2, 0x7f800000, v8
	v_cmp_ne_u64_e32 vcc, s[62:63], v[2:3]
                                        ; implicit-def: $vgpr12
	s_and_saveexec_b64 s[40:41], vcc
	s_xor_b64 s[42:43], exec, s[40:41]
	s_cbranch_execz .LBB4_3772
; %bb.3759:                             ;   in Loop: Header=BB4_3368 Depth=3
	v_and_b32_e32 v2, 0x7fffffff, v8
	v_cmp_gt_u64_e32 vcc, s[72:73], v[2:3]
	v_and_b32_sdwa v50, v8, s70 dst_sel:DWORD dst_unused:UNUSED_PAD src0_sel:BYTE_3 src1_sel:DWORD
                                        ; implicit-def: $vgpr12
	s_and_saveexec_b64 s[40:41], vcc
	s_xor_b64 s[38:39], exec, s[40:41]
	s_cbranch_execz .LBB4_3769
; %bb.3760:                             ;   in Loop: Header=BB4_3368 Depth=3
	v_mov_b32_e32 v12, 0
	v_cmp_ne_u32_e32 vcc, 0, v8
	s_and_saveexec_b64 s[48:49], vcc
	s_cbranch_execz .LBB4_3768
; %bb.3761:                             ;   in Loop: Header=BB4_3368 Depth=3
	v_bfe_u32 v42, v8, 23, 8
	v_cmp_gt_u32_e64 s[40:41], s80, v42
	v_sub_u32_e32 v2, 0x79, v42
	v_and_b32_e32 v1, 0x7fffff, v8
	v_cmp_eq_u32_e32 vcc, 0, v42
	v_cndmask_b32_e64 v2, 0, v2, s[40:41]
	v_mov_b32_e32 v9, 0x78
	v_or_b32_e32 v8, 0x800000, v1
	v_cndmask_b32_e32 v43, v2, v9, vcc
	v_cndmask_b32_e32 v2, v8, v1, vcc
	v_add_u32_e32 v1, 20, v43
	v_lshlrev_b64 v[8:9], v1, -1
	v_add_u32_e32 v1, 19, v43
	v_lshlrev_b64 v[12:13], v1, 1
	v_bfi_b32 v9, v9, 0, 0
	v_bfi_b32 v8, v8, 0, v2
	v_cmp_eq_u64_e64 s[40:41], v[8:9], v[12:13]
	v_lshrrev_b64 v[8:9], v43, v[2:3]
	v_mov_b32_e32 v13, v9
	v_mov_b32_e32 v12, v8
	s_and_saveexec_b64 s[50:51], s[40:41]
; %bb.3762:                             ;   in Loop: Header=BB4_3368 Depth=3
	v_bfe_u32 v1, v8, 20, 1
	v_add_co_u32_e64 v1, s[40:41], v8, v1
	v_add_co_u32_e64 v12, s[40:41], -1, v1
; %bb.3763:                             ;   in Loop: Header=BB4_3368 Depth=3
	s_or_b64 exec, exec, s[50:51]
	v_add_u32_e32 v1, 0xffffff81, v42
	v_mov_b32_e32 v2, 0xffffff82
	v_cndmask_b32_e32 v1, v1, v2, vcc
	v_lshrrev_b32_e32 v2, 23, v8
	v_add3_u32 v13, v43, v1, v2
	v_add_u32_e32 v1, 6, v13
	v_and_b32_e32 v2, 0xfffff, v12
	v_add_u32_e32 v2, v2, v8
	v_cmp_ne_u32_e32 vcc, 0, v1
                                        ; implicit-def: $vgpr8_vgpr9
                                        ; implicit-def: $vgpr12
	s_and_saveexec_b64 s[40:41], vcc
	s_xor_b64 s[40:41], exec, s[40:41]
; %bb.3764:                             ;   in Loop: Header=BB4_3368 Depth=3
	v_cmp_lt_u64_e32 vcc, s[88:89], v[2:3]
	v_add_u32_e32 v8, 7, v13
	v_cndmask_b32_e32 v12, v1, v8, vcc
	v_cndmask_b32_e64 v1, 0, 1, vcc
	v_lshrrev_b64 v[8:9], v1, v[2:3]
; %bb.3765:                             ;   in Loop: Header=BB4_3368 Depth=3
	s_andn2_saveexec_b64 s[40:41], s[40:41]
; %bb.3766:                             ;   in Loop: Header=BB4_3368 Depth=3
	v_mov_b32_e32 v9, v3
	v_bfe_u32 v12, v2, 23, 1
	v_mov_b32_e32 v8, v2
; %bb.3767:                             ;   in Loop: Header=BB4_3368 Depth=3
	s_or_b64 exec, exec, s[40:41]
	v_lshrrev_b64 v[1:2], 20, v[8:9]
	v_cmp_gt_i32_e32 vcc, 16, v12
	v_cndmask_b32_e32 v2, 0, v2, vcc
	v_cndmask_b32_e32 v1, 7, v1, vcc
	v_cmp_eq_u64_e64 s[40:41], 0, v[1:2]
	v_min_i32_e32 v2, 15, v12
	v_lshlrev_b32_e32 v2, 3, v2
	v_cmp_eq_u32_e32 vcc, 0, v12
	v_and_b32_e32 v2, 0xf8, v2
	v_and_or_b32 v1, v1, 7, v2
	s_and_b64 s[40:41], vcc, s[40:41]
	v_cndmask_b32_e64 v1, v1, 0, s[40:41]
	v_or_b32_e32 v12, v1, v50
.LBB4_3768:                             ;   in Loop: Header=BB4_3368 Depth=3
	s_or_b64 exec, exec, s[48:49]
                                        ; implicit-def: $vgpr50
.LBB4_3769:                             ;   in Loop: Header=BB4_3368 Depth=3
	s_andn2_saveexec_b64 s[40:41], s[38:39]
; %bb.3770:                             ;   in Loop: Header=BB4_3368 Depth=3
	v_or_b32_e32 v12, 0x7e, v50
; %bb.3771:                             ;   in Loop: Header=BB4_3368 Depth=3
	s_or_b64 exec, exec, s[40:41]
                                        ; implicit-def: $vgpr8
.LBB4_3772:                             ;   in Loop: Header=BB4_3368 Depth=3
	s_andn2_saveexec_b64 s[40:41], s[42:43]
; %bb.3773:                             ;   in Loop: Header=BB4_3368 Depth=3
	v_or_b32_sdwa v12, v8, s71 dst_sel:DWORD dst_unused:UNUSED_PAD src0_sel:BYTE_3 src1_sel:DWORD
; %bb.3774:                             ;   in Loop: Header=BB4_3368 Depth=3
	s_or_b64 exec, exec, s[40:41]
	v_cmp_lt_u64_e32 vcc, s[56:57], v[14:15]
	v_mov_b32_e32 v8, 0
	s_and_saveexec_b64 s[40:41], vcc
	s_cbranch_execz .LBB4_3780
; %bb.3775:                             ;   in Loop: Header=BB4_3368 Depth=3
	v_lshrrev_b32_e32 v2, 24, v15
	v_cmp_ne_u32_e32 vcc, s70, v2
	v_bfrev_b32_e32 v8, 1
	s_and_saveexec_b64 s[42:43], vcc
	s_cbranch_execz .LBB4_3779
; %bb.3776:                             ;   in Loop: Header=BB4_3368 Depth=3
	v_bfe_u32 v1, v15, 24, 7
	v_cmp_ne_u32_e32 vcc, s71, v1
	v_mov_b32_e32 v8, 0x7f800001
	s_and_saveexec_b64 s[38:39], vcc
	s_cbranch_execz .LBB4_3778
; %bb.3777:                             ;   in Loop: Header=BB4_3368 Depth=3
	v_and_b32_e32 v13, 7, v2
	v_lshrrev_b32_e32 v14, 3, v1
	v_cmp_gt_u32_e32 vcc, 8, v1
	v_ffbh_u32_e32 v1, v13
	v_min_u32_e32 v1, 32, v1
	v_subrev_u32_e32 v8, 28, v1
	v_lshlrev_b64 v[8:9], v8, v[2:3]
	v_sub_u32_e32 v1, 29, v1
	v_and_b32_e32 v8, 7, v8
	v_cndmask_b32_e32 v1, v14, v1, vcc
	v_cndmask_b32_e32 v8, v13, v8, vcc
	v_lshlrev_b32_e32 v2, 24, v2
	v_lshlrev_b32_e32 v8, 20, v8
	v_and_b32_e32 v2, 0x80000000, v2
	v_lshl_add_u32 v1, v1, 23, v0
	v_or3_b32 v8, v2, v1, v8
.LBB4_3778:                             ;   in Loop: Header=BB4_3368 Depth=3
	s_or_b64 exec, exec, s[38:39]
.LBB4_3779:                             ;   in Loop: Header=BB4_3368 Depth=3
	s_or_b64 exec, exec, s[42:43]
.LBB4_3780:                             ;   in Loop: Header=BB4_3368 Depth=3
	s_or_b64 exec, exec, s[40:41]
	v_bfe_u32 v2, v11, 24, 3
	v_ffbh_u32_e32 v13, v2
	v_min_u32_e32 v50, 32, v13
	v_lshrrev_b32_e32 v1, 24, v11
	v_subrev_u32_e32 v13, 28, v50
	v_lshlrev_b64 v[13:14], v13, v[1:2]
	v_bfe_u32 v9, v11, 24, 7
	v_bfe_u32 v15, v1, 3, 4
	v_sub_u32_e32 v14, 29, v50
	v_and_b32_e32 v13, 7, v13
	v_cmp_gt_u32_e32 vcc, 8, v9
	v_cndmask_b32_e32 v14, v15, v14, vcc
	v_cndmask_b32_e32 v2, v2, v13, vcc
	v_lshlrev_b32_e32 v2, 20, v2
	v_and_b32_e32 v13, 0x80000000, v11
	v_lshl_add_u32 v14, v14, 23, v0
	v_or3_b32 v2, v13, v14, v2
	v_cmp_ne_u32_e32 vcc, s71, v9
	v_mov_b32_e32 v9, 0x7f800001
	v_cndmask_b32_e32 v2, v9, v2, vcc
	v_cmp_ne_u32_e32 vcc, s70, v1
	v_bfrev_b32_e32 v1, 1
	v_cndmask_b32_e32 v1, v1, v2, vcc
	v_cmp_lt_u64_e32 vcc, s[56:57], v[10:11]
	v_cndmask_b32_e32 v1, 0, v1, vcc
	v_mul_f32_e32 v8, v1, v8
	v_and_b32_e32 v2, 0x7f800000, v8
	v_cmp_ne_u64_e32 vcc, s[62:63], v[2:3]
                                        ; implicit-def: $vgpr2
	s_and_saveexec_b64 s[40:41], vcc
	s_xor_b64 s[42:43], exec, s[40:41]
	s_cbranch_execz .LBB4_3794
; %bb.3781:                             ;   in Loop: Header=BB4_3368 Depth=3
	v_and_b32_e32 v2, 0x7fffffff, v8
	v_cmp_gt_u64_e32 vcc, s[72:73], v[2:3]
	v_and_b32_sdwa v11, v8, s70 dst_sel:DWORD dst_unused:UNUSED_PAD src0_sel:BYTE_3 src1_sel:DWORD
                                        ; implicit-def: $vgpr2
	s_and_saveexec_b64 s[40:41], vcc
	s_xor_b64 s[38:39], exec, s[40:41]
	s_cbranch_execz .LBB4_3791
; %bb.3782:                             ;   in Loop: Header=BB4_3368 Depth=3
	v_mov_b32_e32 v2, 0
	v_cmp_ne_u32_e32 vcc, 0, v8
	s_and_saveexec_b64 s[48:49], vcc
	s_cbranch_execz .LBB4_3790
; %bb.3783:                             ;   in Loop: Header=BB4_3368 Depth=3
	v_bfe_u32 v13, v8, 23, 8
	v_cmp_gt_u32_e64 s[40:41], s80, v13
	v_sub_u32_e32 v2, 0x79, v13
	v_and_b32_e32 v1, 0x7fffff, v8
	v_cmp_eq_u32_e32 vcc, 0, v13
	v_cndmask_b32_e64 v2, 0, v2, s[40:41]
	v_mov_b32_e32 v9, 0x78
	v_or_b32_e32 v8, 0x800000, v1
	v_cndmask_b32_e32 v14, v2, v9, vcc
	v_cndmask_b32_e32 v2, v8, v1, vcc
	v_add_u32_e32 v1, 20, v14
	v_lshlrev_b64 v[8:9], v1, -1
	v_add_u32_e32 v1, 19, v14
	v_lshlrev_b64 v[42:43], v1, 1
	v_bfi_b32 v9, v9, 0, 0
	v_bfi_b32 v8, v8, 0, v2
	v_cmp_eq_u64_e64 s[40:41], v[8:9], v[42:43]
	v_lshrrev_b64 v[8:9], v14, v[2:3]
	v_mov_b32_e32 v10, v9
	v_mov_b32_e32 v9, v8
	s_and_saveexec_b64 s[50:51], s[40:41]
; %bb.3784:                             ;   in Loop: Header=BB4_3368 Depth=3
	v_bfe_u32 v1, v8, 20, 1
	v_add_co_u32_e64 v1, s[40:41], v8, v1
	v_add_co_u32_e64 v9, s[40:41], -1, v1
; %bb.3785:                             ;   in Loop: Header=BB4_3368 Depth=3
	s_or_b64 exec, exec, s[50:51]
	v_add_u32_e32 v1, 0xffffff81, v13
	v_mov_b32_e32 v2, 0xffffff82
	v_cndmask_b32_e32 v1, v1, v2, vcc
	v_lshrrev_b32_e32 v2, 23, v8
	v_add3_u32 v13, v14, v1, v2
	v_add_u32_e32 v1, 6, v13
	v_and_b32_e32 v2, 0xfffff, v9
	v_add_u32_e32 v2, v2, v8
	v_cmp_ne_u32_e32 vcc, 0, v1
                                        ; implicit-def: $vgpr8_vgpr9
                                        ; implicit-def: $vgpr10
	s_and_saveexec_b64 s[40:41], vcc
	s_xor_b64 s[40:41], exec, s[40:41]
; %bb.3786:                             ;   in Loop: Header=BB4_3368 Depth=3
	v_cmp_lt_u64_e32 vcc, s[88:89], v[2:3]
	v_add_u32_e32 v8, 7, v13
	v_cndmask_b32_e32 v10, v1, v8, vcc
	v_cndmask_b32_e64 v1, 0, 1, vcc
	v_lshrrev_b64 v[8:9], v1, v[2:3]
; %bb.3787:                             ;   in Loop: Header=BB4_3368 Depth=3
	s_andn2_saveexec_b64 s[40:41], s[40:41]
; %bb.3788:                             ;   in Loop: Header=BB4_3368 Depth=3
	v_mov_b32_e32 v9, v3
	v_bfe_u32 v10, v2, 23, 1
	v_mov_b32_e32 v8, v2
; %bb.3789:                             ;   in Loop: Header=BB4_3368 Depth=3
	s_or_b64 exec, exec, s[40:41]
	v_lshrrev_b64 v[1:2], 20, v[8:9]
	v_cmp_gt_i32_e32 vcc, 16, v10
	v_cndmask_b32_e32 v2, 0, v2, vcc
	v_cndmask_b32_e32 v1, 7, v1, vcc
	v_cmp_eq_u64_e64 s[40:41], 0, v[1:2]
	v_min_i32_e32 v2, 15, v10
	v_lshlrev_b32_e32 v2, 3, v2
	v_cmp_eq_u32_e32 vcc, 0, v10
	v_and_b32_e32 v2, 0xf8, v2
	v_and_or_b32 v1, v1, 7, v2
	s_and_b64 s[40:41], vcc, s[40:41]
	v_cndmask_b32_e64 v1, v1, 0, s[40:41]
	v_or_b32_e32 v2, v1, v11
.LBB4_3790:                             ;   in Loop: Header=BB4_3368 Depth=3
	s_or_b64 exec, exec, s[48:49]
                                        ; implicit-def: $vgpr11
.LBB4_3791:                             ;   in Loop: Header=BB4_3368 Depth=3
	s_andn2_saveexec_b64 s[40:41], s[38:39]
; %bb.3792:                             ;   in Loop: Header=BB4_3368 Depth=3
	v_or_b32_e32 v2, 0x7e, v11
; %bb.3793:                             ;   in Loop: Header=BB4_3368 Depth=3
	s_or_b64 exec, exec, s[40:41]
                                        ; implicit-def: $vgpr8
.LBB4_3794:                             ;   in Loop: Header=BB4_3368 Depth=3
	s_andn2_saveexec_b64 s[40:41], s[42:43]
; %bb.3795:                             ;   in Loop: Header=BB4_3368 Depth=3
	v_or_b32_sdwa v2, v8, s71 dst_sel:DWORD dst_unused:UNUSED_PAD src0_sel:BYTE_3 src1_sel:DWORD
; %bb.3796:                             ;   in Loop: Header=BB4_3368 Depth=3
	s_or_b64 exec, exec, s[40:41]
	v_lshl_or_b32 v1, v36, 8, v23
	v_lshlrev_b32_e32 v8, 16, v22
	v_lshlrev_b32_e32 v9, 24, v52
	v_or3_b32 v9, v1, v8, v9
	v_lshl_or_b32 v1, v34, 8, v31
	v_lshlrev_b32_e32 v8, 16, v35
	v_lshlrev_b32_e32 v10, 24, v37
	v_or3_b32 v8, v1, v8, v10
	;; [unrolled: 4-line block ×3, first 2 shown]
	v_lshlrev_b32_e32 v1, 24, v2
	v_lshlrev_b32_e32 v2, 16, v12
	v_lshl_or_b32 v11, v21, 8, v20
	v_or3_b32 v11, v11, v2, v1
	s_mov_b64 s[48:49], 0
	s_mov_b64 s[38:39], -1
.LBB4_3797:                             ;   Parent Loop BB4_47 Depth=1
                                        ;     Parent Loop BB4_2384 Depth=2
                                        ;       Parent Loop BB4_3368 Depth=3
                                        ; =>      This Inner Loop Header: Depth=4
	s_cmp_eq_u32 s48, 1
	s_cselect_b64 s[40:41], -1, 0
	v_cndmask_b32_e64 v2, v7, v30, s[40:41]
	v_cndmask_b32_e64 v1, v6, v29, s[40:41]
	global_store_dwordx4 v[1:2], v[8:11], off glc slc
	v_add_co_u32_e32 v1, vcc, 0x400, v1
	s_cmp_eq_u32 s48, 0
	v_addc_co_u32_e32 v2, vcc, 0, v2, vcc
	s_cselect_b64 vcc, -1, 0
	s_and_b64 s[42:43], exec, s[38:39]
	s_mov_b64 s[48:49], 1
	v_cndmask_b32_e64 v29, v29, v1, s[40:41]
	s_mov_b64 s[38:39], 0
	v_cndmask_b32_e64 v30, v30, v2, s[40:41]
	v_cndmask_b32_e32 v7, v7, v2, vcc
	v_cndmask_b32_e32 v6, v6, v1, vcc
	s_mov_b64 vcc, s[42:43]
	s_cbranch_vccnz .LBB4_3797
; %bb.3798:                             ;   in Loop: Header=BB4_3368 Depth=3
	buffer_load_dword v1, off, s[0:3], s33 offset:148 ; 4-byte Folded Reload
	buffer_load_dword v2, off, s[0:3], s33 offset:152 ; 4-byte Folded Reload
	s_waitcnt vmcnt(1)
	v_add_co_u32_e32 v16, vcc, v16, v1
	s_waitcnt vmcnt(0)
	v_addc_co_u32_e32 v17, vcc, v17, v2, vcc
	v_add_co_u32_e32 v18, vcc, v18, v1
	buffer_load_dword v1, off, s[0:3], s33 offset:140 ; 4-byte Folded Reload
	v_addc_co_u32_e32 v19, vcc, v19, v2, vcc
	buffer_load_dword v2, off, s[0:3], s33 offset:144 ; 4-byte Folded Reload
	s_waitcnt vmcnt(1)
	v_add_co_u32_e32 v6, vcc, v6, v1
	s_waitcnt vmcnt(0)
	v_addc_co_u32_e32 v7, vcc, v7, v2, vcc
	v_add_co_u32_e32 v29, vcc, v29, v1
	buffer_load_dword v1, off, s[0:3], s33 offset:68 ; 4-byte Folded Reload
	v_addc_co_u32_e32 v30, vcc, v30, v2, vcc
	s_waitcnt vmcnt(0)
	v_sub_u32_e32 v5, v5, v1
	buffer_load_dword v1, off, s[0:3], s33 offset:64 ; 4-byte Folded Reload
	v_cmp_gt_i32_e32 vcc, 16, v5
	s_or_b64 s[36:37], vcc, s[36:37]
	s_waitcnt vmcnt(0)
	v_sub_u32_e32 v27, v27, v1
	s_andn2_b64 exec, exec, s[36:37]
	s_cbranch_execnz .LBB4_3368
	s_branch .LBB4_3819
.LBB4_3799:                             ;   in Loop: Header=BB4_3368 Depth=3
	s_or_saveexec_b64 s[42:43], s[42:43]
	v_bfrev_b32_e32 v1, 1
	s_xor_b64 exec, exec, s[42:43]
	s_cbranch_execz .LBB4_3378
.LBB4_3800:                             ;   in Loop: Header=BB4_3368 Depth=3
	v_cmp_ne_u16_sdwa s[44:45], v8, v3 src0_sel:BYTE_0 src1_sel:DWORD
	s_andn2_b64 s[40:41], s[40:41], exec
	s_and_b64 s[44:45], s[44:45], exec
	v_mov_b32_e32 v1, 0
	s_or_b64 s[40:41], s[40:41], s[44:45]
	s_or_b64 exec, exec, s[42:43]
	s_and_saveexec_b64 s[42:43], s[40:41]
	s_cbranch_execnz .LBB4_3379
	s_branch .LBB4_3380
.LBB4_3801:                             ;   in Loop: Header=BB4_3368 Depth=3
	s_or_saveexec_b64 s[42:43], s[42:43]
	v_bfrev_b32_e32 v1, 1
	s_xor_b64 exec, exec, s[42:43]
	s_cbranch_execz .LBB4_3406
.LBB4_3802:                             ;   in Loop: Header=BB4_3368 Depth=3
	v_cmp_ne_u16_e32 vcc, 0, v2
	s_andn2_b64 s[40:41], s[40:41], exec
	s_and_b64 s[44:45], vcc, exec
	v_mov_b32_e32 v1, 0
	s_or_b64 s[40:41], s[40:41], s[44:45]
	s_or_b64 exec, exec, s[42:43]
	s_and_saveexec_b64 s[42:43], s[40:41]
	s_cbranch_execnz .LBB4_3407
	s_branch .LBB4_3408
.LBB4_3803:                             ;   in Loop: Header=BB4_3368 Depth=3
	s_or_saveexec_b64 s[42:43], s[42:43]
	v_bfrev_b32_e32 v1, 1
	s_xor_b64 exec, exec, s[42:43]
	s_cbranch_execz .LBB4_3434
.LBB4_3804:                             ;   in Loop: Header=BB4_3368 Depth=3
	v_cmp_ne_u16_sdwa s[44:45], v2, v3 src0_sel:BYTE_0 src1_sel:DWORD
	s_andn2_b64 s[40:41], s[40:41], exec
	s_and_b64 s[44:45], s[44:45], exec
	v_mov_b32_e32 v1, 0
	s_or_b64 s[40:41], s[40:41], s[44:45]
	s_or_b64 exec, exec, s[42:43]
	s_and_saveexec_b64 s[42:43], s[40:41]
	s_cbranch_execnz .LBB4_3435
	s_branch .LBB4_3436
.LBB4_3805:                             ;   in Loop: Header=BB4_3368 Depth=3
	s_or_saveexec_b64 s[42:43], s[42:43]
	v_bfrev_b32_e32 v1, 1
	s_xor_b64 exec, exec, s[42:43]
	s_cbranch_execz .LBB4_3514
.LBB4_3806:                             ;   in Loop: Header=BB4_3368 Depth=3
	v_cmp_ne_u16_e32 vcc, 0, v2
	s_andn2_b64 s[40:41], s[40:41], exec
	s_and_b64 s[44:45], vcc, exec
	v_mov_b32_e32 v1, 0
	s_or_b64 s[40:41], s[40:41], s[44:45]
	s_or_b64 exec, exec, s[42:43]
	s_and_saveexec_b64 s[42:43], s[40:41]
	s_cbranch_execnz .LBB4_3515
	s_branch .LBB4_3516
.LBB4_3807:                             ;   in Loop: Header=BB4_3368 Depth=3
	s_or_saveexec_b64 s[42:43], s[42:43]
	v_bfrev_b32_e32 v1, 1
	s_xor_b64 exec, exec, s[42:43]
	s_cbranch_execz .LBB4_3542
.LBB4_3808:                             ;   in Loop: Header=BB4_3368 Depth=3
	v_cmp_ne_u16_sdwa s[44:45], v2, v3 src0_sel:BYTE_0 src1_sel:DWORD
	s_andn2_b64 s[40:41], s[40:41], exec
	s_and_b64 s[44:45], s[44:45], exec
	v_mov_b32_e32 v1, 0
	s_or_b64 s[40:41], s[40:41], s[44:45]
	s_or_b64 exec, exec, s[42:43]
	s_and_saveexec_b64 s[42:43], s[40:41]
	s_cbranch_execnz .LBB4_3543
	s_branch .LBB4_3544
.LBB4_3809:                             ;   in Loop: Header=BB4_3368 Depth=3
	s_or_saveexec_b64 s[42:43], s[42:43]
	v_bfrev_b32_e32 v1, 1
	s_xor_b64 exec, exec, s[42:43]
	s_cbranch_execz .LBB4_3592
.LBB4_3810:                             ;   in Loop: Header=BB4_3368 Depth=3
	v_cmp_ne_u16_sdwa s[44:45], v10, v3 src0_sel:BYTE_0 src1_sel:DWORD
	s_andn2_b64 s[40:41], s[40:41], exec
	s_and_b64 s[44:45], s[44:45], exec
	v_mov_b32_e32 v1, 0
	s_or_b64 s[40:41], s[40:41], s[44:45]
	s_or_b64 exec, exec, s[42:43]
	s_and_saveexec_b64 s[42:43], s[40:41]
	s_cbranch_execnz .LBB4_3593
	s_branch .LBB4_3594
.LBB4_3811:                             ;   in Loop: Header=BB4_3368 Depth=3
	s_or_saveexec_b64 s[42:43], s[42:43]
	v_bfrev_b32_e32 v1, 1
	s_xor_b64 exec, exec, s[42:43]
	s_cbranch_execz .LBB4_3620
.LBB4_3812:                             ;   in Loop: Header=BB4_3368 Depth=3
	v_cmp_ne_u16_e32 vcc, 0, v2
	s_andn2_b64 s[40:41], s[40:41], exec
	s_and_b64 s[44:45], vcc, exec
	v_mov_b32_e32 v1, 0
	s_or_b64 s[40:41], s[40:41], s[44:45]
	s_or_b64 exec, exec, s[42:43]
	s_and_saveexec_b64 s[42:43], s[40:41]
	s_cbranch_execnz .LBB4_3621
	s_branch .LBB4_3622
.LBB4_3813:                             ;   in Loop: Header=BB4_3368 Depth=3
	s_or_saveexec_b64 s[42:43], s[42:43]
	v_bfrev_b32_e32 v1, 1
	s_xor_b64 exec, exec, s[42:43]
	s_cbranch_execz .LBB4_3648
.LBB4_3814:                             ;   in Loop: Header=BB4_3368 Depth=3
	v_cmp_ne_u16_sdwa s[44:45], v2, v3 src0_sel:BYTE_0 src1_sel:DWORD
	s_andn2_b64 s[40:41], s[40:41], exec
	s_and_b64 s[44:45], s[44:45], exec
	v_mov_b32_e32 v1, 0
	s_or_b64 s[40:41], s[40:41], s[44:45]
	s_or_b64 exec, exec, s[42:43]
	s_and_saveexec_b64 s[42:43], s[40:41]
	s_cbranch_execnz .LBB4_3649
	s_branch .LBB4_3650
.LBB4_3815:                             ;   in Loop: Header=BB4_3368 Depth=3
	s_or_saveexec_b64 s[42:43], s[42:43]
	v_bfrev_b32_e32 v1, 1
	s_xor_b64 exec, exec, s[42:43]
	s_cbranch_execz .LBB4_3728
.LBB4_3816:                             ;   in Loop: Header=BB4_3368 Depth=3
	v_cmp_ne_u16_e32 vcc, 0, v2
	s_andn2_b64 s[40:41], s[40:41], exec
	s_and_b64 s[44:45], vcc, exec
	v_mov_b32_e32 v1, 0
	s_or_b64 s[40:41], s[40:41], s[44:45]
	s_or_b64 exec, exec, s[42:43]
	s_and_saveexec_b64 s[42:43], s[40:41]
	s_cbranch_execnz .LBB4_3729
	s_branch .LBB4_3730
.LBB4_3817:                             ;   in Loop: Header=BB4_3368 Depth=3
	s_or_saveexec_b64 s[42:43], s[42:43]
	v_bfrev_b32_e32 v1, 1
	s_xor_b64 exec, exec, s[42:43]
	s_cbranch_execz .LBB4_3756
.LBB4_3818:                             ;   in Loop: Header=BB4_3368 Depth=3
	v_cmp_ne_u16_sdwa s[44:45], v2, v3 src0_sel:BYTE_0 src1_sel:DWORD
	s_andn2_b64 s[40:41], s[40:41], exec
	s_and_b64 s[44:45], s[44:45], exec
	v_mov_b32_e32 v1, 0
	s_or_b64 s[40:41], s[40:41], s[44:45]
	s_or_b64 exec, exec, s[42:43]
	s_and_saveexec_b64 s[42:43], s[40:41]
	s_cbranch_execnz .LBB4_3757
	s_branch .LBB4_3758
.LBB4_3819:                             ;   in Loop: Header=BB4_2384 Depth=2
	s_or_b64 exec, exec, s[36:37]
	buffer_load_dword v29, off, s[0:3], s33 offset:64 ; 4-byte Folded Reload
	buffer_load_dword v22, off, s[0:3], s33 offset:208 ; 4-byte Folded Reload
	;; [unrolled: 1-line block ×4, first 2 shown]
.LBB4_3820:                             ;   in Loop: Header=BB4_2384 Depth=2
	s_or_b64 exec, exec, s[34:35]
	v_and_b32_e32 v1, 15, v40
	v_cndmask_b32_e64 v7, v28, v1, s[28:29]
	v_mov_b32_e32 v12, 0
	v_cmp_ne_u32_e32 vcc, 0, v7
	s_mov_b64 s[42:43], 0
                                        ; implicit-def: $vgpr5
                                        ; implicit-def: $vgpr2
	s_and_saveexec_b64 s[40:41], vcc
	s_cbranch_execz .LBB4_3822
; %bb.3821:                             ;   in Loop: Header=BB4_2384 Depth=2
	v_sub_u32_e32 v1, v28, v1
	v_cndmask_b32_e64 v1, 0, v1, s[28:29]
	v_cmp_lt_i32_e32 vcc, 0, v27
	v_add3_u32 v12, v26, v24, v1
	s_waitcnt vmcnt(3)
	v_cndmask_b32_e32 v1, 0, v29, vcc
	v_sub_u32_e32 v1, v1, v27
	v_lshl_add_u32 v5, v1, 6, v25
	v_ashrrev_i32_e32 v1, 31, v5
	v_lshrrev_b32_e32 v1, 26, v1
	v_add_u32_e32 v1, v5, v1
	v_ashrrev_i32_e32 v2, 6, v1
	s_mov_b64 s[42:43], exec
.LBB4_3822:                             ;   in Loop: Header=BB4_2384 Depth=2
	s_or_b64 exec, exec, s[40:41]
	s_and_b64 s[28:29], s[42:43], exec
.LBB4_3823:                             ;   in Loop: Header=BB4_2384 Depth=2
	s_or_b64 exec, exec, s[30:31]
	s_and_saveexec_b64 s[42:43], s[28:29]
	s_cbranch_execz .LBB4_4378
.LBB4_3824:                             ;   in Loop: Header=BB4_2384 Depth=2
	v_ashrrev_i32_e32 v1, 31, v7
	v_lshrrev_b32_e32 v1, 22, v1
	v_add_u32_e32 v1, v7, v1
	v_ashrrev_i32_e32 v8, 10, v1
	s_waitcnt vmcnt(0)
	v_sub_u32_e32 v19, v8, v2
	v_ashrrev_i32_e32 v1, 31, v5
	v_cmp_lt_i32_e32 vcc, 0, v19
	v_lshrrev_b32_e32 v6, 26, v1
	s_and_saveexec_b64 s[40:41], vcc
	s_cbranch_execz .LBB4_4340
; %bb.3825:                             ;   in Loop: Header=BB4_2384 Depth=2
	v_add_u32_e32 v1, v5, v6
	v_and_b32_e32 v1, 0xffffffc0, v1
	buffer_store_dword v8, off, s[0:3], s33 offset:272 ; 4-byte Folded Spill
	buffer_store_dword v6, off, s[0:3], s33 offset:264 ; 4-byte Folded Spill
	;; [unrolled: 1-line block ×3, first 2 shown]
	v_sub_u32_e32 v1, v5, v1
	v_lshlrev_b32_e32 v2, 10, v2
	buffer_store_dword v12, off, s[0:3], s33 offset:176 ; 4-byte Folded Spill
	v_add3_u32 v5, v12, v1, v2
	buffer_load_dword v1, off, s[0:3], s33 offset:188 ; 4-byte Folded Reload
	buffer_load_dword v2, off, s[0:3], s33 offset:192 ; 4-byte Folded Reload
	v_ashrrev_i32_e32 v6, 31, v5
	s_trap 2
	s_mov_b64 s[30:31], 0
	s_waitcnt vmcnt(1)
	v_add_co_u32_e32 v8, vcc, v5, v1
	s_waitcnt vmcnt(0)
	v_addc_co_u32_e32 v9, vcc, v6, v2, vcc
	ds_read_b64 v[1:2], v0
	buffer_load_dword v12, off, s[0:3], s33 offset:200 ; 4-byte Folded Reload
	buffer_load_dword v13, off, s[0:3], s33 offset:204 ; 4-byte Folded Reload
	v_add_co_u32_e32 v10, vcc, v5, v56
	v_addc_co_u32_e32 v11, vcc, v6, v57, vcc
	s_waitcnt vmcnt(1)
	v_add_co_u32_e32 v12, vcc, v5, v12
	s_waitcnt vmcnt(0)
	v_addc_co_u32_e32 v13, vcc, v6, v13, vcc
	s_waitcnt lgkmcnt(0)
	v_add_co_u32_e32 v14, vcc, v1, v5
	buffer_load_dword v5, off, s[0:3], s33 offset:68 ; 4-byte Folded Reload
	v_addc_co_u32_e32 v15, vcc, v2, v6, vcc
	s_branch .LBB4_3827
.LBB4_3826:                             ;   in Loop: Header=BB4_3827 Depth=3
	s_or_b64 exec, exec, s[28:29]
	flat_store_byte v[8:9], v21 glc slc
	flat_store_byte v[8:9], v26 offset:64 glc slc
	flat_store_byte v[8:9], v29 offset:128 glc slc
	;; [unrolled: 1-line block ×15, first 2 shown]
	flat_store_byte v[10:11], v21 glc slc
	flat_store_byte v[10:11], v26 offset:64 glc slc
	flat_store_byte v[10:11], v29 offset:128 glc slc
	;; [unrolled: 1-line block ×15, first 2 shown]
	buffer_load_dword v29, off, s[0:3], s33 offset:64 ; 4-byte Folded Reload
	s_waitcnt vmcnt(0)
	v_add_co_u32_e32 v12, vcc, v12, v5
	v_addc_co_u32_e32 v13, vcc, 0, v13, vcc
	v_add_co_u32_e32 v14, vcc, v14, v5
	v_addc_co_u32_e32 v15, vcc, 0, v15, vcc
	;; [unrolled: 2-line block ×3, first 2 shown]
	v_sub_u32_e32 v19, v19, v29
	v_cmp_gt_i32_e32 vcc, 1, v19
	s_or_b64 s[30:31], vcc, s[30:31]
	v_add_co_u32_e32 v10, vcc, v10, v5
	v_addc_co_u32_e32 v11, vcc, 0, v11, vcc
	s_andn2_b64 exec, exec, s[30:31]
	s_cbranch_execz .LBB4_4339
.LBB4_3827:                             ;   Parent Loop BB4_47 Depth=1
                                        ;     Parent Loop BB4_2384 Depth=2
                                        ; =>    This Inner Loop Header: Depth=3
	flat_load_ubyte v21, v[12:13] glc slc
	flat_load_ubyte v47, v[12:13] offset:64 glc slc
	flat_load_ubyte v43, v[12:13] offset:128 glc slc
	;; [unrolled: 1-line block ×15, first 2 shown]
	flat_load_ubyte v16, v[14:15] glc slc
	flat_load_ubyte v26, v[14:15] offset:64 glc slc
	flat_load_ubyte v29, v[14:15] offset:128 glc slc
	flat_load_ubyte v34, v[14:15] offset:192 glc slc
	flat_load_ubyte v37, v[14:15] offset:256 glc slc
	flat_load_ubyte v54, v[14:15] offset:320 glc slc
	flat_load_ubyte v45, v[14:15] offset:384 glc slc
	flat_load_ubyte v58, v[14:15] offset:448 glc slc
	flat_load_ubyte v57, v[14:15] offset:512 glc slc
	flat_load_ubyte v42, v[14:15] offset:576 glc slc
	flat_load_ubyte v53, v[14:15] offset:640 glc slc
	flat_load_ubyte v36, v[14:15] offset:704 glc slc
	flat_load_ubyte v31, v[14:15] offset:768 glc slc
	flat_load_ubyte v28, v[14:15] offset:832 glc slc
	flat_load_ubyte v25, v[14:15] offset:896 glc slc
	flat_load_ubyte v22, v[14:15] offset:960 glc slc
	v_mov_b32_e32 v17, 0
	v_mov_b32_e32 v18, 0
	s_waitcnt vmcnt(0) lgkmcnt(0)
	v_cmp_ne_u16_e32 vcc, 0, v21
	s_and_saveexec_b64 s[28:29], vcc
	s_cbranch_execz .LBB4_3833
; %bb.3828:                             ;   in Loop: Header=BB4_3827 Depth=3
	v_cmp_ne_u16_e32 vcc, s70, v21
	v_bfrev_b32_e32 v18, 1
	s_and_saveexec_b64 s[34:35], vcc
	s_cbranch_execz .LBB4_3832
; %bb.3829:                             ;   in Loop: Header=BB4_3827 Depth=3
	v_and_b32_e32 v2, 0xffff, v21
	v_and_b32_e32 v1, 0x7f, v2
	v_cmp_ne_u32_e32 vcc, s71, v1
	v_mov_b32_e32 v18, 0x7f800001
	s_and_saveexec_b64 s[36:37], vcc
	s_cbranch_execz .LBB4_3831
; %bb.3830:                             ;   in Loop: Header=BB4_3827 Depth=3
	v_and_b32_e32 v5, 7, v2
	v_lshrrev_b32_e32 v6, 3, v1
	v_cmp_gt_u32_e32 vcc, 8, v1
	v_ffbh_u32_e32 v1, v5
	v_min_u32_e32 v18, 32, v1
	v_subrev_u32_e32 v1, 28, v18
	v_lshlrev_b64 v[1:2], v1, v[2:3]
	v_sub_u32_e32 v2, 29, v18
	v_and_b32_e32 v1, 7, v1
	v_cndmask_b32_e32 v2, v6, v2, vcc
	v_cndmask_b32_e32 v1, v5, v1, vcc
	v_lshlrev_b32_e32 v5, 24, v21
	v_lshlrev_b32_e32 v1, 20, v1
	v_and_b32_e32 v5, 0x80000000, v5
	v_lshl_add_u32 v2, v2, 23, v0
	v_or3_b32 v18, v5, v2, v1
	buffer_load_dword v5, off, s[0:3], s33 offset:68 ; 4-byte Folded Reload
.LBB4_3831:                             ;   in Loop: Header=BB4_3827 Depth=3
	s_or_b64 exec, exec, s[36:37]
.LBB4_3832:                             ;   in Loop: Header=BB4_3827 Depth=3
	s_or_b64 exec, exec, s[34:35]
.LBB4_3833:                             ;   in Loop: Header=BB4_3827 Depth=3
	s_or_b64 exec, exec, s[28:29]
	v_and_b32_e32 v2, 0xff, v16
	v_cmp_ne_u16_e32 vcc, 0, v2
	s_and_saveexec_b64 s[28:29], vcc
	s_cbranch_execz .LBB4_3839
; %bb.3834:                             ;   in Loop: Header=BB4_3827 Depth=3
	v_cmp_ne_u16_e32 vcc, s70, v2
	v_bfrev_b32_e32 v17, 1
	s_and_saveexec_b64 s[34:35], vcc
	s_cbranch_execz .LBB4_3838
; %bb.3835:                             ;   in Loop: Header=BB4_3827 Depth=3
	v_and_b32_e32 v1, 0x7f, v16
	v_cmp_ne_u32_e32 vcc, s71, v1
	v_mov_b32_e32 v17, 0x7f800001
	s_and_saveexec_b64 s[36:37], vcc
	s_cbranch_execz .LBB4_3837
; %bb.3836:                             ;   in Loop: Header=BB4_3827 Depth=3
	s_waitcnt vmcnt(0)
	v_and_b32_e32 v5, 7, v2
	v_lshrrev_b32_e32 v6, 3, v1
	v_cmp_gt_u32_e32 vcc, 8, v1
	v_ffbh_u32_e32 v1, v5
	v_min_u32_e32 v17, 32, v1
	v_subrev_u32_e32 v1, 28, v17
	v_lshlrev_b64 v[1:2], v1, v[2:3]
	v_sub_u32_e32 v2, 29, v17
	v_and_b32_e32 v1, 7, v1
	v_cndmask_b32_e32 v2, v6, v2, vcc
	v_cndmask_b32_e32 v1, v5, v1, vcc
	v_lshlrev_b32_e32 v5, 24, v16
	v_lshlrev_b32_e32 v1, 20, v1
	v_and_b32_e32 v5, 0x80000000, v5
	v_lshl_add_u32 v2, v2, 23, v0
	v_or3_b32 v17, v5, v2, v1
	buffer_load_dword v5, off, s[0:3], s33 offset:68 ; 4-byte Folded Reload
.LBB4_3837:                             ;   in Loop: Header=BB4_3827 Depth=3
	s_or_b64 exec, exec, s[36:37]
.LBB4_3838:                             ;   in Loop: Header=BB4_3827 Depth=3
	s_or_b64 exec, exec, s[34:35]
.LBB4_3839:                             ;   in Loop: Header=BB4_3827 Depth=3
	s_or_b64 exec, exec, s[28:29]
	v_mul_f32_e32 v16, v18, v17
	v_and_b32_e32 v2, 0x7f800000, v16
	v_cmp_ne_u64_e32 vcc, s[62:63], v[2:3]
                                        ; implicit-def: $vgpr21
	s_and_saveexec_b64 s[28:29], vcc
	s_xor_b64 s[34:35], exec, s[28:29]
	s_cbranch_execz .LBB4_3857
; %bb.3840:                             ;   in Loop: Header=BB4_3827 Depth=3
	v_and_b32_e32 v2, 0x7fffffff, v16
	v_cmp_gt_u64_e32 vcc, s[72:73], v[2:3]
	v_and_b32_sdwa v23, v16, s70 dst_sel:DWORD dst_unused:UNUSED_PAD src0_sel:BYTE_3 src1_sel:DWORD
                                        ; implicit-def: $vgpr21
	s_and_saveexec_b64 s[28:29], vcc
	s_xor_b64 s[36:37], exec, s[28:29]
	s_cbranch_execz .LBB4_3854
; %bb.3841:                             ;   in Loop: Header=BB4_3827 Depth=3
	v_cmp_ne_u32_e32 vcc, 0, v16
	v_mov_b32_e32 v21, 0
	s_and_saveexec_b64 s[38:39], vcc
	s_cbranch_execz .LBB4_3853
; %bb.3842:                             ;   in Loop: Header=BB4_3827 Depth=3
	v_bfe_u32 v21, v16, 23, 8
	v_cmp_gt_u32_e64 s[28:29], s80, v21
	v_sub_u32_e32 v2, 0x79, v21
	v_and_b32_e32 v1, 0x7fffff, v16
	v_cmp_eq_u32_e32 vcc, 0, v21
	v_cndmask_b32_e64 v2, 0, v2, s[28:29]
	v_mov_b32_e32 v6, 0x78
	s_waitcnt vmcnt(0)
	v_or_b32_e32 v5, 0x800000, v1
	v_cndmask_b32_e32 v44, v2, v6, vcc
	v_cndmask_b32_e32 v2, v5, v1, vcc
	v_add_u32_e32 v1, 20, v44
	v_lshlrev_b64 v[16:17], v1, -1
	v_add_u32_e32 v1, 19, v44
	v_lshlrev_b64 v[5:6], v1, 1
	v_bfi_b32 v17, v17, 0, 0
	v_bfi_b32 v16, v16, 0, v2
	v_cmp_eq_u64_e64 s[28:29], v[16:17], v[5:6]
	v_lshrrev_b64 v[16:17], v44, v[2:3]
	v_mov_b32_e32 v18, v17
	v_mov_b32_e32 v17, v16
	s_and_saveexec_b64 s[48:49], s[28:29]
; %bb.3843:                             ;   in Loop: Header=BB4_3827 Depth=3
	v_bfe_u32 v1, v16, 20, 1
	v_add_co_u32_e64 v1, s[28:29], v16, v1
	v_add_co_u32_e64 v17, s[28:29], -1, v1
; %bb.3844:                             ;   in Loop: Header=BB4_3827 Depth=3
	s_or_b64 exec, exec, s[48:49]
	v_add_u32_e32 v1, 0xffffff81, v21
	v_mov_b32_e32 v2, 0xffffff82
	v_cndmask_b32_e32 v1, v1, v2, vcc
	v_lshrrev_b32_e32 v2, 23, v16
	v_add3_u32 v21, v44, v1, v2
	v_add_u32_e32 v1, 6, v21
	v_and_b32_e32 v2, 0xfffff, v17
	v_add_u32_e32 v2, v2, v16
	v_cmp_ne_u32_e32 vcc, 0, v1
                                        ; implicit-def: $vgpr16_vgpr17
                                        ; implicit-def: $vgpr18
	s_and_saveexec_b64 s[28:29], vcc
	s_xor_b64 s[28:29], exec, s[28:29]
; %bb.3845:                             ;   in Loop: Header=BB4_3827 Depth=3
	v_cmp_lt_u64_e32 vcc, s[88:89], v[2:3]
	v_add_u32_e32 v5, 7, v21
	v_cndmask_b32_e32 v18, v1, v5, vcc
	v_cndmask_b32_e64 v1, 0, 1, vcc
	v_lshrrev_b64 v[16:17], v1, v[2:3]
; %bb.3846:                             ;   in Loop: Header=BB4_3827 Depth=3
	s_or_saveexec_b64 s[28:29], s[28:29]
	buffer_load_dword v5, off, s[0:3], s33 offset:68 ; 4-byte Folded Reload
	s_xor_b64 exec, exec, s[28:29]
; %bb.3847:                             ;   in Loop: Header=BB4_3827 Depth=3
	v_mov_b32_e32 v17, v3
	v_bfe_u32 v18, v2, 23, 1
	v_mov_b32_e32 v16, v2
; %bb.3848:                             ;   in Loop: Header=BB4_3827 Depth=3
	s_or_b64 exec, exec, s[28:29]
	v_lshrrev_b64 v[1:2], 20, v[16:17]
	v_cmp_gt_i32_e32 vcc, 16, v18
	v_cndmask_b32_e32 v17, 0, v2, vcc
	v_cndmask_b32_e32 v16, 7, v1, vcc
	v_cmp_ne_u64_e32 vcc, 0, v[16:17]
	v_cmp_ne_u32_e64 s[28:29], 0, v18
	s_or_b64 s[28:29], s[28:29], vcc
                                        ; implicit-def: $vgpr21
	s_and_saveexec_b64 s[44:45], s[28:29]
	s_xor_b64 s[28:29], exec, s[44:45]
; %bb.3849:                             ;   in Loop: Header=BB4_3827 Depth=3
	v_min_i32_e32 v1, 15, v18
	v_lshl_or_b32 v1, v1, 3, v23
	v_and_or_b32 v21, v16, 7, v1
                                        ; implicit-def: $vgpr23
; %bb.3850:                             ;   in Loop: Header=BB4_3827 Depth=3
	s_andn2_saveexec_b64 s[28:29], s[28:29]
; %bb.3851:                             ;   in Loop: Header=BB4_3827 Depth=3
	v_mov_b32_e32 v21, v23
; %bb.3852:                             ;   in Loop: Header=BB4_3827 Depth=3
	s_or_b64 exec, exec, s[28:29]
.LBB4_3853:                             ;   in Loop: Header=BB4_3827 Depth=3
	s_or_b64 exec, exec, s[38:39]
                                        ; implicit-def: $vgpr23
.LBB4_3854:                             ;   in Loop: Header=BB4_3827 Depth=3
	s_andn2_saveexec_b64 s[28:29], s[36:37]
; %bb.3855:                             ;   in Loop: Header=BB4_3827 Depth=3
	v_or_b32_e32 v21, 0x7e, v23
; %bb.3856:                             ;   in Loop: Header=BB4_3827 Depth=3
	s_or_b64 exec, exec, s[28:29]
                                        ; implicit-def: $vgpr16
.LBB4_3857:                             ;   in Loop: Header=BB4_3827 Depth=3
	s_andn2_saveexec_b64 s[28:29], s[34:35]
; %bb.3858:                             ;   in Loop: Header=BB4_3827 Depth=3
	v_or_b32_sdwa v21, v16, s71 dst_sel:DWORD dst_unused:UNUSED_PAD src0_sel:BYTE_3 src1_sel:DWORD
; %bb.3859:                             ;   in Loop: Header=BB4_3827 Depth=3
	s_or_b64 exec, exec, s[28:29]
	v_and_b32_e32 v2, 0xff, v47
	v_cmp_ne_u16_e32 vcc, 0, v2
	v_mov_b32_e32 v16, 0
	v_mov_b32_e32 v17, 0
	s_and_saveexec_b64 s[28:29], vcc
	s_cbranch_execz .LBB4_3865
; %bb.3860:                             ;   in Loop: Header=BB4_3827 Depth=3
	v_cmp_ne_u16_e32 vcc, s70, v2
	v_bfrev_b32_e32 v17, 1
	s_and_saveexec_b64 s[34:35], vcc
	s_cbranch_execz .LBB4_3864
; %bb.3861:                             ;   in Loop: Header=BB4_3827 Depth=3
	v_and_b32_e32 v1, 0x7f, v47
	v_cmp_ne_u32_e32 vcc, s71, v1
	v_mov_b32_e32 v17, 0x7f800001
	s_and_saveexec_b64 s[36:37], vcc
	s_cbranch_execz .LBB4_3863
; %bb.3862:                             ;   in Loop: Header=BB4_3827 Depth=3
	s_waitcnt vmcnt(0)
	v_and_b32_e32 v5, 7, v2
	v_lshrrev_b32_e32 v6, 3, v1
	v_cmp_gt_u32_e32 vcc, 8, v1
	v_ffbh_u32_e32 v1, v5
	v_min_u32_e32 v17, 32, v1
	v_subrev_u32_e32 v1, 28, v17
	v_lshlrev_b64 v[1:2], v1, v[2:3]
	v_sub_u32_e32 v2, 29, v17
	v_and_b32_e32 v1, 7, v1
	v_cndmask_b32_e32 v2, v6, v2, vcc
	v_cndmask_b32_e32 v1, v5, v1, vcc
	v_lshlrev_b32_e32 v5, 24, v47
	v_lshlrev_b32_e32 v1, 20, v1
	v_and_b32_e32 v5, 0x80000000, v5
	v_lshl_add_u32 v2, v2, 23, v0
	v_or3_b32 v17, v5, v2, v1
	buffer_load_dword v5, off, s[0:3], s33 offset:68 ; 4-byte Folded Reload
.LBB4_3863:                             ;   in Loop: Header=BB4_3827 Depth=3
	s_or_b64 exec, exec, s[36:37]
.LBB4_3864:                             ;   in Loop: Header=BB4_3827 Depth=3
	s_or_b64 exec, exec, s[34:35]
.LBB4_3865:                             ;   in Loop: Header=BB4_3827 Depth=3
	s_or_b64 exec, exec, s[28:29]
	v_and_b32_e32 v2, 0xff, v26
	v_cmp_ne_u16_e32 vcc, 0, v2
	s_and_saveexec_b64 s[28:29], vcc
	s_cbranch_execz .LBB4_3871
; %bb.3866:                             ;   in Loop: Header=BB4_3827 Depth=3
	v_cmp_ne_u16_e32 vcc, s70, v2
	v_bfrev_b32_e32 v16, 1
	s_and_saveexec_b64 s[34:35], vcc
	s_cbranch_execz .LBB4_3870
; %bb.3867:                             ;   in Loop: Header=BB4_3827 Depth=3
	v_and_b32_e32 v1, 0x7f, v26
	v_cmp_ne_u32_e32 vcc, s71, v1
	v_mov_b32_e32 v16, 0x7f800001
	s_and_saveexec_b64 s[36:37], vcc
	s_cbranch_execz .LBB4_3869
; %bb.3868:                             ;   in Loop: Header=BB4_3827 Depth=3
	s_waitcnt vmcnt(0)
	v_and_b32_e32 v5, 7, v2
	v_lshrrev_b32_e32 v6, 3, v1
	v_cmp_gt_u32_e32 vcc, 8, v1
	v_ffbh_u32_e32 v1, v5
	v_min_u32_e32 v16, 32, v1
	v_subrev_u32_e32 v1, 28, v16
	v_lshlrev_b64 v[1:2], v1, v[2:3]
	v_sub_u32_e32 v2, 29, v16
	v_and_b32_e32 v1, 7, v1
	v_cndmask_b32_e32 v2, v6, v2, vcc
	v_cndmask_b32_e32 v1, v5, v1, vcc
	v_lshlrev_b32_e32 v5, 24, v26
	v_lshlrev_b32_e32 v1, 20, v1
	v_and_b32_e32 v5, 0x80000000, v5
	v_lshl_add_u32 v2, v2, 23, v0
	v_or3_b32 v16, v5, v2, v1
	buffer_load_dword v5, off, s[0:3], s33 offset:68 ; 4-byte Folded Reload
.LBB4_3869:                             ;   in Loop: Header=BB4_3827 Depth=3
	s_or_b64 exec, exec, s[36:37]
.LBB4_3870:                             ;   in Loop: Header=BB4_3827 Depth=3
	s_or_b64 exec, exec, s[34:35]
.LBB4_3871:                             ;   in Loop: Header=BB4_3827 Depth=3
	s_or_b64 exec, exec, s[28:29]
	v_mul_f32_e32 v16, v17, v16
	v_and_b32_e32 v2, 0x7f800000, v16
	v_cmp_ne_u64_e32 vcc, s[62:63], v[2:3]
                                        ; implicit-def: $vgpr26
	s_and_saveexec_b64 s[28:29], vcc
	s_xor_b64 s[34:35], exec, s[28:29]
	s_cbranch_execz .LBB4_3889
; %bb.3872:                             ;   in Loop: Header=BB4_3827 Depth=3
	v_and_b32_e32 v2, 0x7fffffff, v16
	v_cmp_gt_u64_e32 vcc, s[72:73], v[2:3]
	v_and_b32_sdwa v23, v16, s70 dst_sel:DWORD dst_unused:UNUSED_PAD src0_sel:BYTE_3 src1_sel:DWORD
                                        ; implicit-def: $vgpr26
	s_and_saveexec_b64 s[28:29], vcc
	s_xor_b64 s[36:37], exec, s[28:29]
	s_cbranch_execz .LBB4_3886
; %bb.3873:                             ;   in Loop: Header=BB4_3827 Depth=3
	v_cmp_ne_u32_e32 vcc, 0, v16
	v_mov_b32_e32 v26, 0
	s_and_saveexec_b64 s[38:39], vcc
	s_cbranch_execz .LBB4_3885
; %bb.3874:                             ;   in Loop: Header=BB4_3827 Depth=3
	v_bfe_u32 v26, v16, 23, 8
	v_cmp_gt_u32_e64 s[28:29], s80, v26
	v_sub_u32_e32 v2, 0x79, v26
	v_and_b32_e32 v1, 0x7fffff, v16
	v_cmp_eq_u32_e32 vcc, 0, v26
	v_cndmask_b32_e64 v2, 0, v2, s[28:29]
	v_mov_b32_e32 v6, 0x78
	s_waitcnt vmcnt(0)
	v_or_b32_e32 v5, 0x800000, v1
	v_cndmask_b32_e32 v44, v2, v6, vcc
	v_cndmask_b32_e32 v2, v5, v1, vcc
	v_add_u32_e32 v1, 20, v44
	v_lshlrev_b64 v[5:6], v1, -1
	v_add_u32_e32 v1, 19, v44
	v_lshlrev_b64 v[16:17], v1, 1
	v_bfi_b32 v6, v6, 0, 0
	v_bfi_b32 v5, v5, 0, v2
	v_cmp_eq_u64_e64 s[28:29], v[5:6], v[16:17]
	v_lshrrev_b64 v[16:17], v44, v[2:3]
	v_mov_b32_e32 v18, v17
	v_mov_b32_e32 v17, v16
	s_and_saveexec_b64 s[48:49], s[28:29]
; %bb.3875:                             ;   in Loop: Header=BB4_3827 Depth=3
	v_bfe_u32 v1, v16, 20, 1
	v_add_co_u32_e64 v1, s[28:29], v16, v1
	v_add_co_u32_e64 v17, s[28:29], -1, v1
; %bb.3876:                             ;   in Loop: Header=BB4_3827 Depth=3
	s_or_b64 exec, exec, s[48:49]
	v_add_u32_e32 v1, 0xffffff81, v26
	v_mov_b32_e32 v2, 0xffffff82
	v_cndmask_b32_e32 v1, v1, v2, vcc
	v_lshrrev_b32_e32 v2, 23, v16
	v_add3_u32 v26, v44, v1, v2
	v_add_u32_e32 v1, 6, v26
	v_and_b32_e32 v2, 0xfffff, v17
	v_add_u32_e32 v2, v2, v16
	v_cmp_ne_u32_e32 vcc, 0, v1
                                        ; implicit-def: $vgpr16_vgpr17
                                        ; implicit-def: $vgpr18
	s_and_saveexec_b64 s[28:29], vcc
	s_xor_b64 s[28:29], exec, s[28:29]
; %bb.3877:                             ;   in Loop: Header=BB4_3827 Depth=3
	v_cmp_lt_u64_e32 vcc, s[88:89], v[2:3]
	v_add_u32_e32 v5, 7, v26
	v_cndmask_b32_e32 v18, v1, v5, vcc
	v_cndmask_b32_e64 v1, 0, 1, vcc
	v_lshrrev_b64 v[16:17], v1, v[2:3]
; %bb.3878:                             ;   in Loop: Header=BB4_3827 Depth=3
	s_andn2_saveexec_b64 s[28:29], s[28:29]
; %bb.3879:                             ;   in Loop: Header=BB4_3827 Depth=3
	v_mov_b32_e32 v17, v3
	v_bfe_u32 v18, v2, 23, 1
	v_mov_b32_e32 v16, v2
; %bb.3880:                             ;   in Loop: Header=BB4_3827 Depth=3
	s_or_b64 exec, exec, s[28:29]
	v_lshrrev_b64 v[1:2], 20, v[16:17]
	v_cmp_gt_i32_e32 vcc, 16, v18
	v_cndmask_b32_e32 v17, 0, v2, vcc
	v_cndmask_b32_e32 v16, 7, v1, vcc
	v_cmp_ne_u64_e32 vcc, 0, v[16:17]
	v_cmp_ne_u32_e64 s[28:29], 0, v18
	s_or_b64 s[28:29], s[28:29], vcc
                                        ; implicit-def: $vgpr26
	s_mov_b64 s[44:45], exec
	buffer_load_dword v5, off, s[0:3], s33 offset:68 ; 4-byte Folded Reload
	s_and_b64 vcc, s[44:45], s[28:29]
	s_xor_b64 s[28:29], vcc, s[44:45]
	s_mov_b64 exec, vcc
; %bb.3881:                             ;   in Loop: Header=BB4_3827 Depth=3
	v_min_i32_e32 v1, 15, v18
	v_lshl_or_b32 v1, v1, 3, v23
	v_and_or_b32 v26, v16, 7, v1
                                        ; implicit-def: $vgpr23
; %bb.3882:                             ;   in Loop: Header=BB4_3827 Depth=3
	s_andn2_saveexec_b64 s[28:29], s[28:29]
; %bb.3883:                             ;   in Loop: Header=BB4_3827 Depth=3
	v_mov_b32_e32 v26, v23
; %bb.3884:                             ;   in Loop: Header=BB4_3827 Depth=3
	s_or_b64 exec, exec, s[28:29]
.LBB4_3885:                             ;   in Loop: Header=BB4_3827 Depth=3
	s_or_b64 exec, exec, s[38:39]
                                        ; implicit-def: $vgpr23
.LBB4_3886:                             ;   in Loop: Header=BB4_3827 Depth=3
	s_andn2_saveexec_b64 s[28:29], s[36:37]
; %bb.3887:                             ;   in Loop: Header=BB4_3827 Depth=3
	v_or_b32_e32 v26, 0x7e, v23
; %bb.3888:                             ;   in Loop: Header=BB4_3827 Depth=3
	s_or_b64 exec, exec, s[28:29]
                                        ; implicit-def: $vgpr16
.LBB4_3889:                             ;   in Loop: Header=BB4_3827 Depth=3
	s_andn2_saveexec_b64 s[28:29], s[34:35]
; %bb.3890:                             ;   in Loop: Header=BB4_3827 Depth=3
	v_or_b32_sdwa v26, v16, s71 dst_sel:DWORD dst_unused:UNUSED_PAD src0_sel:BYTE_3 src1_sel:DWORD
; %bb.3891:                             ;   in Loop: Header=BB4_3827 Depth=3
	s_or_b64 exec, exec, s[28:29]
	v_and_b32_e32 v2, 0xff, v43
	v_cmp_ne_u16_e32 vcc, 0, v2
	v_mov_b32_e32 v16, 0
	v_mov_b32_e32 v17, 0
	s_and_saveexec_b64 s[28:29], vcc
	s_cbranch_execz .LBB4_3897
; %bb.3892:                             ;   in Loop: Header=BB4_3827 Depth=3
	v_cmp_ne_u16_e32 vcc, s70, v2
	v_bfrev_b32_e32 v17, 1
	s_and_saveexec_b64 s[34:35], vcc
	s_cbranch_execz .LBB4_3896
; %bb.3893:                             ;   in Loop: Header=BB4_3827 Depth=3
	v_and_b32_e32 v1, 0x7f, v43
	v_cmp_ne_u32_e32 vcc, s71, v1
	v_mov_b32_e32 v17, 0x7f800001
	s_and_saveexec_b64 s[36:37], vcc
	s_cbranch_execz .LBB4_3895
; %bb.3894:                             ;   in Loop: Header=BB4_3827 Depth=3
	s_waitcnt vmcnt(0)
	v_and_b32_e32 v5, 7, v2
	v_lshrrev_b32_e32 v6, 3, v1
	v_cmp_gt_u32_e32 vcc, 8, v1
	v_ffbh_u32_e32 v1, v5
	v_min_u32_e32 v17, 32, v1
	v_subrev_u32_e32 v1, 28, v17
	v_lshlrev_b64 v[1:2], v1, v[2:3]
	v_sub_u32_e32 v2, 29, v17
	v_and_b32_e32 v1, 7, v1
	v_cndmask_b32_e32 v2, v6, v2, vcc
	v_cndmask_b32_e32 v1, v5, v1, vcc
	v_lshlrev_b32_e32 v5, 24, v43
	v_lshlrev_b32_e32 v1, 20, v1
	v_and_b32_e32 v5, 0x80000000, v5
	v_lshl_add_u32 v2, v2, 23, v0
	v_or3_b32 v17, v5, v2, v1
	buffer_load_dword v5, off, s[0:3], s33 offset:68 ; 4-byte Folded Reload
.LBB4_3895:                             ;   in Loop: Header=BB4_3827 Depth=3
	s_or_b64 exec, exec, s[36:37]
.LBB4_3896:                             ;   in Loop: Header=BB4_3827 Depth=3
	s_or_b64 exec, exec, s[34:35]
.LBB4_3897:                             ;   in Loop: Header=BB4_3827 Depth=3
	s_or_b64 exec, exec, s[28:29]
	v_and_b32_e32 v2, 0xff, v29
	v_cmp_ne_u16_e32 vcc, 0, v2
	s_and_saveexec_b64 s[28:29], vcc
	s_cbranch_execz .LBB4_3903
; %bb.3898:                             ;   in Loop: Header=BB4_3827 Depth=3
	v_cmp_ne_u16_e32 vcc, s70, v2
	v_bfrev_b32_e32 v16, 1
	s_and_saveexec_b64 s[34:35], vcc
	s_cbranch_execz .LBB4_3902
; %bb.3899:                             ;   in Loop: Header=BB4_3827 Depth=3
	v_and_b32_e32 v1, 0x7f, v29
	v_cmp_ne_u32_e32 vcc, s71, v1
	v_mov_b32_e32 v16, 0x7f800001
	s_and_saveexec_b64 s[36:37], vcc
	s_cbranch_execz .LBB4_3901
; %bb.3900:                             ;   in Loop: Header=BB4_3827 Depth=3
	s_waitcnt vmcnt(0)
	v_and_b32_e32 v5, 7, v2
	v_lshrrev_b32_e32 v6, 3, v1
	v_cmp_gt_u32_e32 vcc, 8, v1
	v_ffbh_u32_e32 v1, v5
	v_min_u32_e32 v16, 32, v1
	v_subrev_u32_e32 v1, 28, v16
	v_lshlrev_b64 v[1:2], v1, v[2:3]
	v_sub_u32_e32 v2, 29, v16
	v_and_b32_e32 v1, 7, v1
	v_cndmask_b32_e32 v2, v6, v2, vcc
	v_cndmask_b32_e32 v1, v5, v1, vcc
	v_lshlrev_b32_e32 v5, 24, v29
	v_lshlrev_b32_e32 v1, 20, v1
	v_and_b32_e32 v5, 0x80000000, v5
	v_lshl_add_u32 v2, v2, 23, v0
	v_or3_b32 v16, v5, v2, v1
	buffer_load_dword v5, off, s[0:3], s33 offset:68 ; 4-byte Folded Reload
.LBB4_3901:                             ;   in Loop: Header=BB4_3827 Depth=3
	s_or_b64 exec, exec, s[36:37]
.LBB4_3902:                             ;   in Loop: Header=BB4_3827 Depth=3
	s_or_b64 exec, exec, s[34:35]
.LBB4_3903:                             ;   in Loop: Header=BB4_3827 Depth=3
	s_or_b64 exec, exec, s[28:29]
	v_mul_f32_e32 v16, v17, v16
	v_and_b32_e32 v2, 0x7f800000, v16
	v_cmp_ne_u64_e32 vcc, s[62:63], v[2:3]
                                        ; implicit-def: $vgpr29
	s_and_saveexec_b64 s[28:29], vcc
	s_xor_b64 s[34:35], exec, s[28:29]
	s_cbranch_execz .LBB4_3921
; %bb.3904:                             ;   in Loop: Header=BB4_3827 Depth=3
	v_and_b32_e32 v2, 0x7fffffff, v16
	v_cmp_gt_u64_e32 vcc, s[72:73], v[2:3]
	v_and_b32_sdwa v23, v16, s70 dst_sel:DWORD dst_unused:UNUSED_PAD src0_sel:BYTE_3 src1_sel:DWORD
                                        ; implicit-def: $vgpr29
	s_and_saveexec_b64 s[28:29], vcc
	s_xor_b64 s[36:37], exec, s[28:29]
	s_cbranch_execz .LBB4_3918
; %bb.3905:                             ;   in Loop: Header=BB4_3827 Depth=3
	v_cmp_ne_u32_e32 vcc, 0, v16
	v_mov_b32_e32 v29, 0
	s_and_saveexec_b64 s[38:39], vcc
	s_cbranch_execz .LBB4_3917
; %bb.3906:                             ;   in Loop: Header=BB4_3827 Depth=3
	v_bfe_u32 v29, v16, 23, 8
	v_cmp_gt_u32_e64 s[28:29], s80, v29
	v_sub_u32_e32 v2, 0x79, v29
	v_and_b32_e32 v1, 0x7fffff, v16
	v_cmp_eq_u32_e32 vcc, 0, v29
	v_cndmask_b32_e64 v2, 0, v2, s[28:29]
	v_mov_b32_e32 v6, 0x78
	s_waitcnt vmcnt(0)
	v_or_b32_e32 v5, 0x800000, v1
	v_cndmask_b32_e32 v43, v2, v6, vcc
	v_cndmask_b32_e32 v2, v5, v1, vcc
	v_add_u32_e32 v1, 20, v43
	v_lshlrev_b64 v[5:6], v1, -1
	v_add_u32_e32 v1, 19, v43
	v_lshlrev_b64 v[16:17], v1, 1
	v_bfi_b32 v6, v6, 0, 0
	v_bfi_b32 v5, v5, 0, v2
	v_cmp_eq_u64_e64 s[28:29], v[5:6], v[16:17]
	v_lshrrev_b64 v[16:17], v43, v[2:3]
	v_mov_b32_e32 v18, v17
	v_mov_b32_e32 v17, v16
	s_and_saveexec_b64 s[48:49], s[28:29]
; %bb.3907:                             ;   in Loop: Header=BB4_3827 Depth=3
	v_bfe_u32 v1, v16, 20, 1
	v_add_co_u32_e64 v1, s[28:29], v16, v1
	v_add_co_u32_e64 v17, s[28:29], -1, v1
; %bb.3908:                             ;   in Loop: Header=BB4_3827 Depth=3
	s_or_b64 exec, exec, s[48:49]
	v_add_u32_e32 v1, 0xffffff81, v29
	v_mov_b32_e32 v2, 0xffffff82
	v_cndmask_b32_e32 v1, v1, v2, vcc
	v_lshrrev_b32_e32 v2, 23, v16
	v_add3_u32 v29, v43, v1, v2
	v_add_u32_e32 v1, 6, v29
	v_and_b32_e32 v2, 0xfffff, v17
	v_add_u32_e32 v2, v2, v16
	v_cmp_ne_u32_e32 vcc, 0, v1
                                        ; implicit-def: $vgpr16_vgpr17
                                        ; implicit-def: $vgpr18
	s_and_saveexec_b64 s[28:29], vcc
	s_xor_b64 s[28:29], exec, s[28:29]
; %bb.3909:                             ;   in Loop: Header=BB4_3827 Depth=3
	v_cmp_lt_u64_e32 vcc, s[88:89], v[2:3]
	v_add_u32_e32 v5, 7, v29
	v_cndmask_b32_e32 v18, v1, v5, vcc
	v_cndmask_b32_e64 v1, 0, 1, vcc
	v_lshrrev_b64 v[16:17], v1, v[2:3]
; %bb.3910:                             ;   in Loop: Header=BB4_3827 Depth=3
	s_andn2_saveexec_b64 s[28:29], s[28:29]
; %bb.3911:                             ;   in Loop: Header=BB4_3827 Depth=3
	v_mov_b32_e32 v17, v3
	v_bfe_u32 v18, v2, 23, 1
	v_mov_b32_e32 v16, v2
; %bb.3912:                             ;   in Loop: Header=BB4_3827 Depth=3
	s_or_b64 exec, exec, s[28:29]
	v_lshrrev_b64 v[1:2], 20, v[16:17]
	v_cmp_gt_i32_e32 vcc, 16, v18
	v_cndmask_b32_e32 v17, 0, v2, vcc
	v_cndmask_b32_e32 v16, 7, v1, vcc
	v_cmp_ne_u64_e32 vcc, 0, v[16:17]
	v_cmp_ne_u32_e64 s[28:29], 0, v18
	s_or_b64 s[28:29], s[28:29], vcc
                                        ; implicit-def: $vgpr29
	s_mov_b64 s[44:45], exec
	buffer_load_dword v5, off, s[0:3], s33 offset:68 ; 4-byte Folded Reload
	s_and_b64 vcc, s[44:45], s[28:29]
	s_xor_b64 s[28:29], vcc, s[44:45]
	s_mov_b64 exec, vcc
; %bb.3913:                             ;   in Loop: Header=BB4_3827 Depth=3
	v_min_i32_e32 v1, 15, v18
	v_lshl_or_b32 v1, v1, 3, v23
	v_and_or_b32 v29, v16, 7, v1
                                        ; implicit-def: $vgpr23
; %bb.3914:                             ;   in Loop: Header=BB4_3827 Depth=3
	s_andn2_saveexec_b64 s[28:29], s[28:29]
; %bb.3915:                             ;   in Loop: Header=BB4_3827 Depth=3
	v_mov_b32_e32 v29, v23
; %bb.3916:                             ;   in Loop: Header=BB4_3827 Depth=3
	s_or_b64 exec, exec, s[28:29]
.LBB4_3917:                             ;   in Loop: Header=BB4_3827 Depth=3
	s_or_b64 exec, exec, s[38:39]
                                        ; implicit-def: $vgpr23
.LBB4_3918:                             ;   in Loop: Header=BB4_3827 Depth=3
	s_andn2_saveexec_b64 s[28:29], s[36:37]
; %bb.3919:                             ;   in Loop: Header=BB4_3827 Depth=3
	v_or_b32_e32 v29, 0x7e, v23
; %bb.3920:                             ;   in Loop: Header=BB4_3827 Depth=3
	s_or_b64 exec, exec, s[28:29]
                                        ; implicit-def: $vgpr16
.LBB4_3921:                             ;   in Loop: Header=BB4_3827 Depth=3
	s_andn2_saveexec_b64 s[28:29], s[34:35]
; %bb.3922:                             ;   in Loop: Header=BB4_3827 Depth=3
	v_or_b32_sdwa v29, v16, s71 dst_sel:DWORD dst_unused:UNUSED_PAD src0_sel:BYTE_3 src1_sel:DWORD
; %bb.3923:                             ;   in Loop: Header=BB4_3827 Depth=3
	s_or_b64 exec, exec, s[28:29]
	v_and_b32_e32 v2, 0xff, v50
	v_cmp_ne_u16_e32 vcc, 0, v2
	v_mov_b32_e32 v16, 0
	v_mov_b32_e32 v17, 0
	s_and_saveexec_b64 s[28:29], vcc
	s_cbranch_execz .LBB4_3929
; %bb.3924:                             ;   in Loop: Header=BB4_3827 Depth=3
	v_cmp_ne_u16_e32 vcc, s70, v2
	v_bfrev_b32_e32 v17, 1
	s_and_saveexec_b64 s[34:35], vcc
	s_cbranch_execz .LBB4_3928
; %bb.3925:                             ;   in Loop: Header=BB4_3827 Depth=3
	v_and_b32_e32 v1, 0x7f, v50
	v_cmp_ne_u32_e32 vcc, s71, v1
	v_mov_b32_e32 v17, 0x7f800001
	s_and_saveexec_b64 s[36:37], vcc
	s_cbranch_execz .LBB4_3927
; %bb.3926:                             ;   in Loop: Header=BB4_3827 Depth=3
	s_waitcnt vmcnt(0)
	v_and_b32_e32 v5, 7, v2
	v_lshrrev_b32_e32 v6, 3, v1
	v_cmp_gt_u32_e32 vcc, 8, v1
	v_ffbh_u32_e32 v1, v5
	v_min_u32_e32 v17, 32, v1
	v_subrev_u32_e32 v1, 28, v17
	v_lshlrev_b64 v[1:2], v1, v[2:3]
	v_sub_u32_e32 v2, 29, v17
	v_and_b32_e32 v1, 7, v1
	v_cndmask_b32_e32 v2, v6, v2, vcc
	v_cndmask_b32_e32 v1, v5, v1, vcc
	v_lshlrev_b32_e32 v5, 24, v50
	v_lshlrev_b32_e32 v1, 20, v1
	v_and_b32_e32 v5, 0x80000000, v5
	v_lshl_add_u32 v2, v2, 23, v0
	v_or3_b32 v17, v5, v2, v1
	buffer_load_dword v5, off, s[0:3], s33 offset:68 ; 4-byte Folded Reload
.LBB4_3927:                             ;   in Loop: Header=BB4_3827 Depth=3
	s_or_b64 exec, exec, s[36:37]
.LBB4_3928:                             ;   in Loop: Header=BB4_3827 Depth=3
	s_or_b64 exec, exec, s[34:35]
.LBB4_3929:                             ;   in Loop: Header=BB4_3827 Depth=3
	s_or_b64 exec, exec, s[28:29]
	v_and_b32_e32 v2, 0xff, v34
	v_cmp_ne_u16_e32 vcc, 0, v2
	s_and_saveexec_b64 s[28:29], vcc
	s_cbranch_execz .LBB4_3935
; %bb.3930:                             ;   in Loop: Header=BB4_3827 Depth=3
	v_cmp_ne_u16_e32 vcc, s70, v2
	v_bfrev_b32_e32 v16, 1
	s_and_saveexec_b64 s[34:35], vcc
	s_cbranch_execz .LBB4_3934
; %bb.3931:                             ;   in Loop: Header=BB4_3827 Depth=3
	v_and_b32_e32 v1, 0x7f, v34
	v_cmp_ne_u32_e32 vcc, s71, v1
	v_mov_b32_e32 v16, 0x7f800001
	s_and_saveexec_b64 s[36:37], vcc
	s_cbranch_execz .LBB4_3933
; %bb.3932:                             ;   in Loop: Header=BB4_3827 Depth=3
	s_waitcnt vmcnt(0)
	v_and_b32_e32 v5, 7, v2
	v_lshrrev_b32_e32 v6, 3, v1
	v_cmp_gt_u32_e32 vcc, 8, v1
	v_ffbh_u32_e32 v1, v5
	v_min_u32_e32 v16, 32, v1
	v_subrev_u32_e32 v1, 28, v16
	v_lshlrev_b64 v[1:2], v1, v[2:3]
	v_sub_u32_e32 v2, 29, v16
	v_and_b32_e32 v1, 7, v1
	v_cndmask_b32_e32 v2, v6, v2, vcc
	v_cndmask_b32_e32 v1, v5, v1, vcc
	v_lshlrev_b32_e32 v5, 24, v34
	v_lshlrev_b32_e32 v1, 20, v1
	v_and_b32_e32 v5, 0x80000000, v5
	v_lshl_add_u32 v2, v2, 23, v0
	v_or3_b32 v16, v5, v2, v1
	buffer_load_dword v5, off, s[0:3], s33 offset:68 ; 4-byte Folded Reload
.LBB4_3933:                             ;   in Loop: Header=BB4_3827 Depth=3
	s_or_b64 exec, exec, s[36:37]
.LBB4_3934:                             ;   in Loop: Header=BB4_3827 Depth=3
	s_or_b64 exec, exec, s[34:35]
.LBB4_3935:                             ;   in Loop: Header=BB4_3827 Depth=3
	s_or_b64 exec, exec, s[28:29]
	v_mul_f32_e32 v16, v17, v16
	v_and_b32_e32 v2, 0x7f800000, v16
	v_cmp_ne_u64_e32 vcc, s[62:63], v[2:3]
                                        ; implicit-def: $vgpr34
	s_and_saveexec_b64 s[28:29], vcc
	s_xor_b64 s[34:35], exec, s[28:29]
	s_cbranch_execz .LBB4_3953
; %bb.3936:                             ;   in Loop: Header=BB4_3827 Depth=3
	v_and_b32_e32 v2, 0x7fffffff, v16
	v_cmp_gt_u64_e32 vcc, s[72:73], v[2:3]
	v_and_b32_sdwa v23, v16, s70 dst_sel:DWORD dst_unused:UNUSED_PAD src0_sel:BYTE_3 src1_sel:DWORD
                                        ; implicit-def: $vgpr34
	s_and_saveexec_b64 s[28:29], vcc
	s_xor_b64 s[36:37], exec, s[28:29]
	s_cbranch_execz .LBB4_3950
; %bb.3937:                             ;   in Loop: Header=BB4_3827 Depth=3
	v_cmp_ne_u32_e32 vcc, 0, v16
	v_mov_b32_e32 v34, 0
	s_and_saveexec_b64 s[38:39], vcc
	s_cbranch_execz .LBB4_3949
; %bb.3938:                             ;   in Loop: Header=BB4_3827 Depth=3
	v_bfe_u32 v34, v16, 23, 8
	v_cmp_gt_u32_e64 s[28:29], s80, v34
	v_sub_u32_e32 v2, 0x79, v34
	v_and_b32_e32 v1, 0x7fffff, v16
	v_cmp_eq_u32_e32 vcc, 0, v34
	v_cndmask_b32_e64 v2, 0, v2, s[28:29]
	v_mov_b32_e32 v6, 0x78
	s_waitcnt vmcnt(0)
	v_or_b32_e32 v5, 0x800000, v1
	v_cndmask_b32_e32 v50, v2, v6, vcc
	v_cndmask_b32_e32 v2, v5, v1, vcc
	v_add_u32_e32 v1, 20, v50
	v_lshlrev_b64 v[5:6], v1, -1
	v_add_u32_e32 v1, 19, v50
	v_lshlrev_b64 v[16:17], v1, 1
	v_bfi_b32 v6, v6, 0, 0
	v_bfi_b32 v5, v5, 0, v2
	v_cmp_eq_u64_e64 s[28:29], v[5:6], v[16:17]
	v_lshrrev_b64 v[16:17], v50, v[2:3]
	v_mov_b32_e32 v18, v17
	v_mov_b32_e32 v17, v16
	s_and_saveexec_b64 s[48:49], s[28:29]
; %bb.3939:                             ;   in Loop: Header=BB4_3827 Depth=3
	v_bfe_u32 v1, v16, 20, 1
	v_add_co_u32_e64 v1, s[28:29], v16, v1
	v_add_co_u32_e64 v17, s[28:29], -1, v1
; %bb.3940:                             ;   in Loop: Header=BB4_3827 Depth=3
	s_or_b64 exec, exec, s[48:49]
	v_add_u32_e32 v1, 0xffffff81, v34
	v_mov_b32_e32 v2, 0xffffff82
	v_cndmask_b32_e32 v1, v1, v2, vcc
	v_lshrrev_b32_e32 v2, 23, v16
	v_add3_u32 v34, v50, v1, v2
	v_add_u32_e32 v1, 6, v34
	v_and_b32_e32 v2, 0xfffff, v17
	v_add_u32_e32 v2, v2, v16
	v_cmp_ne_u32_e32 vcc, 0, v1
                                        ; implicit-def: $vgpr16_vgpr17
                                        ; implicit-def: $vgpr18
	s_and_saveexec_b64 s[28:29], vcc
	s_xor_b64 s[28:29], exec, s[28:29]
; %bb.3941:                             ;   in Loop: Header=BB4_3827 Depth=3
	v_cmp_lt_u64_e32 vcc, s[88:89], v[2:3]
	v_add_u32_e32 v5, 7, v34
	v_cndmask_b32_e32 v18, v1, v5, vcc
	v_cndmask_b32_e64 v1, 0, 1, vcc
	v_lshrrev_b64 v[16:17], v1, v[2:3]
; %bb.3942:                             ;   in Loop: Header=BB4_3827 Depth=3
	s_andn2_saveexec_b64 s[28:29], s[28:29]
; %bb.3943:                             ;   in Loop: Header=BB4_3827 Depth=3
	v_mov_b32_e32 v17, v3
	v_bfe_u32 v18, v2, 23, 1
	v_mov_b32_e32 v16, v2
; %bb.3944:                             ;   in Loop: Header=BB4_3827 Depth=3
	s_or_b64 exec, exec, s[28:29]
	v_lshrrev_b64 v[1:2], 20, v[16:17]
	v_cmp_gt_i32_e32 vcc, 16, v18
	v_cndmask_b32_e32 v17, 0, v2, vcc
	v_cndmask_b32_e32 v16, 7, v1, vcc
	v_cmp_ne_u64_e32 vcc, 0, v[16:17]
	v_cmp_ne_u32_e64 s[28:29], 0, v18
	s_or_b64 s[28:29], s[28:29], vcc
                                        ; implicit-def: $vgpr34
	s_mov_b64 s[44:45], exec
	buffer_load_dword v5, off, s[0:3], s33 offset:68 ; 4-byte Folded Reload
	s_and_b64 vcc, s[44:45], s[28:29]
	s_xor_b64 s[28:29], vcc, s[44:45]
	s_mov_b64 exec, vcc
; %bb.3945:                             ;   in Loop: Header=BB4_3827 Depth=3
	v_min_i32_e32 v1, 15, v18
	v_lshl_or_b32 v1, v1, 3, v23
	v_and_or_b32 v34, v16, 7, v1
                                        ; implicit-def: $vgpr23
; %bb.3946:                             ;   in Loop: Header=BB4_3827 Depth=3
	s_andn2_saveexec_b64 s[28:29], s[28:29]
; %bb.3947:                             ;   in Loop: Header=BB4_3827 Depth=3
	v_mov_b32_e32 v34, v23
; %bb.3948:                             ;   in Loop: Header=BB4_3827 Depth=3
	s_or_b64 exec, exec, s[28:29]
.LBB4_3949:                             ;   in Loop: Header=BB4_3827 Depth=3
	s_or_b64 exec, exec, s[38:39]
                                        ; implicit-def: $vgpr23
.LBB4_3950:                             ;   in Loop: Header=BB4_3827 Depth=3
	s_andn2_saveexec_b64 s[28:29], s[36:37]
; %bb.3951:                             ;   in Loop: Header=BB4_3827 Depth=3
	v_or_b32_e32 v34, 0x7e, v23
; %bb.3952:                             ;   in Loop: Header=BB4_3827 Depth=3
	s_or_b64 exec, exec, s[28:29]
                                        ; implicit-def: $vgpr16
.LBB4_3953:                             ;   in Loop: Header=BB4_3827 Depth=3
	s_andn2_saveexec_b64 s[28:29], s[34:35]
; %bb.3954:                             ;   in Loop: Header=BB4_3827 Depth=3
	v_or_b32_sdwa v34, v16, s71 dst_sel:DWORD dst_unused:UNUSED_PAD src0_sel:BYTE_3 src1_sel:DWORD
; %bb.3955:                             ;   in Loop: Header=BB4_3827 Depth=3
	s_or_b64 exec, exec, s[28:29]
	v_and_b32_e32 v2, 0xff, v51
	v_cmp_ne_u16_e32 vcc, 0, v2
	v_mov_b32_e32 v16, 0
	v_mov_b32_e32 v17, 0
	s_and_saveexec_b64 s[28:29], vcc
	s_cbranch_execz .LBB4_3961
; %bb.3956:                             ;   in Loop: Header=BB4_3827 Depth=3
	v_cmp_ne_u16_e32 vcc, s70, v2
	v_bfrev_b32_e32 v17, 1
	s_and_saveexec_b64 s[34:35], vcc
	s_cbranch_execz .LBB4_3960
; %bb.3957:                             ;   in Loop: Header=BB4_3827 Depth=3
	v_and_b32_e32 v1, 0x7f, v51
	v_cmp_ne_u32_e32 vcc, s71, v1
	v_mov_b32_e32 v17, 0x7f800001
	s_and_saveexec_b64 s[36:37], vcc
	s_cbranch_execz .LBB4_3959
; %bb.3958:                             ;   in Loop: Header=BB4_3827 Depth=3
	s_waitcnt vmcnt(0)
	v_and_b32_e32 v5, 7, v2
	v_lshrrev_b32_e32 v6, 3, v1
	v_cmp_gt_u32_e32 vcc, 8, v1
	v_ffbh_u32_e32 v1, v5
	v_min_u32_e32 v17, 32, v1
	v_subrev_u32_e32 v1, 28, v17
	v_lshlrev_b64 v[1:2], v1, v[2:3]
	v_sub_u32_e32 v2, 29, v17
	v_and_b32_e32 v1, 7, v1
	v_cndmask_b32_e32 v2, v6, v2, vcc
	v_cndmask_b32_e32 v1, v5, v1, vcc
	v_lshlrev_b32_e32 v5, 24, v51
	v_lshlrev_b32_e32 v1, 20, v1
	v_and_b32_e32 v5, 0x80000000, v5
	v_lshl_add_u32 v2, v2, 23, v0
	v_or3_b32 v17, v5, v2, v1
	buffer_load_dword v5, off, s[0:3], s33 offset:68 ; 4-byte Folded Reload
.LBB4_3959:                             ;   in Loop: Header=BB4_3827 Depth=3
	s_or_b64 exec, exec, s[36:37]
.LBB4_3960:                             ;   in Loop: Header=BB4_3827 Depth=3
	s_or_b64 exec, exec, s[34:35]
.LBB4_3961:                             ;   in Loop: Header=BB4_3827 Depth=3
	s_or_b64 exec, exec, s[28:29]
	v_and_b32_e32 v2, 0xff, v37
	v_cmp_ne_u16_e32 vcc, 0, v2
	s_and_saveexec_b64 s[28:29], vcc
	s_cbranch_execz .LBB4_3967
; %bb.3962:                             ;   in Loop: Header=BB4_3827 Depth=3
	v_cmp_ne_u16_e32 vcc, s70, v2
	v_bfrev_b32_e32 v16, 1
	s_and_saveexec_b64 s[34:35], vcc
	s_cbranch_execz .LBB4_3966
; %bb.3963:                             ;   in Loop: Header=BB4_3827 Depth=3
	v_and_b32_e32 v1, 0x7f, v37
	v_cmp_ne_u32_e32 vcc, s71, v1
	v_mov_b32_e32 v16, 0x7f800001
	s_and_saveexec_b64 s[36:37], vcc
	s_cbranch_execz .LBB4_3965
; %bb.3964:                             ;   in Loop: Header=BB4_3827 Depth=3
	s_waitcnt vmcnt(0)
	v_and_b32_e32 v5, 7, v2
	v_lshrrev_b32_e32 v6, 3, v1
	v_cmp_gt_u32_e32 vcc, 8, v1
	v_ffbh_u32_e32 v1, v5
	v_min_u32_e32 v16, 32, v1
	v_subrev_u32_e32 v1, 28, v16
	v_lshlrev_b64 v[1:2], v1, v[2:3]
	v_sub_u32_e32 v2, 29, v16
	v_and_b32_e32 v1, 7, v1
	v_cndmask_b32_e32 v2, v6, v2, vcc
	v_cndmask_b32_e32 v1, v5, v1, vcc
	v_lshlrev_b32_e32 v5, 24, v37
	v_lshlrev_b32_e32 v1, 20, v1
	v_and_b32_e32 v5, 0x80000000, v5
	v_lshl_add_u32 v2, v2, 23, v0
	v_or3_b32 v16, v5, v2, v1
	buffer_load_dword v5, off, s[0:3], s33 offset:68 ; 4-byte Folded Reload
.LBB4_3965:                             ;   in Loop: Header=BB4_3827 Depth=3
	s_or_b64 exec, exec, s[36:37]
.LBB4_3966:                             ;   in Loop: Header=BB4_3827 Depth=3
	s_or_b64 exec, exec, s[34:35]
.LBB4_3967:                             ;   in Loop: Header=BB4_3827 Depth=3
	s_or_b64 exec, exec, s[28:29]
	v_mul_f32_e32 v16, v17, v16
	v_and_b32_e32 v2, 0x7f800000, v16
	v_cmp_ne_u64_e32 vcc, s[62:63], v[2:3]
                                        ; implicit-def: $vgpr37
	s_and_saveexec_b64 s[28:29], vcc
	s_xor_b64 s[34:35], exec, s[28:29]
	s_cbranch_execz .LBB4_3985
; %bb.3968:                             ;   in Loop: Header=BB4_3827 Depth=3
	v_and_b32_e32 v2, 0x7fffffff, v16
	v_cmp_gt_u64_e32 vcc, s[72:73], v[2:3]
	v_and_b32_sdwa v23, v16, s70 dst_sel:DWORD dst_unused:UNUSED_PAD src0_sel:BYTE_3 src1_sel:DWORD
                                        ; implicit-def: $vgpr37
	s_and_saveexec_b64 s[28:29], vcc
	s_xor_b64 s[36:37], exec, s[28:29]
	s_cbranch_execz .LBB4_3982
; %bb.3969:                             ;   in Loop: Header=BB4_3827 Depth=3
	v_cmp_ne_u32_e32 vcc, 0, v16
	v_mov_b32_e32 v37, 0
	s_and_saveexec_b64 s[38:39], vcc
	s_cbranch_execz .LBB4_3981
; %bb.3970:                             ;   in Loop: Header=BB4_3827 Depth=3
	v_bfe_u32 v37, v16, 23, 8
	v_cmp_gt_u32_e64 s[28:29], s80, v37
	v_sub_u32_e32 v2, 0x79, v37
	v_and_b32_e32 v1, 0x7fffff, v16
	v_cmp_eq_u32_e32 vcc, 0, v37
	v_cndmask_b32_e64 v2, 0, v2, s[28:29]
	v_mov_b32_e32 v6, 0x78
	s_waitcnt vmcnt(0)
	v_or_b32_e32 v5, 0x800000, v1
	v_cndmask_b32_e32 v50, v2, v6, vcc
	v_cndmask_b32_e32 v2, v5, v1, vcc
	v_add_u32_e32 v1, 20, v50
	v_lshlrev_b64 v[5:6], v1, -1
	v_add_u32_e32 v1, 19, v50
	v_lshlrev_b64 v[16:17], v1, 1
	v_bfi_b32 v6, v6, 0, 0
	v_bfi_b32 v5, v5, 0, v2
	v_cmp_eq_u64_e64 s[28:29], v[5:6], v[16:17]
	v_lshrrev_b64 v[16:17], v50, v[2:3]
	v_mov_b32_e32 v18, v17
	v_mov_b32_e32 v17, v16
	s_and_saveexec_b64 s[48:49], s[28:29]
; %bb.3971:                             ;   in Loop: Header=BB4_3827 Depth=3
	v_bfe_u32 v1, v16, 20, 1
	v_add_co_u32_e64 v1, s[28:29], v16, v1
	v_add_co_u32_e64 v17, s[28:29], -1, v1
; %bb.3972:                             ;   in Loop: Header=BB4_3827 Depth=3
	s_or_b64 exec, exec, s[48:49]
	v_add_u32_e32 v1, 0xffffff81, v37
	v_mov_b32_e32 v2, 0xffffff82
	v_cndmask_b32_e32 v1, v1, v2, vcc
	v_lshrrev_b32_e32 v2, 23, v16
	v_add3_u32 v37, v50, v1, v2
	v_add_u32_e32 v1, 6, v37
	v_and_b32_e32 v2, 0xfffff, v17
	v_add_u32_e32 v2, v2, v16
	v_cmp_ne_u32_e32 vcc, 0, v1
                                        ; implicit-def: $vgpr16_vgpr17
                                        ; implicit-def: $vgpr18
	s_and_saveexec_b64 s[28:29], vcc
	s_xor_b64 s[28:29], exec, s[28:29]
; %bb.3973:                             ;   in Loop: Header=BB4_3827 Depth=3
	v_cmp_lt_u64_e32 vcc, s[88:89], v[2:3]
	v_add_u32_e32 v5, 7, v37
	v_cndmask_b32_e32 v18, v1, v5, vcc
	v_cndmask_b32_e64 v1, 0, 1, vcc
	v_lshrrev_b64 v[16:17], v1, v[2:3]
; %bb.3974:                             ;   in Loop: Header=BB4_3827 Depth=3
	s_andn2_saveexec_b64 s[28:29], s[28:29]
; %bb.3975:                             ;   in Loop: Header=BB4_3827 Depth=3
	v_mov_b32_e32 v17, v3
	v_bfe_u32 v18, v2, 23, 1
	v_mov_b32_e32 v16, v2
; %bb.3976:                             ;   in Loop: Header=BB4_3827 Depth=3
	s_or_b64 exec, exec, s[28:29]
	v_lshrrev_b64 v[1:2], 20, v[16:17]
	v_cmp_gt_i32_e32 vcc, 16, v18
	v_cndmask_b32_e32 v17, 0, v2, vcc
	v_cndmask_b32_e32 v16, 7, v1, vcc
	v_cmp_ne_u64_e32 vcc, 0, v[16:17]
	v_cmp_ne_u32_e64 s[28:29], 0, v18
	s_or_b64 s[28:29], s[28:29], vcc
                                        ; implicit-def: $vgpr37
	s_mov_b64 s[44:45], exec
	buffer_load_dword v5, off, s[0:3], s33 offset:68 ; 4-byte Folded Reload
	s_and_b64 vcc, s[44:45], s[28:29]
	s_xor_b64 s[28:29], vcc, s[44:45]
	s_mov_b64 exec, vcc
; %bb.3977:                             ;   in Loop: Header=BB4_3827 Depth=3
	v_min_i32_e32 v1, 15, v18
	v_lshl_or_b32 v1, v1, 3, v23
	v_and_or_b32 v37, v16, 7, v1
                                        ; implicit-def: $vgpr23
; %bb.3978:                             ;   in Loop: Header=BB4_3827 Depth=3
	s_andn2_saveexec_b64 s[28:29], s[28:29]
; %bb.3979:                             ;   in Loop: Header=BB4_3827 Depth=3
	v_mov_b32_e32 v37, v23
; %bb.3980:                             ;   in Loop: Header=BB4_3827 Depth=3
	s_or_b64 exec, exec, s[28:29]
.LBB4_3981:                             ;   in Loop: Header=BB4_3827 Depth=3
	s_or_b64 exec, exec, s[38:39]
                                        ; implicit-def: $vgpr23
.LBB4_3982:                             ;   in Loop: Header=BB4_3827 Depth=3
	s_andn2_saveexec_b64 s[28:29], s[36:37]
; %bb.3983:                             ;   in Loop: Header=BB4_3827 Depth=3
	v_or_b32_e32 v37, 0x7e, v23
; %bb.3984:                             ;   in Loop: Header=BB4_3827 Depth=3
	s_or_b64 exec, exec, s[28:29]
                                        ; implicit-def: $vgpr16
.LBB4_3985:                             ;   in Loop: Header=BB4_3827 Depth=3
	s_andn2_saveexec_b64 s[28:29], s[34:35]
; %bb.3986:                             ;   in Loop: Header=BB4_3827 Depth=3
	v_or_b32_sdwa v37, v16, s71 dst_sel:DWORD dst_unused:UNUSED_PAD src0_sel:BYTE_3 src1_sel:DWORD
; %bb.3987:                             ;   in Loop: Header=BB4_3827 Depth=3
	s_or_b64 exec, exec, s[28:29]
	v_and_b32_e32 v2, 0xff, v20
	v_cmp_ne_u16_e32 vcc, 0, v2
	v_mov_b32_e32 v16, 0
	v_mov_b32_e32 v17, 0
	s_and_saveexec_b64 s[28:29], vcc
	s_cbranch_execz .LBB4_3993
; %bb.3988:                             ;   in Loop: Header=BB4_3827 Depth=3
	v_cmp_ne_u16_e32 vcc, s70, v2
	v_bfrev_b32_e32 v17, 1
	s_and_saveexec_b64 s[34:35], vcc
	s_cbranch_execz .LBB4_3992
; %bb.3989:                             ;   in Loop: Header=BB4_3827 Depth=3
	v_and_b32_e32 v1, 0x7f, v20
	v_cmp_ne_u32_e32 vcc, s71, v1
	v_mov_b32_e32 v17, 0x7f800001
	s_and_saveexec_b64 s[36:37], vcc
	s_cbranch_execz .LBB4_3991
; %bb.3990:                             ;   in Loop: Header=BB4_3827 Depth=3
	s_waitcnt vmcnt(0)
	v_and_b32_e32 v5, 7, v2
	v_lshrrev_b32_e32 v6, 3, v1
	v_cmp_gt_u32_e32 vcc, 8, v1
	v_ffbh_u32_e32 v1, v5
	v_min_u32_e32 v17, 32, v1
	v_subrev_u32_e32 v1, 28, v17
	v_lshlrev_b64 v[1:2], v1, v[2:3]
	v_sub_u32_e32 v2, 29, v17
	v_and_b32_e32 v1, 7, v1
	v_cndmask_b32_e32 v2, v6, v2, vcc
	v_cndmask_b32_e32 v1, v5, v1, vcc
	v_lshlrev_b32_e32 v5, 24, v20
	v_lshlrev_b32_e32 v1, 20, v1
	v_and_b32_e32 v5, 0x80000000, v5
	v_lshl_add_u32 v2, v2, 23, v0
	v_or3_b32 v17, v5, v2, v1
	buffer_load_dword v5, off, s[0:3], s33 offset:68 ; 4-byte Folded Reload
.LBB4_3991:                             ;   in Loop: Header=BB4_3827 Depth=3
	s_or_b64 exec, exec, s[36:37]
.LBB4_3992:                             ;   in Loop: Header=BB4_3827 Depth=3
	s_or_b64 exec, exec, s[34:35]
.LBB4_3993:                             ;   in Loop: Header=BB4_3827 Depth=3
	s_or_b64 exec, exec, s[28:29]
	v_and_b32_e32 v2, 0xff, v54
	v_cmp_ne_u16_e32 vcc, 0, v2
	s_and_saveexec_b64 s[28:29], vcc
	s_cbranch_execz .LBB4_3999
; %bb.3994:                             ;   in Loop: Header=BB4_3827 Depth=3
	v_cmp_ne_u16_e32 vcc, s70, v2
	v_bfrev_b32_e32 v16, 1
	s_and_saveexec_b64 s[34:35], vcc
	s_cbranch_execz .LBB4_3998
; %bb.3995:                             ;   in Loop: Header=BB4_3827 Depth=3
	v_and_b32_e32 v1, 0x7f, v54
	v_cmp_ne_u32_e32 vcc, s71, v1
	v_mov_b32_e32 v16, 0x7f800001
	s_and_saveexec_b64 s[36:37], vcc
	s_cbranch_execz .LBB4_3997
; %bb.3996:                             ;   in Loop: Header=BB4_3827 Depth=3
	s_waitcnt vmcnt(0)
	v_and_b32_e32 v5, 7, v2
	v_lshrrev_b32_e32 v6, 3, v1
	v_cmp_gt_u32_e32 vcc, 8, v1
	v_ffbh_u32_e32 v1, v5
	v_min_u32_e32 v16, 32, v1
	v_subrev_u32_e32 v1, 28, v16
	v_lshlrev_b64 v[1:2], v1, v[2:3]
	v_sub_u32_e32 v2, 29, v16
	v_and_b32_e32 v1, 7, v1
	v_cndmask_b32_e32 v2, v6, v2, vcc
	v_cndmask_b32_e32 v1, v5, v1, vcc
	v_lshlrev_b32_e32 v5, 24, v54
	v_lshlrev_b32_e32 v1, 20, v1
	v_and_b32_e32 v5, 0x80000000, v5
	v_lshl_add_u32 v2, v2, 23, v0
	v_or3_b32 v16, v5, v2, v1
	buffer_load_dword v5, off, s[0:3], s33 offset:68 ; 4-byte Folded Reload
.LBB4_3997:                             ;   in Loop: Header=BB4_3827 Depth=3
	s_or_b64 exec, exec, s[36:37]
.LBB4_3998:                             ;   in Loop: Header=BB4_3827 Depth=3
	s_or_b64 exec, exec, s[34:35]
.LBB4_3999:                             ;   in Loop: Header=BB4_3827 Depth=3
	s_or_b64 exec, exec, s[28:29]
	v_mul_f32_e32 v16, v17, v16
	v_and_b32_e32 v2, 0x7f800000, v16
	v_cmp_ne_u64_e32 vcc, s[62:63], v[2:3]
                                        ; implicit-def: $vgpr54
	s_and_saveexec_b64 s[28:29], vcc
	s_xor_b64 s[34:35], exec, s[28:29]
	s_cbranch_execz .LBB4_4017
; %bb.4000:                             ;   in Loop: Header=BB4_3827 Depth=3
	v_and_b32_e32 v2, 0x7fffffff, v16
	v_cmp_gt_u64_e32 vcc, s[72:73], v[2:3]
	v_and_b32_sdwa v20, v16, s70 dst_sel:DWORD dst_unused:UNUSED_PAD src0_sel:BYTE_3 src1_sel:DWORD
                                        ; implicit-def: $vgpr54
	s_and_saveexec_b64 s[28:29], vcc
	s_xor_b64 s[36:37], exec, s[28:29]
	s_cbranch_execz .LBB4_4014
; %bb.4001:                             ;   in Loop: Header=BB4_3827 Depth=3
	v_cmp_ne_u32_e32 vcc, 0, v16
	v_mov_b32_e32 v54, 0
	s_and_saveexec_b64 s[38:39], vcc
	s_cbranch_execz .LBB4_4013
; %bb.4002:                             ;   in Loop: Header=BB4_3827 Depth=3
	v_bfe_u32 v23, v16, 23, 8
	v_cmp_gt_u32_e64 s[28:29], s80, v23
	v_sub_u32_e32 v2, 0x79, v23
	v_and_b32_e32 v1, 0x7fffff, v16
	v_cmp_eq_u32_e32 vcc, 0, v23
	v_cndmask_b32_e64 v2, 0, v2, s[28:29]
	v_mov_b32_e32 v6, 0x78
	s_waitcnt vmcnt(0)
	v_or_b32_e32 v5, 0x800000, v1
	v_cndmask_b32_e32 v50, v2, v6, vcc
	v_cndmask_b32_e32 v2, v5, v1, vcc
	v_add_u32_e32 v1, 20, v50
	v_lshlrev_b64 v[5:6], v1, -1
	v_add_u32_e32 v1, 19, v50
	v_lshlrev_b64 v[16:17], v1, 1
	v_bfi_b32 v6, v6, 0, 0
	v_bfi_b32 v5, v5, 0, v2
	v_cmp_eq_u64_e64 s[28:29], v[5:6], v[16:17]
	v_lshrrev_b64 v[16:17], v50, v[2:3]
	v_mov_b32_e32 v18, v17
	v_mov_b32_e32 v17, v16
	s_and_saveexec_b64 s[48:49], s[28:29]
; %bb.4003:                             ;   in Loop: Header=BB4_3827 Depth=3
	v_bfe_u32 v1, v16, 20, 1
	v_add_co_u32_e64 v1, s[28:29], v16, v1
	v_add_co_u32_e64 v17, s[28:29], -1, v1
; %bb.4004:                             ;   in Loop: Header=BB4_3827 Depth=3
	s_or_b64 exec, exec, s[48:49]
	v_add_u32_e32 v1, 0xffffff81, v23
	v_mov_b32_e32 v2, 0xffffff82
	v_cndmask_b32_e32 v1, v1, v2, vcc
	v_lshrrev_b32_e32 v2, 23, v16
	v_add3_u32 v23, v50, v1, v2
	v_add_u32_e32 v1, 6, v23
	v_and_b32_e32 v2, 0xfffff, v17
	v_add_u32_e32 v2, v2, v16
	v_cmp_ne_u32_e32 vcc, 0, v1
                                        ; implicit-def: $vgpr16_vgpr17
                                        ; implicit-def: $vgpr18
	s_and_saveexec_b64 s[28:29], vcc
	s_xor_b64 s[28:29], exec, s[28:29]
; %bb.4005:                             ;   in Loop: Header=BB4_3827 Depth=3
	v_cmp_lt_u64_e32 vcc, s[88:89], v[2:3]
	v_add_u32_e32 v5, 7, v23
	v_cndmask_b32_e32 v18, v1, v5, vcc
	v_cndmask_b32_e64 v1, 0, 1, vcc
	v_lshrrev_b64 v[16:17], v1, v[2:3]
; %bb.4006:                             ;   in Loop: Header=BB4_3827 Depth=3
	s_andn2_saveexec_b64 s[28:29], s[28:29]
; %bb.4007:                             ;   in Loop: Header=BB4_3827 Depth=3
	v_mov_b32_e32 v17, v3
	v_bfe_u32 v18, v2, 23, 1
	v_mov_b32_e32 v16, v2
; %bb.4008:                             ;   in Loop: Header=BB4_3827 Depth=3
	s_or_b64 exec, exec, s[28:29]
	v_lshrrev_b64 v[1:2], 20, v[16:17]
	v_cmp_gt_i32_e32 vcc, 16, v18
	v_cndmask_b32_e32 v17, 0, v2, vcc
	v_cndmask_b32_e32 v16, 7, v1, vcc
	v_cmp_ne_u64_e32 vcc, 0, v[16:17]
	v_cmp_ne_u32_e64 s[28:29], 0, v18
	s_or_b64 s[28:29], s[28:29], vcc
                                        ; implicit-def: $vgpr54
	s_mov_b64 s[44:45], exec
	buffer_load_dword v5, off, s[0:3], s33 offset:68 ; 4-byte Folded Reload
	s_and_b64 vcc, s[44:45], s[28:29]
	s_xor_b64 s[28:29], vcc, s[44:45]
	s_mov_b64 exec, vcc
; %bb.4009:                             ;   in Loop: Header=BB4_3827 Depth=3
	v_min_i32_e32 v1, 15, v18
	v_lshl_or_b32 v1, v1, 3, v20
	v_and_or_b32 v54, v16, 7, v1
                                        ; implicit-def: $vgpr20
; %bb.4010:                             ;   in Loop: Header=BB4_3827 Depth=3
	s_andn2_saveexec_b64 s[28:29], s[28:29]
; %bb.4011:                             ;   in Loop: Header=BB4_3827 Depth=3
	v_mov_b32_e32 v54, v20
; %bb.4012:                             ;   in Loop: Header=BB4_3827 Depth=3
	s_or_b64 exec, exec, s[28:29]
.LBB4_4013:                             ;   in Loop: Header=BB4_3827 Depth=3
	s_or_b64 exec, exec, s[38:39]
                                        ; implicit-def: $vgpr20
.LBB4_4014:                             ;   in Loop: Header=BB4_3827 Depth=3
	s_andn2_saveexec_b64 s[28:29], s[36:37]
; %bb.4015:                             ;   in Loop: Header=BB4_3827 Depth=3
	v_or_b32_e32 v54, 0x7e, v20
; %bb.4016:                             ;   in Loop: Header=BB4_3827 Depth=3
	s_or_b64 exec, exec, s[28:29]
                                        ; implicit-def: $vgpr16
.LBB4_4017:                             ;   in Loop: Header=BB4_3827 Depth=3
	s_andn2_saveexec_b64 s[28:29], s[34:35]
; %bb.4018:                             ;   in Loop: Header=BB4_3827 Depth=3
	v_or_b32_sdwa v54, v16, s71 dst_sel:DWORD dst_unused:UNUSED_PAD src0_sel:BYTE_3 src1_sel:DWORD
; %bb.4019:                             ;   in Loop: Header=BB4_3827 Depth=3
	s_or_b64 exec, exec, s[28:29]
	v_and_b32_e32 v2, 0xff, v61
	v_cmp_ne_u16_e32 vcc, 0, v2
	v_mov_b32_e32 v16, 0
	v_mov_b32_e32 v17, 0
	s_and_saveexec_b64 s[28:29], vcc
	s_cbranch_execz .LBB4_4025
; %bb.4020:                             ;   in Loop: Header=BB4_3827 Depth=3
	v_cmp_ne_u16_e32 vcc, s70, v2
	v_bfrev_b32_e32 v17, 1
	s_and_saveexec_b64 s[34:35], vcc
	s_cbranch_execz .LBB4_4024
; %bb.4021:                             ;   in Loop: Header=BB4_3827 Depth=3
	v_and_b32_e32 v1, 0x7f, v61
	v_cmp_ne_u32_e32 vcc, s71, v1
	v_mov_b32_e32 v17, 0x7f800001
	s_and_saveexec_b64 s[36:37], vcc
	s_cbranch_execz .LBB4_4023
; %bb.4022:                             ;   in Loop: Header=BB4_3827 Depth=3
	s_waitcnt vmcnt(0)
	v_and_b32_e32 v5, 7, v2
	v_lshrrev_b32_e32 v6, 3, v1
	v_cmp_gt_u32_e32 vcc, 8, v1
	v_ffbh_u32_e32 v1, v5
	v_min_u32_e32 v17, 32, v1
	v_subrev_u32_e32 v1, 28, v17
	v_lshlrev_b64 v[1:2], v1, v[2:3]
	v_sub_u32_e32 v2, 29, v17
	v_and_b32_e32 v1, 7, v1
	v_cndmask_b32_e32 v2, v6, v2, vcc
	v_cndmask_b32_e32 v1, v5, v1, vcc
	v_lshlrev_b32_e32 v5, 24, v61
	v_lshlrev_b32_e32 v1, 20, v1
	v_and_b32_e32 v5, 0x80000000, v5
	v_lshl_add_u32 v2, v2, 23, v0
	v_or3_b32 v17, v5, v2, v1
	buffer_load_dword v5, off, s[0:3], s33 offset:68 ; 4-byte Folded Reload
.LBB4_4023:                             ;   in Loop: Header=BB4_3827 Depth=3
	s_or_b64 exec, exec, s[36:37]
.LBB4_4024:                             ;   in Loop: Header=BB4_3827 Depth=3
	s_or_b64 exec, exec, s[34:35]
.LBB4_4025:                             ;   in Loop: Header=BB4_3827 Depth=3
	s_or_b64 exec, exec, s[28:29]
	v_and_b32_e32 v2, 0xff, v45
	v_cmp_ne_u16_e32 vcc, 0, v2
	s_and_saveexec_b64 s[28:29], vcc
	s_cbranch_execz .LBB4_4031
; %bb.4026:                             ;   in Loop: Header=BB4_3827 Depth=3
	v_cmp_ne_u16_e32 vcc, s70, v2
	v_bfrev_b32_e32 v16, 1
	s_and_saveexec_b64 s[34:35], vcc
	s_cbranch_execz .LBB4_4030
; %bb.4027:                             ;   in Loop: Header=BB4_3827 Depth=3
	v_and_b32_e32 v1, 0x7f, v45
	v_cmp_ne_u32_e32 vcc, s71, v1
	v_mov_b32_e32 v16, 0x7f800001
	s_and_saveexec_b64 s[36:37], vcc
	s_cbranch_execz .LBB4_4029
; %bb.4028:                             ;   in Loop: Header=BB4_3827 Depth=3
	s_waitcnt vmcnt(0)
	v_and_b32_e32 v5, 7, v2
	v_lshrrev_b32_e32 v6, 3, v1
	v_cmp_gt_u32_e32 vcc, 8, v1
	v_ffbh_u32_e32 v1, v5
	v_min_u32_e32 v16, 32, v1
	v_subrev_u32_e32 v1, 28, v16
	v_lshlrev_b64 v[1:2], v1, v[2:3]
	v_sub_u32_e32 v2, 29, v16
	v_and_b32_e32 v1, 7, v1
	v_cndmask_b32_e32 v2, v6, v2, vcc
	v_cndmask_b32_e32 v1, v5, v1, vcc
	v_lshlrev_b32_e32 v5, 24, v45
	v_lshlrev_b32_e32 v1, 20, v1
	v_and_b32_e32 v5, 0x80000000, v5
	v_lshl_add_u32 v2, v2, 23, v0
	v_or3_b32 v16, v5, v2, v1
	buffer_load_dword v5, off, s[0:3], s33 offset:68 ; 4-byte Folded Reload
.LBB4_4029:                             ;   in Loop: Header=BB4_3827 Depth=3
	s_or_b64 exec, exec, s[36:37]
.LBB4_4030:                             ;   in Loop: Header=BB4_3827 Depth=3
	s_or_b64 exec, exec, s[34:35]
.LBB4_4031:                             ;   in Loop: Header=BB4_3827 Depth=3
	s_or_b64 exec, exec, s[28:29]
	v_mul_f32_e32 v16, v17, v16
	v_and_b32_e32 v2, 0x7f800000, v16
	v_cmp_ne_u64_e32 vcc, s[62:63], v[2:3]
                                        ; implicit-def: $vgpr45
	s_and_saveexec_b64 s[28:29], vcc
	s_xor_b64 s[34:35], exec, s[28:29]
	s_cbranch_execz .LBB4_4049
; %bb.4032:                             ;   in Loop: Header=BB4_3827 Depth=3
	v_and_b32_e32 v2, 0x7fffffff, v16
	v_cmp_gt_u64_e32 vcc, s[72:73], v[2:3]
	v_and_b32_sdwa v20, v16, s70 dst_sel:DWORD dst_unused:UNUSED_PAD src0_sel:BYTE_3 src1_sel:DWORD
                                        ; implicit-def: $vgpr45
	s_and_saveexec_b64 s[28:29], vcc
	s_xor_b64 s[36:37], exec, s[28:29]
	s_cbranch_execz .LBB4_4046
; %bb.4033:                             ;   in Loop: Header=BB4_3827 Depth=3
	v_cmp_ne_u32_e32 vcc, 0, v16
	v_mov_b32_e32 v45, 0
	s_and_saveexec_b64 s[38:39], vcc
	s_cbranch_execz .LBB4_4045
; %bb.4034:                             ;   in Loop: Header=BB4_3827 Depth=3
	v_bfe_u32 v23, v16, 23, 8
	v_cmp_gt_u32_e64 s[28:29], s80, v23
	v_sub_u32_e32 v2, 0x79, v23
	v_and_b32_e32 v1, 0x7fffff, v16
	v_cmp_eq_u32_e32 vcc, 0, v23
	v_cndmask_b32_e64 v2, 0, v2, s[28:29]
	v_mov_b32_e32 v6, 0x78
	s_waitcnt vmcnt(0)
	v_or_b32_e32 v5, 0x800000, v1
	v_cndmask_b32_e32 v50, v2, v6, vcc
	v_cndmask_b32_e32 v2, v5, v1, vcc
	v_add_u32_e32 v1, 20, v50
	v_lshlrev_b64 v[5:6], v1, -1
	v_add_u32_e32 v1, 19, v50
	v_lshlrev_b64 v[16:17], v1, 1
	v_bfi_b32 v6, v6, 0, 0
	v_bfi_b32 v5, v5, 0, v2
	v_cmp_eq_u64_e64 s[28:29], v[5:6], v[16:17]
	v_lshrrev_b64 v[16:17], v50, v[2:3]
	v_mov_b32_e32 v18, v17
	v_mov_b32_e32 v17, v16
	s_and_saveexec_b64 s[48:49], s[28:29]
; %bb.4035:                             ;   in Loop: Header=BB4_3827 Depth=3
	v_bfe_u32 v1, v16, 20, 1
	v_add_co_u32_e64 v1, s[28:29], v16, v1
	v_add_co_u32_e64 v17, s[28:29], -1, v1
; %bb.4036:                             ;   in Loop: Header=BB4_3827 Depth=3
	s_or_b64 exec, exec, s[48:49]
	v_add_u32_e32 v1, 0xffffff81, v23
	v_mov_b32_e32 v2, 0xffffff82
	v_cndmask_b32_e32 v1, v1, v2, vcc
	v_lshrrev_b32_e32 v2, 23, v16
	v_add3_u32 v23, v50, v1, v2
	v_add_u32_e32 v1, 6, v23
	v_and_b32_e32 v2, 0xfffff, v17
	v_add_u32_e32 v2, v2, v16
	v_cmp_ne_u32_e32 vcc, 0, v1
                                        ; implicit-def: $vgpr16_vgpr17
                                        ; implicit-def: $vgpr18
	s_and_saveexec_b64 s[28:29], vcc
	s_xor_b64 s[28:29], exec, s[28:29]
; %bb.4037:                             ;   in Loop: Header=BB4_3827 Depth=3
	v_cmp_lt_u64_e32 vcc, s[88:89], v[2:3]
	v_add_u32_e32 v5, 7, v23
	v_cndmask_b32_e32 v18, v1, v5, vcc
	v_cndmask_b32_e64 v1, 0, 1, vcc
	v_lshrrev_b64 v[16:17], v1, v[2:3]
; %bb.4038:                             ;   in Loop: Header=BB4_3827 Depth=3
	s_andn2_saveexec_b64 s[28:29], s[28:29]
; %bb.4039:                             ;   in Loop: Header=BB4_3827 Depth=3
	v_mov_b32_e32 v17, v3
	v_bfe_u32 v18, v2, 23, 1
	v_mov_b32_e32 v16, v2
; %bb.4040:                             ;   in Loop: Header=BB4_3827 Depth=3
	s_or_b64 exec, exec, s[28:29]
	v_lshrrev_b64 v[1:2], 20, v[16:17]
	v_cmp_gt_i32_e32 vcc, 16, v18
	v_cndmask_b32_e32 v17, 0, v2, vcc
	v_cndmask_b32_e32 v16, 7, v1, vcc
	v_cmp_ne_u64_e32 vcc, 0, v[16:17]
	v_cmp_ne_u32_e64 s[28:29], 0, v18
	s_or_b64 s[28:29], s[28:29], vcc
                                        ; implicit-def: $vgpr45
	s_mov_b64 s[44:45], exec
	buffer_load_dword v5, off, s[0:3], s33 offset:68 ; 4-byte Folded Reload
	s_and_b64 vcc, s[44:45], s[28:29]
	s_xor_b64 s[28:29], vcc, s[44:45]
	s_mov_b64 exec, vcc
; %bb.4041:                             ;   in Loop: Header=BB4_3827 Depth=3
	v_min_i32_e32 v1, 15, v18
	v_lshl_or_b32 v1, v1, 3, v20
	v_and_or_b32 v45, v16, 7, v1
                                        ; implicit-def: $vgpr20
; %bb.4042:                             ;   in Loop: Header=BB4_3827 Depth=3
	s_andn2_saveexec_b64 s[28:29], s[28:29]
; %bb.4043:                             ;   in Loop: Header=BB4_3827 Depth=3
	v_mov_b32_e32 v45, v20
; %bb.4044:                             ;   in Loop: Header=BB4_3827 Depth=3
	s_or_b64 exec, exec, s[28:29]
.LBB4_4045:                             ;   in Loop: Header=BB4_3827 Depth=3
	s_or_b64 exec, exec, s[38:39]
                                        ; implicit-def: $vgpr20
.LBB4_4046:                             ;   in Loop: Header=BB4_3827 Depth=3
	s_andn2_saveexec_b64 s[28:29], s[36:37]
; %bb.4047:                             ;   in Loop: Header=BB4_3827 Depth=3
	v_or_b32_e32 v45, 0x7e, v20
; %bb.4048:                             ;   in Loop: Header=BB4_3827 Depth=3
	s_or_b64 exec, exec, s[28:29]
                                        ; implicit-def: $vgpr16
.LBB4_4049:                             ;   in Loop: Header=BB4_3827 Depth=3
	s_andn2_saveexec_b64 s[28:29], s[34:35]
; %bb.4050:                             ;   in Loop: Header=BB4_3827 Depth=3
	v_or_b32_sdwa v45, v16, s71 dst_sel:DWORD dst_unused:UNUSED_PAD src0_sel:BYTE_3 src1_sel:DWORD
; %bb.4051:                             ;   in Loop: Header=BB4_3827 Depth=3
	s_or_b64 exec, exec, s[28:29]
	v_and_b32_e32 v2, 0xff, v60
	v_cmp_ne_u16_e32 vcc, 0, v2
	v_mov_b32_e32 v16, 0
	v_mov_b32_e32 v17, 0
	s_and_saveexec_b64 s[28:29], vcc
	s_cbranch_execz .LBB4_4057
; %bb.4052:                             ;   in Loop: Header=BB4_3827 Depth=3
	v_cmp_ne_u16_e32 vcc, s70, v2
	v_bfrev_b32_e32 v17, 1
	s_and_saveexec_b64 s[34:35], vcc
	s_cbranch_execz .LBB4_4056
; %bb.4053:                             ;   in Loop: Header=BB4_3827 Depth=3
	v_and_b32_e32 v1, 0x7f, v60
	v_cmp_ne_u32_e32 vcc, s71, v1
	v_mov_b32_e32 v17, 0x7f800001
	s_and_saveexec_b64 s[36:37], vcc
	s_cbranch_execz .LBB4_4055
; %bb.4054:                             ;   in Loop: Header=BB4_3827 Depth=3
	s_waitcnt vmcnt(0)
	v_and_b32_e32 v5, 7, v2
	v_lshrrev_b32_e32 v6, 3, v1
	v_cmp_gt_u32_e32 vcc, 8, v1
	v_ffbh_u32_e32 v1, v5
	v_min_u32_e32 v17, 32, v1
	v_subrev_u32_e32 v1, 28, v17
	v_lshlrev_b64 v[1:2], v1, v[2:3]
	v_sub_u32_e32 v2, 29, v17
	v_and_b32_e32 v1, 7, v1
	v_cndmask_b32_e32 v2, v6, v2, vcc
	v_cndmask_b32_e32 v1, v5, v1, vcc
	v_lshlrev_b32_e32 v5, 24, v60
	v_lshlrev_b32_e32 v1, 20, v1
	v_and_b32_e32 v5, 0x80000000, v5
	v_lshl_add_u32 v2, v2, 23, v0
	v_or3_b32 v17, v5, v2, v1
	buffer_load_dword v5, off, s[0:3], s33 offset:68 ; 4-byte Folded Reload
.LBB4_4055:                             ;   in Loop: Header=BB4_3827 Depth=3
	s_or_b64 exec, exec, s[36:37]
.LBB4_4056:                             ;   in Loop: Header=BB4_3827 Depth=3
	s_or_b64 exec, exec, s[34:35]
.LBB4_4057:                             ;   in Loop: Header=BB4_3827 Depth=3
	s_or_b64 exec, exec, s[28:29]
	v_and_b32_e32 v2, 0xff, v58
	v_cmp_ne_u16_e32 vcc, 0, v2
	s_and_saveexec_b64 s[28:29], vcc
	s_cbranch_execz .LBB4_4063
; %bb.4058:                             ;   in Loop: Header=BB4_3827 Depth=3
	v_cmp_ne_u16_e32 vcc, s70, v2
	v_bfrev_b32_e32 v16, 1
	s_and_saveexec_b64 s[34:35], vcc
	s_cbranch_execz .LBB4_4062
; %bb.4059:                             ;   in Loop: Header=BB4_3827 Depth=3
	v_and_b32_e32 v1, 0x7f, v58
	v_cmp_ne_u32_e32 vcc, s71, v1
	v_mov_b32_e32 v16, 0x7f800001
	s_and_saveexec_b64 s[36:37], vcc
	s_cbranch_execz .LBB4_4061
; %bb.4060:                             ;   in Loop: Header=BB4_3827 Depth=3
	s_waitcnt vmcnt(0)
	v_and_b32_e32 v5, 7, v2
	v_lshrrev_b32_e32 v6, 3, v1
	v_cmp_gt_u32_e32 vcc, 8, v1
	v_ffbh_u32_e32 v1, v5
	v_min_u32_e32 v16, 32, v1
	v_subrev_u32_e32 v1, 28, v16
	v_lshlrev_b64 v[1:2], v1, v[2:3]
	v_sub_u32_e32 v2, 29, v16
	v_and_b32_e32 v1, 7, v1
	v_cndmask_b32_e32 v2, v6, v2, vcc
	v_cndmask_b32_e32 v1, v5, v1, vcc
	v_lshlrev_b32_e32 v5, 24, v58
	v_lshlrev_b32_e32 v1, 20, v1
	v_and_b32_e32 v5, 0x80000000, v5
	v_lshl_add_u32 v2, v2, 23, v0
	v_or3_b32 v16, v5, v2, v1
	buffer_load_dword v5, off, s[0:3], s33 offset:68 ; 4-byte Folded Reload
.LBB4_4061:                             ;   in Loop: Header=BB4_3827 Depth=3
	s_or_b64 exec, exec, s[36:37]
.LBB4_4062:                             ;   in Loop: Header=BB4_3827 Depth=3
	s_or_b64 exec, exec, s[34:35]
.LBB4_4063:                             ;   in Loop: Header=BB4_3827 Depth=3
	s_or_b64 exec, exec, s[28:29]
	v_mul_f32_e32 v16, v17, v16
	v_and_b32_e32 v2, 0x7f800000, v16
	v_cmp_ne_u64_e32 vcc, s[62:63], v[2:3]
                                        ; implicit-def: $vgpr58
	s_and_saveexec_b64 s[28:29], vcc
	s_xor_b64 s[34:35], exec, s[28:29]
	s_cbranch_execz .LBB4_4081
; %bb.4064:                             ;   in Loop: Header=BB4_3827 Depth=3
	v_and_b32_e32 v2, 0x7fffffff, v16
	v_cmp_gt_u64_e32 vcc, s[72:73], v[2:3]
	v_and_b32_sdwa v20, v16, s70 dst_sel:DWORD dst_unused:UNUSED_PAD src0_sel:BYTE_3 src1_sel:DWORD
                                        ; implicit-def: $vgpr58
	s_and_saveexec_b64 s[28:29], vcc
	s_xor_b64 s[36:37], exec, s[28:29]
	s_cbranch_execz .LBB4_4078
; %bb.4065:                             ;   in Loop: Header=BB4_3827 Depth=3
	v_cmp_ne_u32_e32 vcc, 0, v16
	v_mov_b32_e32 v58, 0
	s_and_saveexec_b64 s[38:39], vcc
	s_cbranch_execz .LBB4_4077
; %bb.4066:                             ;   in Loop: Header=BB4_3827 Depth=3
	v_bfe_u32 v23, v16, 23, 8
	v_cmp_gt_u32_e64 s[28:29], s80, v23
	v_sub_u32_e32 v2, 0x79, v23
	v_and_b32_e32 v1, 0x7fffff, v16
	v_cmp_eq_u32_e32 vcc, 0, v23
	v_cndmask_b32_e64 v2, 0, v2, s[28:29]
	v_mov_b32_e32 v6, 0x78
	s_waitcnt vmcnt(0)
	v_or_b32_e32 v5, 0x800000, v1
	v_cndmask_b32_e32 v50, v2, v6, vcc
	v_cndmask_b32_e32 v2, v5, v1, vcc
	v_add_u32_e32 v1, 20, v50
	v_lshlrev_b64 v[5:6], v1, -1
	v_add_u32_e32 v1, 19, v50
	v_lshlrev_b64 v[16:17], v1, 1
	v_bfi_b32 v6, v6, 0, 0
	v_bfi_b32 v5, v5, 0, v2
	v_cmp_eq_u64_e64 s[28:29], v[5:6], v[16:17]
	v_lshrrev_b64 v[16:17], v50, v[2:3]
	v_mov_b32_e32 v18, v17
	v_mov_b32_e32 v17, v16
	s_and_saveexec_b64 s[48:49], s[28:29]
; %bb.4067:                             ;   in Loop: Header=BB4_3827 Depth=3
	v_bfe_u32 v1, v16, 20, 1
	v_add_co_u32_e64 v1, s[28:29], v16, v1
	v_add_co_u32_e64 v17, s[28:29], -1, v1
; %bb.4068:                             ;   in Loop: Header=BB4_3827 Depth=3
	s_or_b64 exec, exec, s[48:49]
	v_add_u32_e32 v1, 0xffffff81, v23
	v_mov_b32_e32 v2, 0xffffff82
	v_cndmask_b32_e32 v1, v1, v2, vcc
	v_lshrrev_b32_e32 v2, 23, v16
	v_add3_u32 v23, v50, v1, v2
	v_add_u32_e32 v1, 6, v23
	v_and_b32_e32 v2, 0xfffff, v17
	v_add_u32_e32 v2, v2, v16
	v_cmp_ne_u32_e32 vcc, 0, v1
                                        ; implicit-def: $vgpr16_vgpr17
                                        ; implicit-def: $vgpr18
	s_and_saveexec_b64 s[28:29], vcc
	s_xor_b64 s[28:29], exec, s[28:29]
; %bb.4069:                             ;   in Loop: Header=BB4_3827 Depth=3
	v_cmp_lt_u64_e32 vcc, s[88:89], v[2:3]
	v_add_u32_e32 v5, 7, v23
	v_cndmask_b32_e32 v18, v1, v5, vcc
	v_cndmask_b32_e64 v1, 0, 1, vcc
	v_lshrrev_b64 v[16:17], v1, v[2:3]
; %bb.4070:                             ;   in Loop: Header=BB4_3827 Depth=3
	s_or_saveexec_b64 s[28:29], s[28:29]
	buffer_load_dword v5, off, s[0:3], s33 offset:68 ; 4-byte Folded Reload
	s_xor_b64 exec, exec, s[28:29]
; %bb.4071:                             ;   in Loop: Header=BB4_3827 Depth=3
	v_mov_b32_e32 v17, v3
	v_bfe_u32 v18, v2, 23, 1
	v_mov_b32_e32 v16, v2
; %bb.4072:                             ;   in Loop: Header=BB4_3827 Depth=3
	s_or_b64 exec, exec, s[28:29]
	v_lshrrev_b64 v[1:2], 20, v[16:17]
	v_cmp_gt_i32_e32 vcc, 16, v18
	v_cndmask_b32_e32 v17, 0, v2, vcc
	v_cndmask_b32_e32 v16, 7, v1, vcc
	v_cmp_ne_u64_e32 vcc, 0, v[16:17]
	v_cmp_ne_u32_e64 s[28:29], 0, v18
	s_or_b64 s[28:29], s[28:29], vcc
                                        ; implicit-def: $vgpr58
	s_and_saveexec_b64 s[44:45], s[28:29]
	s_xor_b64 s[28:29], exec, s[44:45]
; %bb.4073:                             ;   in Loop: Header=BB4_3827 Depth=3
	v_min_i32_e32 v1, 15, v18
	v_lshl_or_b32 v1, v1, 3, v20
	v_and_or_b32 v58, v16, 7, v1
                                        ; implicit-def: $vgpr20
; %bb.4074:                             ;   in Loop: Header=BB4_3827 Depth=3
	s_andn2_saveexec_b64 s[28:29], s[28:29]
; %bb.4075:                             ;   in Loop: Header=BB4_3827 Depth=3
	v_mov_b32_e32 v58, v20
; %bb.4076:                             ;   in Loop: Header=BB4_3827 Depth=3
	s_or_b64 exec, exec, s[28:29]
.LBB4_4077:                             ;   in Loop: Header=BB4_3827 Depth=3
	s_or_b64 exec, exec, s[38:39]
                                        ; implicit-def: $vgpr20
.LBB4_4078:                             ;   in Loop: Header=BB4_3827 Depth=3
	s_andn2_saveexec_b64 s[28:29], s[36:37]
; %bb.4079:                             ;   in Loop: Header=BB4_3827 Depth=3
	v_or_b32_e32 v58, 0x7e, v20
; %bb.4080:                             ;   in Loop: Header=BB4_3827 Depth=3
	s_or_b64 exec, exec, s[28:29]
                                        ; implicit-def: $vgpr16
.LBB4_4081:                             ;   in Loop: Header=BB4_3827 Depth=3
	s_andn2_saveexec_b64 s[28:29], s[34:35]
; %bb.4082:                             ;   in Loop: Header=BB4_3827 Depth=3
	v_or_b32_sdwa v58, v16, s71 dst_sel:DWORD dst_unused:UNUSED_PAD src0_sel:BYTE_3 src1_sel:DWORD
; %bb.4083:                             ;   in Loop: Header=BB4_3827 Depth=3
	s_or_b64 exec, exec, s[28:29]
	v_and_b32_e32 v2, 0xff, v59
	v_cmp_ne_u16_e32 vcc, 0, v2
	v_mov_b32_e32 v16, 0
	v_mov_b32_e32 v17, 0
	s_and_saveexec_b64 s[28:29], vcc
	s_cbranch_execz .LBB4_4089
; %bb.4084:                             ;   in Loop: Header=BB4_3827 Depth=3
	v_cmp_ne_u16_e32 vcc, s70, v2
	v_bfrev_b32_e32 v17, 1
	s_and_saveexec_b64 s[34:35], vcc
	s_cbranch_execz .LBB4_4088
; %bb.4085:                             ;   in Loop: Header=BB4_3827 Depth=3
	v_and_b32_e32 v1, 0x7f, v59
	v_cmp_ne_u32_e32 vcc, s71, v1
	v_mov_b32_e32 v17, 0x7f800001
	s_and_saveexec_b64 s[36:37], vcc
	s_cbranch_execz .LBB4_4087
; %bb.4086:                             ;   in Loop: Header=BB4_3827 Depth=3
	s_waitcnt vmcnt(0)
	v_and_b32_e32 v5, 7, v2
	v_lshrrev_b32_e32 v6, 3, v1
	v_cmp_gt_u32_e32 vcc, 8, v1
	v_ffbh_u32_e32 v1, v5
	v_min_u32_e32 v17, 32, v1
	v_subrev_u32_e32 v1, 28, v17
	v_lshlrev_b64 v[1:2], v1, v[2:3]
	v_sub_u32_e32 v2, 29, v17
	v_and_b32_e32 v1, 7, v1
	v_cndmask_b32_e32 v2, v6, v2, vcc
	v_cndmask_b32_e32 v1, v5, v1, vcc
	v_lshlrev_b32_e32 v5, 24, v59
	v_lshlrev_b32_e32 v1, 20, v1
	v_and_b32_e32 v5, 0x80000000, v5
	v_lshl_add_u32 v2, v2, 23, v0
	v_or3_b32 v17, v5, v2, v1
	buffer_load_dword v5, off, s[0:3], s33 offset:68 ; 4-byte Folded Reload
.LBB4_4087:                             ;   in Loop: Header=BB4_3827 Depth=3
	s_or_b64 exec, exec, s[36:37]
.LBB4_4088:                             ;   in Loop: Header=BB4_3827 Depth=3
	s_or_b64 exec, exec, s[34:35]
.LBB4_4089:                             ;   in Loop: Header=BB4_3827 Depth=3
	s_or_b64 exec, exec, s[28:29]
	v_and_b32_e32 v2, 0xff, v57
	v_cmp_ne_u16_e32 vcc, 0, v2
	s_and_saveexec_b64 s[28:29], vcc
	s_cbranch_execz .LBB4_4095
; %bb.4090:                             ;   in Loop: Header=BB4_3827 Depth=3
	v_cmp_ne_u16_e32 vcc, s70, v2
	v_bfrev_b32_e32 v16, 1
	s_and_saveexec_b64 s[34:35], vcc
	s_cbranch_execz .LBB4_4094
; %bb.4091:                             ;   in Loop: Header=BB4_3827 Depth=3
	v_and_b32_e32 v1, 0x7f, v57
	v_cmp_ne_u32_e32 vcc, s71, v1
	v_mov_b32_e32 v16, 0x7f800001
	s_and_saveexec_b64 s[36:37], vcc
	s_cbranch_execz .LBB4_4093
; %bb.4092:                             ;   in Loop: Header=BB4_3827 Depth=3
	s_waitcnt vmcnt(0)
	v_and_b32_e32 v5, 7, v2
	v_lshrrev_b32_e32 v6, 3, v1
	v_cmp_gt_u32_e32 vcc, 8, v1
	v_ffbh_u32_e32 v1, v5
	v_min_u32_e32 v16, 32, v1
	v_subrev_u32_e32 v1, 28, v16
	v_lshlrev_b64 v[1:2], v1, v[2:3]
	v_sub_u32_e32 v2, 29, v16
	v_and_b32_e32 v1, 7, v1
	v_cndmask_b32_e32 v2, v6, v2, vcc
	v_cndmask_b32_e32 v1, v5, v1, vcc
	v_lshlrev_b32_e32 v5, 24, v57
	v_lshlrev_b32_e32 v1, 20, v1
	v_and_b32_e32 v5, 0x80000000, v5
	v_lshl_add_u32 v2, v2, 23, v0
	v_or3_b32 v16, v5, v2, v1
	buffer_load_dword v5, off, s[0:3], s33 offset:68 ; 4-byte Folded Reload
.LBB4_4093:                             ;   in Loop: Header=BB4_3827 Depth=3
	s_or_b64 exec, exec, s[36:37]
.LBB4_4094:                             ;   in Loop: Header=BB4_3827 Depth=3
	s_or_b64 exec, exec, s[34:35]
.LBB4_4095:                             ;   in Loop: Header=BB4_3827 Depth=3
	s_or_b64 exec, exec, s[28:29]
	v_mul_f32_e32 v16, v17, v16
	v_and_b32_e32 v2, 0x7f800000, v16
	v_cmp_ne_u64_e32 vcc, s[62:63], v[2:3]
                                        ; implicit-def: $vgpr57
	s_and_saveexec_b64 s[28:29], vcc
	s_xor_b64 s[34:35], exec, s[28:29]
	s_cbranch_execz .LBB4_4113
; %bb.4096:                             ;   in Loop: Header=BB4_3827 Depth=3
	v_and_b32_e32 v2, 0x7fffffff, v16
	v_cmp_gt_u64_e32 vcc, s[72:73], v[2:3]
	v_and_b32_sdwa v20, v16, s70 dst_sel:DWORD dst_unused:UNUSED_PAD src0_sel:BYTE_3 src1_sel:DWORD
                                        ; implicit-def: $vgpr57
	s_and_saveexec_b64 s[28:29], vcc
	s_xor_b64 s[36:37], exec, s[28:29]
	s_cbranch_execz .LBB4_4110
; %bb.4097:                             ;   in Loop: Header=BB4_3827 Depth=3
	v_cmp_ne_u32_e32 vcc, 0, v16
	v_mov_b32_e32 v57, 0
	s_and_saveexec_b64 s[38:39], vcc
	s_cbranch_execz .LBB4_4109
; %bb.4098:                             ;   in Loop: Header=BB4_3827 Depth=3
	v_bfe_u32 v23, v16, 23, 8
	v_cmp_gt_u32_e64 s[28:29], s80, v23
	v_sub_u32_e32 v2, 0x79, v23
	v_and_b32_e32 v1, 0x7fffff, v16
	v_cmp_eq_u32_e32 vcc, 0, v23
	v_cndmask_b32_e64 v2, 0, v2, s[28:29]
	v_mov_b32_e32 v6, 0x78
	s_waitcnt vmcnt(0)
	v_or_b32_e32 v5, 0x800000, v1
	v_cndmask_b32_e32 v50, v2, v6, vcc
	v_cndmask_b32_e32 v2, v5, v1, vcc
	v_add_u32_e32 v1, 20, v50
	v_lshlrev_b64 v[5:6], v1, -1
	v_add_u32_e32 v1, 19, v50
	v_lshlrev_b64 v[16:17], v1, 1
	v_bfi_b32 v6, v6, 0, 0
	v_bfi_b32 v5, v5, 0, v2
	v_cmp_eq_u64_e64 s[28:29], v[5:6], v[16:17]
	v_lshrrev_b64 v[16:17], v50, v[2:3]
	v_mov_b32_e32 v18, v17
	v_mov_b32_e32 v17, v16
	s_and_saveexec_b64 s[48:49], s[28:29]
; %bb.4099:                             ;   in Loop: Header=BB4_3827 Depth=3
	v_bfe_u32 v1, v16, 20, 1
	v_add_co_u32_e64 v1, s[28:29], v16, v1
	v_add_co_u32_e64 v17, s[28:29], -1, v1
; %bb.4100:                             ;   in Loop: Header=BB4_3827 Depth=3
	s_or_b64 exec, exec, s[48:49]
	v_add_u32_e32 v1, 0xffffff81, v23
	v_mov_b32_e32 v2, 0xffffff82
	v_cndmask_b32_e32 v1, v1, v2, vcc
	v_lshrrev_b32_e32 v2, 23, v16
	v_add3_u32 v23, v50, v1, v2
	v_add_u32_e32 v1, 6, v23
	v_and_b32_e32 v2, 0xfffff, v17
	v_add_u32_e32 v2, v2, v16
	v_cmp_ne_u32_e32 vcc, 0, v1
                                        ; implicit-def: $vgpr16_vgpr17
                                        ; implicit-def: $vgpr18
	s_and_saveexec_b64 s[28:29], vcc
	s_xor_b64 s[28:29], exec, s[28:29]
; %bb.4101:                             ;   in Loop: Header=BB4_3827 Depth=3
	v_cmp_lt_u64_e32 vcc, s[88:89], v[2:3]
	v_add_u32_e32 v5, 7, v23
	v_cndmask_b32_e32 v18, v1, v5, vcc
	v_cndmask_b32_e64 v1, 0, 1, vcc
	v_lshrrev_b64 v[16:17], v1, v[2:3]
; %bb.4102:                             ;   in Loop: Header=BB4_3827 Depth=3
	s_andn2_saveexec_b64 s[28:29], s[28:29]
; %bb.4103:                             ;   in Loop: Header=BB4_3827 Depth=3
	v_mov_b32_e32 v17, v3
	v_bfe_u32 v18, v2, 23, 1
	v_mov_b32_e32 v16, v2
; %bb.4104:                             ;   in Loop: Header=BB4_3827 Depth=3
	s_or_b64 exec, exec, s[28:29]
	v_lshrrev_b64 v[1:2], 20, v[16:17]
	v_cmp_gt_i32_e32 vcc, 16, v18
	v_cndmask_b32_e32 v17, 0, v2, vcc
	v_cndmask_b32_e32 v16, 7, v1, vcc
	v_cmp_ne_u64_e32 vcc, 0, v[16:17]
	v_cmp_ne_u32_e64 s[28:29], 0, v18
	s_or_b64 s[28:29], s[28:29], vcc
                                        ; implicit-def: $vgpr57
	s_mov_b64 s[44:45], exec
	buffer_load_dword v5, off, s[0:3], s33 offset:68 ; 4-byte Folded Reload
	s_and_b64 vcc, s[44:45], s[28:29]
	s_xor_b64 s[28:29], vcc, s[44:45]
	s_mov_b64 exec, vcc
; %bb.4105:                             ;   in Loop: Header=BB4_3827 Depth=3
	v_min_i32_e32 v1, 15, v18
	v_lshl_or_b32 v1, v1, 3, v20
	v_and_or_b32 v57, v16, 7, v1
                                        ; implicit-def: $vgpr20
; %bb.4106:                             ;   in Loop: Header=BB4_3827 Depth=3
	s_andn2_saveexec_b64 s[28:29], s[28:29]
; %bb.4107:                             ;   in Loop: Header=BB4_3827 Depth=3
	v_mov_b32_e32 v57, v20
; %bb.4108:                             ;   in Loop: Header=BB4_3827 Depth=3
	s_or_b64 exec, exec, s[28:29]
.LBB4_4109:                             ;   in Loop: Header=BB4_3827 Depth=3
	s_or_b64 exec, exec, s[38:39]
                                        ; implicit-def: $vgpr20
.LBB4_4110:                             ;   in Loop: Header=BB4_3827 Depth=3
	s_andn2_saveexec_b64 s[28:29], s[36:37]
; %bb.4111:                             ;   in Loop: Header=BB4_3827 Depth=3
	v_or_b32_e32 v57, 0x7e, v20
; %bb.4112:                             ;   in Loop: Header=BB4_3827 Depth=3
	s_or_b64 exec, exec, s[28:29]
                                        ; implicit-def: $vgpr16
.LBB4_4113:                             ;   in Loop: Header=BB4_3827 Depth=3
	s_andn2_saveexec_b64 s[28:29], s[34:35]
; %bb.4114:                             ;   in Loop: Header=BB4_3827 Depth=3
	v_or_b32_sdwa v57, v16, s71 dst_sel:DWORD dst_unused:UNUSED_PAD src0_sel:BYTE_3 src1_sel:DWORD
; %bb.4115:                             ;   in Loop: Header=BB4_3827 Depth=3
	s_or_b64 exec, exec, s[28:29]
	v_and_b32_e32 v2, 0xff, v56
	v_cmp_ne_u16_e32 vcc, 0, v2
	v_mov_b32_e32 v16, 0
	v_mov_b32_e32 v17, 0
	s_and_saveexec_b64 s[28:29], vcc
	s_cbranch_execz .LBB4_4121
; %bb.4116:                             ;   in Loop: Header=BB4_3827 Depth=3
	v_cmp_ne_u16_e32 vcc, s70, v2
	v_bfrev_b32_e32 v17, 1
	s_and_saveexec_b64 s[34:35], vcc
	s_cbranch_execz .LBB4_4120
; %bb.4117:                             ;   in Loop: Header=BB4_3827 Depth=3
	v_and_b32_e32 v1, 0x7f, v56
	v_cmp_ne_u32_e32 vcc, s71, v1
	v_mov_b32_e32 v17, 0x7f800001
	s_and_saveexec_b64 s[36:37], vcc
	s_cbranch_execz .LBB4_4119
; %bb.4118:                             ;   in Loop: Header=BB4_3827 Depth=3
	s_waitcnt vmcnt(0)
	v_and_b32_e32 v5, 7, v2
	v_lshrrev_b32_e32 v6, 3, v1
	v_cmp_gt_u32_e32 vcc, 8, v1
	v_ffbh_u32_e32 v1, v5
	v_min_u32_e32 v17, 32, v1
	v_subrev_u32_e32 v1, 28, v17
	v_lshlrev_b64 v[1:2], v1, v[2:3]
	v_sub_u32_e32 v2, 29, v17
	v_and_b32_e32 v1, 7, v1
	v_cndmask_b32_e32 v2, v6, v2, vcc
	v_cndmask_b32_e32 v1, v5, v1, vcc
	v_lshlrev_b32_e32 v5, 24, v56
	v_lshlrev_b32_e32 v1, 20, v1
	v_and_b32_e32 v5, 0x80000000, v5
	v_lshl_add_u32 v2, v2, 23, v0
	v_or3_b32 v17, v5, v2, v1
	buffer_load_dword v5, off, s[0:3], s33 offset:68 ; 4-byte Folded Reload
.LBB4_4119:                             ;   in Loop: Header=BB4_3827 Depth=3
	s_or_b64 exec, exec, s[36:37]
.LBB4_4120:                             ;   in Loop: Header=BB4_3827 Depth=3
	s_or_b64 exec, exec, s[34:35]
.LBB4_4121:                             ;   in Loop: Header=BB4_3827 Depth=3
	s_or_b64 exec, exec, s[28:29]
	v_and_b32_e32 v2, 0xff, v42
	v_cmp_ne_u16_e32 vcc, 0, v2
	s_and_saveexec_b64 s[28:29], vcc
	s_cbranch_execz .LBB4_4127
; %bb.4122:                             ;   in Loop: Header=BB4_3827 Depth=3
	v_cmp_ne_u16_e32 vcc, s70, v2
	v_bfrev_b32_e32 v16, 1
	s_and_saveexec_b64 s[34:35], vcc
	s_cbranch_execz .LBB4_4126
; %bb.4123:                             ;   in Loop: Header=BB4_3827 Depth=3
	v_and_b32_e32 v1, 0x7f, v42
	v_cmp_ne_u32_e32 vcc, s71, v1
	v_mov_b32_e32 v16, 0x7f800001
	s_and_saveexec_b64 s[36:37], vcc
	s_cbranch_execz .LBB4_4125
; %bb.4124:                             ;   in Loop: Header=BB4_3827 Depth=3
	s_waitcnt vmcnt(0)
	v_and_b32_e32 v5, 7, v2
	v_lshrrev_b32_e32 v6, 3, v1
	v_cmp_gt_u32_e32 vcc, 8, v1
	v_ffbh_u32_e32 v1, v5
	v_min_u32_e32 v16, 32, v1
	v_subrev_u32_e32 v1, 28, v16
	v_lshlrev_b64 v[1:2], v1, v[2:3]
	v_sub_u32_e32 v2, 29, v16
	v_and_b32_e32 v1, 7, v1
	v_cndmask_b32_e32 v2, v6, v2, vcc
	v_cndmask_b32_e32 v1, v5, v1, vcc
	v_lshlrev_b32_e32 v5, 24, v42
	v_lshlrev_b32_e32 v1, 20, v1
	v_and_b32_e32 v5, 0x80000000, v5
	v_lshl_add_u32 v2, v2, 23, v0
	v_or3_b32 v16, v5, v2, v1
	buffer_load_dword v5, off, s[0:3], s33 offset:68 ; 4-byte Folded Reload
.LBB4_4125:                             ;   in Loop: Header=BB4_3827 Depth=3
	s_or_b64 exec, exec, s[36:37]
.LBB4_4126:                             ;   in Loop: Header=BB4_3827 Depth=3
	s_or_b64 exec, exec, s[34:35]
.LBB4_4127:                             ;   in Loop: Header=BB4_3827 Depth=3
	s_or_b64 exec, exec, s[28:29]
	v_mul_f32_e32 v16, v17, v16
	v_and_b32_e32 v2, 0x7f800000, v16
	v_cmp_ne_u64_e32 vcc, s[62:63], v[2:3]
                                        ; implicit-def: $vgpr42
	s_and_saveexec_b64 s[28:29], vcc
	s_xor_b64 s[34:35], exec, s[28:29]
	s_cbranch_execz .LBB4_4145
; %bb.4128:                             ;   in Loop: Header=BB4_3827 Depth=3
	v_and_b32_e32 v2, 0x7fffffff, v16
	v_cmp_gt_u64_e32 vcc, s[72:73], v[2:3]
	v_and_b32_sdwa v20, v16, s70 dst_sel:DWORD dst_unused:UNUSED_PAD src0_sel:BYTE_3 src1_sel:DWORD
                                        ; implicit-def: $vgpr42
	s_and_saveexec_b64 s[28:29], vcc
	s_xor_b64 s[36:37], exec, s[28:29]
	s_cbranch_execz .LBB4_4142
; %bb.4129:                             ;   in Loop: Header=BB4_3827 Depth=3
	v_cmp_ne_u32_e32 vcc, 0, v16
	v_mov_b32_e32 v42, 0
	s_and_saveexec_b64 s[38:39], vcc
	s_cbranch_execz .LBB4_4141
; %bb.4130:                             ;   in Loop: Header=BB4_3827 Depth=3
	v_bfe_u32 v23, v16, 23, 8
	v_cmp_gt_u32_e64 s[28:29], s80, v23
	v_sub_u32_e32 v2, 0x79, v23
	v_and_b32_e32 v1, 0x7fffff, v16
	v_cmp_eq_u32_e32 vcc, 0, v23
	v_cndmask_b32_e64 v2, 0, v2, s[28:29]
	v_mov_b32_e32 v6, 0x78
	s_waitcnt vmcnt(0)
	v_or_b32_e32 v5, 0x800000, v1
	v_cndmask_b32_e32 v50, v2, v6, vcc
	v_cndmask_b32_e32 v2, v5, v1, vcc
	v_add_u32_e32 v1, 20, v50
	v_lshlrev_b64 v[5:6], v1, -1
	v_add_u32_e32 v1, 19, v50
	v_lshlrev_b64 v[16:17], v1, 1
	v_bfi_b32 v6, v6, 0, 0
	v_bfi_b32 v5, v5, 0, v2
	v_cmp_eq_u64_e64 s[28:29], v[5:6], v[16:17]
	v_lshrrev_b64 v[16:17], v50, v[2:3]
	v_mov_b32_e32 v18, v17
	v_mov_b32_e32 v17, v16
	s_and_saveexec_b64 s[48:49], s[28:29]
; %bb.4131:                             ;   in Loop: Header=BB4_3827 Depth=3
	v_bfe_u32 v1, v16, 20, 1
	v_add_co_u32_e64 v1, s[28:29], v16, v1
	v_add_co_u32_e64 v17, s[28:29], -1, v1
; %bb.4132:                             ;   in Loop: Header=BB4_3827 Depth=3
	s_or_b64 exec, exec, s[48:49]
	v_add_u32_e32 v1, 0xffffff81, v23
	v_mov_b32_e32 v2, 0xffffff82
	v_cndmask_b32_e32 v1, v1, v2, vcc
	v_lshrrev_b32_e32 v2, 23, v16
	v_add3_u32 v23, v50, v1, v2
	v_add_u32_e32 v1, 6, v23
	v_and_b32_e32 v2, 0xfffff, v17
	v_add_u32_e32 v2, v2, v16
	v_cmp_ne_u32_e32 vcc, 0, v1
                                        ; implicit-def: $vgpr16_vgpr17
                                        ; implicit-def: $vgpr18
	s_and_saveexec_b64 s[28:29], vcc
	s_xor_b64 s[28:29], exec, s[28:29]
; %bb.4133:                             ;   in Loop: Header=BB4_3827 Depth=3
	v_cmp_lt_u64_e32 vcc, s[88:89], v[2:3]
	v_add_u32_e32 v5, 7, v23
	v_cndmask_b32_e32 v18, v1, v5, vcc
	v_cndmask_b32_e64 v1, 0, 1, vcc
	v_lshrrev_b64 v[16:17], v1, v[2:3]
; %bb.4134:                             ;   in Loop: Header=BB4_3827 Depth=3
	s_andn2_saveexec_b64 s[28:29], s[28:29]
; %bb.4135:                             ;   in Loop: Header=BB4_3827 Depth=3
	v_mov_b32_e32 v17, v3
	v_bfe_u32 v18, v2, 23, 1
	v_mov_b32_e32 v16, v2
; %bb.4136:                             ;   in Loop: Header=BB4_3827 Depth=3
	s_or_b64 exec, exec, s[28:29]
	v_lshrrev_b64 v[1:2], 20, v[16:17]
	v_cmp_gt_i32_e32 vcc, 16, v18
	v_cndmask_b32_e32 v17, 0, v2, vcc
	v_cndmask_b32_e32 v16, 7, v1, vcc
	v_cmp_ne_u64_e32 vcc, 0, v[16:17]
	v_cmp_ne_u32_e64 s[28:29], 0, v18
	s_or_b64 s[28:29], s[28:29], vcc
                                        ; implicit-def: $vgpr42
	s_mov_b64 s[44:45], exec
	buffer_load_dword v5, off, s[0:3], s33 offset:68 ; 4-byte Folded Reload
	s_and_b64 vcc, s[44:45], s[28:29]
	s_xor_b64 s[28:29], vcc, s[44:45]
	s_mov_b64 exec, vcc
; %bb.4137:                             ;   in Loop: Header=BB4_3827 Depth=3
	v_min_i32_e32 v1, 15, v18
	v_lshl_or_b32 v1, v1, 3, v20
	v_and_or_b32 v42, v16, 7, v1
                                        ; implicit-def: $vgpr20
; %bb.4138:                             ;   in Loop: Header=BB4_3827 Depth=3
	s_andn2_saveexec_b64 s[28:29], s[28:29]
; %bb.4139:                             ;   in Loop: Header=BB4_3827 Depth=3
	v_mov_b32_e32 v42, v20
; %bb.4140:                             ;   in Loop: Header=BB4_3827 Depth=3
	s_or_b64 exec, exec, s[28:29]
.LBB4_4141:                             ;   in Loop: Header=BB4_3827 Depth=3
	s_or_b64 exec, exec, s[38:39]
                                        ; implicit-def: $vgpr20
.LBB4_4142:                             ;   in Loop: Header=BB4_3827 Depth=3
	s_andn2_saveexec_b64 s[28:29], s[36:37]
; %bb.4143:                             ;   in Loop: Header=BB4_3827 Depth=3
	v_or_b32_e32 v42, 0x7e, v20
; %bb.4144:                             ;   in Loop: Header=BB4_3827 Depth=3
	s_or_b64 exec, exec, s[28:29]
                                        ; implicit-def: $vgpr16
.LBB4_4145:                             ;   in Loop: Header=BB4_3827 Depth=3
	s_andn2_saveexec_b64 s[28:29], s[34:35]
; %bb.4146:                             ;   in Loop: Header=BB4_3827 Depth=3
	v_or_b32_sdwa v42, v16, s71 dst_sel:DWORD dst_unused:UNUSED_PAD src0_sel:BYTE_3 src1_sel:DWORD
; %bb.4147:                             ;   in Loop: Header=BB4_3827 Depth=3
	s_or_b64 exec, exec, s[28:29]
	v_and_b32_e32 v2, 0xff, v55
	v_cmp_ne_u16_e32 vcc, 0, v2
	v_mov_b32_e32 v16, 0
	v_mov_b32_e32 v17, 0
	s_and_saveexec_b64 s[28:29], vcc
	s_cbranch_execz .LBB4_4153
; %bb.4148:                             ;   in Loop: Header=BB4_3827 Depth=3
	v_cmp_ne_u16_e32 vcc, s70, v2
	v_bfrev_b32_e32 v17, 1
	s_and_saveexec_b64 s[34:35], vcc
	s_cbranch_execz .LBB4_4152
; %bb.4149:                             ;   in Loop: Header=BB4_3827 Depth=3
	v_and_b32_e32 v1, 0x7f, v55
	v_cmp_ne_u32_e32 vcc, s71, v1
	v_mov_b32_e32 v17, 0x7f800001
	s_and_saveexec_b64 s[36:37], vcc
	s_cbranch_execz .LBB4_4151
; %bb.4150:                             ;   in Loop: Header=BB4_3827 Depth=3
	s_waitcnt vmcnt(0)
	v_and_b32_e32 v5, 7, v2
	v_lshrrev_b32_e32 v6, 3, v1
	v_cmp_gt_u32_e32 vcc, 8, v1
	v_ffbh_u32_e32 v1, v5
	v_min_u32_e32 v17, 32, v1
	v_subrev_u32_e32 v1, 28, v17
	v_lshlrev_b64 v[1:2], v1, v[2:3]
	v_sub_u32_e32 v2, 29, v17
	v_and_b32_e32 v1, 7, v1
	v_cndmask_b32_e32 v2, v6, v2, vcc
	v_cndmask_b32_e32 v1, v5, v1, vcc
	v_lshlrev_b32_e32 v5, 24, v55
	v_lshlrev_b32_e32 v1, 20, v1
	v_and_b32_e32 v5, 0x80000000, v5
	v_lshl_add_u32 v2, v2, 23, v0
	v_or3_b32 v17, v5, v2, v1
	buffer_load_dword v5, off, s[0:3], s33 offset:68 ; 4-byte Folded Reload
.LBB4_4151:                             ;   in Loop: Header=BB4_3827 Depth=3
	s_or_b64 exec, exec, s[36:37]
.LBB4_4152:                             ;   in Loop: Header=BB4_3827 Depth=3
	s_or_b64 exec, exec, s[34:35]
.LBB4_4153:                             ;   in Loop: Header=BB4_3827 Depth=3
	s_or_b64 exec, exec, s[28:29]
	v_and_b32_e32 v2, 0xff, v53
	v_cmp_ne_u16_e32 vcc, 0, v2
	s_and_saveexec_b64 s[28:29], vcc
	s_cbranch_execz .LBB4_4159
; %bb.4154:                             ;   in Loop: Header=BB4_3827 Depth=3
	v_cmp_ne_u16_e32 vcc, s70, v2
	v_bfrev_b32_e32 v16, 1
	s_and_saveexec_b64 s[34:35], vcc
	s_cbranch_execz .LBB4_4158
; %bb.4155:                             ;   in Loop: Header=BB4_3827 Depth=3
	v_and_b32_e32 v1, 0x7f, v53
	v_cmp_ne_u32_e32 vcc, s71, v1
	v_mov_b32_e32 v16, 0x7f800001
	s_and_saveexec_b64 s[36:37], vcc
	s_cbranch_execz .LBB4_4157
; %bb.4156:                             ;   in Loop: Header=BB4_3827 Depth=3
	s_waitcnt vmcnt(0)
	v_and_b32_e32 v5, 7, v2
	v_lshrrev_b32_e32 v6, 3, v1
	v_cmp_gt_u32_e32 vcc, 8, v1
	v_ffbh_u32_e32 v1, v5
	v_min_u32_e32 v16, 32, v1
	v_subrev_u32_e32 v1, 28, v16
	v_lshlrev_b64 v[1:2], v1, v[2:3]
	v_sub_u32_e32 v2, 29, v16
	v_and_b32_e32 v1, 7, v1
	v_cndmask_b32_e32 v2, v6, v2, vcc
	v_cndmask_b32_e32 v1, v5, v1, vcc
	v_lshlrev_b32_e32 v5, 24, v53
	v_lshlrev_b32_e32 v1, 20, v1
	v_and_b32_e32 v5, 0x80000000, v5
	v_lshl_add_u32 v2, v2, 23, v0
	v_or3_b32 v16, v5, v2, v1
	buffer_load_dword v5, off, s[0:3], s33 offset:68 ; 4-byte Folded Reload
.LBB4_4157:                             ;   in Loop: Header=BB4_3827 Depth=3
	s_or_b64 exec, exec, s[36:37]
.LBB4_4158:                             ;   in Loop: Header=BB4_3827 Depth=3
	s_or_b64 exec, exec, s[34:35]
.LBB4_4159:                             ;   in Loop: Header=BB4_3827 Depth=3
	s_or_b64 exec, exec, s[28:29]
	v_mul_f32_e32 v16, v17, v16
	v_and_b32_e32 v2, 0x7f800000, v16
	v_cmp_ne_u64_e32 vcc, s[62:63], v[2:3]
                                        ; implicit-def: $vgpr53
	s_and_saveexec_b64 s[28:29], vcc
	s_xor_b64 s[34:35], exec, s[28:29]
	s_cbranch_execz .LBB4_4177
; %bb.4160:                             ;   in Loop: Header=BB4_3827 Depth=3
	v_and_b32_e32 v2, 0x7fffffff, v16
	v_cmp_gt_u64_e32 vcc, s[72:73], v[2:3]
	v_and_b32_sdwa v20, v16, s70 dst_sel:DWORD dst_unused:UNUSED_PAD src0_sel:BYTE_3 src1_sel:DWORD
                                        ; implicit-def: $vgpr53
	s_and_saveexec_b64 s[28:29], vcc
	s_xor_b64 s[36:37], exec, s[28:29]
	s_cbranch_execz .LBB4_4174
; %bb.4161:                             ;   in Loop: Header=BB4_3827 Depth=3
	v_cmp_ne_u32_e32 vcc, 0, v16
	v_mov_b32_e32 v53, 0
	s_and_saveexec_b64 s[38:39], vcc
	s_cbranch_execz .LBB4_4173
; %bb.4162:                             ;   in Loop: Header=BB4_3827 Depth=3
	v_bfe_u32 v23, v16, 23, 8
	v_cmp_gt_u32_e64 s[28:29], s80, v23
	v_sub_u32_e32 v2, 0x79, v23
	v_and_b32_e32 v1, 0x7fffff, v16
	v_cmp_eq_u32_e32 vcc, 0, v23
	v_cndmask_b32_e64 v2, 0, v2, s[28:29]
	v_mov_b32_e32 v6, 0x78
	s_waitcnt vmcnt(0)
	v_or_b32_e32 v5, 0x800000, v1
	v_cndmask_b32_e32 v50, v2, v6, vcc
	v_cndmask_b32_e32 v2, v5, v1, vcc
	v_add_u32_e32 v1, 20, v50
	v_lshlrev_b64 v[5:6], v1, -1
	v_add_u32_e32 v1, 19, v50
	v_lshlrev_b64 v[16:17], v1, 1
	v_bfi_b32 v6, v6, 0, 0
	v_bfi_b32 v5, v5, 0, v2
	v_cmp_eq_u64_e64 s[28:29], v[5:6], v[16:17]
	v_lshrrev_b64 v[16:17], v50, v[2:3]
	v_mov_b32_e32 v18, v17
	v_mov_b32_e32 v17, v16
	s_and_saveexec_b64 s[48:49], s[28:29]
; %bb.4163:                             ;   in Loop: Header=BB4_3827 Depth=3
	v_bfe_u32 v1, v16, 20, 1
	v_add_co_u32_e64 v1, s[28:29], v16, v1
	v_add_co_u32_e64 v17, s[28:29], -1, v1
; %bb.4164:                             ;   in Loop: Header=BB4_3827 Depth=3
	s_or_b64 exec, exec, s[48:49]
	v_add_u32_e32 v1, 0xffffff81, v23
	v_mov_b32_e32 v2, 0xffffff82
	v_cndmask_b32_e32 v1, v1, v2, vcc
	v_lshrrev_b32_e32 v2, 23, v16
	v_add3_u32 v23, v50, v1, v2
	v_add_u32_e32 v1, 6, v23
	v_and_b32_e32 v2, 0xfffff, v17
	v_add_u32_e32 v2, v2, v16
	v_cmp_ne_u32_e32 vcc, 0, v1
                                        ; implicit-def: $vgpr16_vgpr17
                                        ; implicit-def: $vgpr18
	s_and_saveexec_b64 s[28:29], vcc
	s_xor_b64 s[28:29], exec, s[28:29]
; %bb.4165:                             ;   in Loop: Header=BB4_3827 Depth=3
	v_cmp_lt_u64_e32 vcc, s[88:89], v[2:3]
	v_add_u32_e32 v5, 7, v23
	v_cndmask_b32_e32 v18, v1, v5, vcc
	v_cndmask_b32_e64 v1, 0, 1, vcc
	v_lshrrev_b64 v[16:17], v1, v[2:3]
; %bb.4166:                             ;   in Loop: Header=BB4_3827 Depth=3
	s_andn2_saveexec_b64 s[28:29], s[28:29]
; %bb.4167:                             ;   in Loop: Header=BB4_3827 Depth=3
	v_mov_b32_e32 v17, v3
	v_bfe_u32 v18, v2, 23, 1
	v_mov_b32_e32 v16, v2
; %bb.4168:                             ;   in Loop: Header=BB4_3827 Depth=3
	s_or_b64 exec, exec, s[28:29]
	v_lshrrev_b64 v[1:2], 20, v[16:17]
	v_cmp_gt_i32_e32 vcc, 16, v18
	v_cndmask_b32_e32 v17, 0, v2, vcc
	v_cndmask_b32_e32 v16, 7, v1, vcc
	v_cmp_ne_u64_e32 vcc, 0, v[16:17]
	v_cmp_ne_u32_e64 s[28:29], 0, v18
	s_or_b64 s[28:29], s[28:29], vcc
                                        ; implicit-def: $vgpr53
	s_mov_b64 s[44:45], exec
	buffer_load_dword v5, off, s[0:3], s33 offset:68 ; 4-byte Folded Reload
	s_and_b64 vcc, s[44:45], s[28:29]
	s_xor_b64 s[28:29], vcc, s[44:45]
	s_mov_b64 exec, vcc
; %bb.4169:                             ;   in Loop: Header=BB4_3827 Depth=3
	v_min_i32_e32 v1, 15, v18
	v_lshl_or_b32 v1, v1, 3, v20
	v_and_or_b32 v53, v16, 7, v1
                                        ; implicit-def: $vgpr20
; %bb.4170:                             ;   in Loop: Header=BB4_3827 Depth=3
	s_andn2_saveexec_b64 s[28:29], s[28:29]
; %bb.4171:                             ;   in Loop: Header=BB4_3827 Depth=3
	v_mov_b32_e32 v53, v20
; %bb.4172:                             ;   in Loop: Header=BB4_3827 Depth=3
	s_or_b64 exec, exec, s[28:29]
.LBB4_4173:                             ;   in Loop: Header=BB4_3827 Depth=3
	s_or_b64 exec, exec, s[38:39]
                                        ; implicit-def: $vgpr20
.LBB4_4174:                             ;   in Loop: Header=BB4_3827 Depth=3
	s_andn2_saveexec_b64 s[28:29], s[36:37]
; %bb.4175:                             ;   in Loop: Header=BB4_3827 Depth=3
	v_or_b32_e32 v53, 0x7e, v20
; %bb.4176:                             ;   in Loop: Header=BB4_3827 Depth=3
	s_or_b64 exec, exec, s[28:29]
                                        ; implicit-def: $vgpr16
.LBB4_4177:                             ;   in Loop: Header=BB4_3827 Depth=3
	s_andn2_saveexec_b64 s[28:29], s[34:35]
; %bb.4178:                             ;   in Loop: Header=BB4_3827 Depth=3
	v_or_b32_sdwa v53, v16, s71 dst_sel:DWORD dst_unused:UNUSED_PAD src0_sel:BYTE_3 src1_sel:DWORD
; %bb.4179:                             ;   in Loop: Header=BB4_3827 Depth=3
	s_or_b64 exec, exec, s[28:29]
	v_and_b32_e32 v2, 0xff, v52
	v_cmp_ne_u16_e32 vcc, 0, v2
	v_mov_b32_e32 v16, 0
	v_mov_b32_e32 v17, 0
	s_and_saveexec_b64 s[28:29], vcc
	s_cbranch_execz .LBB4_4185
; %bb.4180:                             ;   in Loop: Header=BB4_3827 Depth=3
	v_cmp_ne_u16_e32 vcc, s70, v2
	v_bfrev_b32_e32 v17, 1
	s_and_saveexec_b64 s[34:35], vcc
	s_cbranch_execz .LBB4_4184
; %bb.4181:                             ;   in Loop: Header=BB4_3827 Depth=3
	v_and_b32_e32 v1, 0x7f, v52
	v_cmp_ne_u32_e32 vcc, s71, v1
	v_mov_b32_e32 v17, 0x7f800001
	s_and_saveexec_b64 s[36:37], vcc
	s_cbranch_execz .LBB4_4183
; %bb.4182:                             ;   in Loop: Header=BB4_3827 Depth=3
	s_waitcnt vmcnt(0)
	v_and_b32_e32 v5, 7, v2
	v_lshrrev_b32_e32 v6, 3, v1
	v_cmp_gt_u32_e32 vcc, 8, v1
	v_ffbh_u32_e32 v1, v5
	v_min_u32_e32 v17, 32, v1
	v_subrev_u32_e32 v1, 28, v17
	v_lshlrev_b64 v[1:2], v1, v[2:3]
	v_sub_u32_e32 v2, 29, v17
	v_and_b32_e32 v1, 7, v1
	v_cndmask_b32_e32 v2, v6, v2, vcc
	v_cndmask_b32_e32 v1, v5, v1, vcc
	v_lshlrev_b32_e32 v5, 24, v52
	v_lshlrev_b32_e32 v1, 20, v1
	v_and_b32_e32 v5, 0x80000000, v5
	v_lshl_add_u32 v2, v2, 23, v0
	v_or3_b32 v17, v5, v2, v1
	buffer_load_dword v5, off, s[0:3], s33 offset:68 ; 4-byte Folded Reload
.LBB4_4183:                             ;   in Loop: Header=BB4_3827 Depth=3
	s_or_b64 exec, exec, s[36:37]
.LBB4_4184:                             ;   in Loop: Header=BB4_3827 Depth=3
	s_or_b64 exec, exec, s[34:35]
.LBB4_4185:                             ;   in Loop: Header=BB4_3827 Depth=3
	s_or_b64 exec, exec, s[28:29]
	v_and_b32_e32 v2, 0xff, v36
	v_cmp_ne_u16_e32 vcc, 0, v2
	s_and_saveexec_b64 s[28:29], vcc
	s_cbranch_execz .LBB4_4191
; %bb.4186:                             ;   in Loop: Header=BB4_3827 Depth=3
	v_cmp_ne_u16_e32 vcc, s70, v2
	v_bfrev_b32_e32 v16, 1
	s_and_saveexec_b64 s[34:35], vcc
	s_cbranch_execz .LBB4_4190
; %bb.4187:                             ;   in Loop: Header=BB4_3827 Depth=3
	v_and_b32_e32 v1, 0x7f, v36
	v_cmp_ne_u32_e32 vcc, s71, v1
	v_mov_b32_e32 v16, 0x7f800001
	s_and_saveexec_b64 s[36:37], vcc
	s_cbranch_execz .LBB4_4189
; %bb.4188:                             ;   in Loop: Header=BB4_3827 Depth=3
	s_waitcnt vmcnt(0)
	v_and_b32_e32 v5, 7, v2
	v_lshrrev_b32_e32 v6, 3, v1
	v_cmp_gt_u32_e32 vcc, 8, v1
	v_ffbh_u32_e32 v1, v5
	v_min_u32_e32 v16, 32, v1
	v_subrev_u32_e32 v1, 28, v16
	v_lshlrev_b64 v[1:2], v1, v[2:3]
	v_sub_u32_e32 v2, 29, v16
	v_and_b32_e32 v1, 7, v1
	v_cndmask_b32_e32 v2, v6, v2, vcc
	v_cndmask_b32_e32 v1, v5, v1, vcc
	v_lshlrev_b32_e32 v5, 24, v36
	v_lshlrev_b32_e32 v1, 20, v1
	v_and_b32_e32 v5, 0x80000000, v5
	v_lshl_add_u32 v2, v2, 23, v0
	v_or3_b32 v16, v5, v2, v1
	buffer_load_dword v5, off, s[0:3], s33 offset:68 ; 4-byte Folded Reload
.LBB4_4189:                             ;   in Loop: Header=BB4_3827 Depth=3
	s_or_b64 exec, exec, s[36:37]
.LBB4_4190:                             ;   in Loop: Header=BB4_3827 Depth=3
	s_or_b64 exec, exec, s[34:35]
.LBB4_4191:                             ;   in Loop: Header=BB4_3827 Depth=3
	s_or_b64 exec, exec, s[28:29]
	v_mul_f32_e32 v16, v17, v16
	v_and_b32_e32 v2, 0x7f800000, v16
	v_cmp_ne_u64_e32 vcc, s[62:63], v[2:3]
                                        ; implicit-def: $vgpr20
	s_and_saveexec_b64 s[28:29], vcc
	s_xor_b64 s[34:35], exec, s[28:29]
	s_cbranch_execz .LBB4_4209
; %bb.4192:                             ;   in Loop: Header=BB4_3827 Depth=3
	v_and_b32_e32 v2, 0x7fffffff, v16
	v_cmp_gt_u64_e32 vcc, s[72:73], v[2:3]
	v_and_b32_sdwa v23, v16, s70 dst_sel:DWORD dst_unused:UNUSED_PAD src0_sel:BYTE_3 src1_sel:DWORD
                                        ; implicit-def: $vgpr20
	s_and_saveexec_b64 s[28:29], vcc
	s_xor_b64 s[36:37], exec, s[28:29]
	s_cbranch_execz .LBB4_4206
; %bb.4193:                             ;   in Loop: Header=BB4_3827 Depth=3
	v_cmp_ne_u32_e32 vcc, 0, v16
	v_mov_b32_e32 v20, 0
	s_and_saveexec_b64 s[38:39], vcc
	s_cbranch_execz .LBB4_4205
; %bb.4194:                             ;   in Loop: Header=BB4_3827 Depth=3
	v_bfe_u32 v20, v16, 23, 8
	v_cmp_gt_u32_e64 s[28:29], s80, v20
	v_sub_u32_e32 v2, 0x79, v20
	v_and_b32_e32 v1, 0x7fffff, v16
	v_cmp_eq_u32_e32 vcc, 0, v20
	v_cndmask_b32_e64 v2, 0, v2, s[28:29]
	v_mov_b32_e32 v6, 0x78
	s_waitcnt vmcnt(0)
	v_or_b32_e32 v5, 0x800000, v1
	v_cndmask_b32_e32 v36, v2, v6, vcc
	v_cndmask_b32_e32 v2, v5, v1, vcc
	v_add_u32_e32 v1, 20, v36
	v_lshlrev_b64 v[5:6], v1, -1
	v_add_u32_e32 v1, 19, v36
	v_lshlrev_b64 v[16:17], v1, 1
	v_bfi_b32 v6, v6, 0, 0
	v_bfi_b32 v5, v5, 0, v2
	v_cmp_eq_u64_e64 s[28:29], v[5:6], v[16:17]
	v_lshrrev_b64 v[16:17], v36, v[2:3]
	v_mov_b32_e32 v18, v17
	v_mov_b32_e32 v17, v16
	s_and_saveexec_b64 s[48:49], s[28:29]
; %bb.4195:                             ;   in Loop: Header=BB4_3827 Depth=3
	v_bfe_u32 v1, v16, 20, 1
	v_add_co_u32_e64 v1, s[28:29], v16, v1
	v_add_co_u32_e64 v17, s[28:29], -1, v1
; %bb.4196:                             ;   in Loop: Header=BB4_3827 Depth=3
	s_or_b64 exec, exec, s[48:49]
	v_add_u32_e32 v1, 0xffffff81, v20
	v_mov_b32_e32 v2, 0xffffff82
	v_cndmask_b32_e32 v1, v1, v2, vcc
	v_lshrrev_b32_e32 v2, 23, v16
	v_add3_u32 v20, v36, v1, v2
	v_add_u32_e32 v1, 6, v20
	v_and_b32_e32 v2, 0xfffff, v17
	v_add_u32_e32 v2, v2, v16
	v_cmp_ne_u32_e32 vcc, 0, v1
                                        ; implicit-def: $vgpr16_vgpr17
                                        ; implicit-def: $vgpr18
	s_and_saveexec_b64 s[28:29], vcc
	s_xor_b64 s[28:29], exec, s[28:29]
; %bb.4197:                             ;   in Loop: Header=BB4_3827 Depth=3
	v_cmp_lt_u64_e32 vcc, s[88:89], v[2:3]
	v_add_u32_e32 v5, 7, v20
	v_cndmask_b32_e32 v18, v1, v5, vcc
	v_cndmask_b32_e64 v1, 0, 1, vcc
	v_lshrrev_b64 v[16:17], v1, v[2:3]
; %bb.4198:                             ;   in Loop: Header=BB4_3827 Depth=3
	s_andn2_saveexec_b64 s[28:29], s[28:29]
; %bb.4199:                             ;   in Loop: Header=BB4_3827 Depth=3
	v_mov_b32_e32 v17, v3
	v_bfe_u32 v18, v2, 23, 1
	v_mov_b32_e32 v16, v2
; %bb.4200:                             ;   in Loop: Header=BB4_3827 Depth=3
	s_or_b64 exec, exec, s[28:29]
	v_lshrrev_b64 v[1:2], 20, v[16:17]
	v_cmp_gt_i32_e32 vcc, 16, v18
	v_cndmask_b32_e32 v17, 0, v2, vcc
	v_cndmask_b32_e32 v16, 7, v1, vcc
	v_cmp_ne_u64_e32 vcc, 0, v[16:17]
	v_cmp_ne_u32_e64 s[28:29], 0, v18
	s_or_b64 s[28:29], s[28:29], vcc
                                        ; implicit-def: $vgpr20
	s_mov_b64 s[44:45], exec
	buffer_load_dword v5, off, s[0:3], s33 offset:68 ; 4-byte Folded Reload
	s_and_b64 vcc, s[44:45], s[28:29]
	s_xor_b64 s[28:29], vcc, s[44:45]
	s_mov_b64 exec, vcc
; %bb.4201:                             ;   in Loop: Header=BB4_3827 Depth=3
	v_min_i32_e32 v1, 15, v18
	v_lshl_or_b32 v1, v1, 3, v23
	v_and_or_b32 v20, v16, 7, v1
                                        ; implicit-def: $vgpr23
; %bb.4202:                             ;   in Loop: Header=BB4_3827 Depth=3
	s_andn2_saveexec_b64 s[28:29], s[28:29]
; %bb.4203:                             ;   in Loop: Header=BB4_3827 Depth=3
	v_mov_b32_e32 v20, v23
; %bb.4204:                             ;   in Loop: Header=BB4_3827 Depth=3
	s_or_b64 exec, exec, s[28:29]
.LBB4_4205:                             ;   in Loop: Header=BB4_3827 Depth=3
	s_or_b64 exec, exec, s[38:39]
                                        ; implicit-def: $vgpr23
.LBB4_4206:                             ;   in Loop: Header=BB4_3827 Depth=3
	s_andn2_saveexec_b64 s[28:29], s[36:37]
; %bb.4207:                             ;   in Loop: Header=BB4_3827 Depth=3
	v_or_b32_e32 v20, 0x7e, v23
; %bb.4208:                             ;   in Loop: Header=BB4_3827 Depth=3
	s_or_b64 exec, exec, s[28:29]
                                        ; implicit-def: $vgpr16
.LBB4_4209:                             ;   in Loop: Header=BB4_3827 Depth=3
	s_andn2_saveexec_b64 s[28:29], s[34:35]
; %bb.4210:                             ;   in Loop: Header=BB4_3827 Depth=3
	v_or_b32_sdwa v20, v16, s71 dst_sel:DWORD dst_unused:UNUSED_PAD src0_sel:BYTE_3 src1_sel:DWORD
; %bb.4211:                             ;   in Loop: Header=BB4_3827 Depth=3
	s_or_b64 exec, exec, s[28:29]
	v_and_b32_e32 v2, 0xff, v35
	v_cmp_ne_u16_e32 vcc, 0, v2
	v_mov_b32_e32 v16, 0
	v_mov_b32_e32 v17, 0
	s_and_saveexec_b64 s[28:29], vcc
	s_cbranch_execz .LBB4_4217
; %bb.4212:                             ;   in Loop: Header=BB4_3827 Depth=3
	v_cmp_ne_u16_e32 vcc, s70, v2
	v_bfrev_b32_e32 v17, 1
	s_and_saveexec_b64 s[34:35], vcc
	s_cbranch_execz .LBB4_4216
; %bb.4213:                             ;   in Loop: Header=BB4_3827 Depth=3
	v_and_b32_e32 v1, 0x7f, v35
	v_cmp_ne_u32_e32 vcc, s71, v1
	v_mov_b32_e32 v17, 0x7f800001
	s_and_saveexec_b64 s[36:37], vcc
	s_cbranch_execz .LBB4_4215
; %bb.4214:                             ;   in Loop: Header=BB4_3827 Depth=3
	s_waitcnt vmcnt(0)
	v_and_b32_e32 v5, 7, v2
	v_lshrrev_b32_e32 v6, 3, v1
	v_cmp_gt_u32_e32 vcc, 8, v1
	v_ffbh_u32_e32 v1, v5
	v_min_u32_e32 v17, 32, v1
	v_subrev_u32_e32 v1, 28, v17
	v_lshlrev_b64 v[1:2], v1, v[2:3]
	v_sub_u32_e32 v2, 29, v17
	v_and_b32_e32 v1, 7, v1
	v_cndmask_b32_e32 v2, v6, v2, vcc
	v_cndmask_b32_e32 v1, v5, v1, vcc
	v_lshlrev_b32_e32 v5, 24, v35
	v_lshlrev_b32_e32 v1, 20, v1
	v_and_b32_e32 v5, 0x80000000, v5
	v_lshl_add_u32 v2, v2, 23, v0
	v_or3_b32 v17, v5, v2, v1
	buffer_load_dword v5, off, s[0:3], s33 offset:68 ; 4-byte Folded Reload
.LBB4_4215:                             ;   in Loop: Header=BB4_3827 Depth=3
	s_or_b64 exec, exec, s[36:37]
.LBB4_4216:                             ;   in Loop: Header=BB4_3827 Depth=3
	s_or_b64 exec, exec, s[34:35]
.LBB4_4217:                             ;   in Loop: Header=BB4_3827 Depth=3
	s_or_b64 exec, exec, s[28:29]
	v_and_b32_e32 v2, 0xff, v31
	v_cmp_ne_u16_e32 vcc, 0, v2
	s_and_saveexec_b64 s[28:29], vcc
	s_cbranch_execz .LBB4_4223
; %bb.4218:                             ;   in Loop: Header=BB4_3827 Depth=3
	v_cmp_ne_u16_e32 vcc, s70, v2
	v_bfrev_b32_e32 v16, 1
	s_and_saveexec_b64 s[34:35], vcc
	s_cbranch_execz .LBB4_4222
; %bb.4219:                             ;   in Loop: Header=BB4_3827 Depth=3
	v_and_b32_e32 v1, 0x7f, v31
	v_cmp_ne_u32_e32 vcc, s71, v1
	v_mov_b32_e32 v16, 0x7f800001
	s_and_saveexec_b64 s[36:37], vcc
	s_cbranch_execz .LBB4_4221
; %bb.4220:                             ;   in Loop: Header=BB4_3827 Depth=3
	s_waitcnt vmcnt(0)
	v_and_b32_e32 v5, 7, v2
	v_lshrrev_b32_e32 v6, 3, v1
	v_cmp_gt_u32_e32 vcc, 8, v1
	v_ffbh_u32_e32 v1, v5
	v_min_u32_e32 v16, 32, v1
	v_subrev_u32_e32 v1, 28, v16
	v_lshlrev_b64 v[1:2], v1, v[2:3]
	v_sub_u32_e32 v2, 29, v16
	v_and_b32_e32 v1, 7, v1
	v_cndmask_b32_e32 v2, v6, v2, vcc
	v_cndmask_b32_e32 v1, v5, v1, vcc
	v_lshlrev_b32_e32 v5, 24, v31
	v_lshlrev_b32_e32 v1, 20, v1
	v_and_b32_e32 v5, 0x80000000, v5
	v_lshl_add_u32 v2, v2, 23, v0
	v_or3_b32 v16, v5, v2, v1
	buffer_load_dword v5, off, s[0:3], s33 offset:68 ; 4-byte Folded Reload
.LBB4_4221:                             ;   in Loop: Header=BB4_3827 Depth=3
	s_or_b64 exec, exec, s[36:37]
.LBB4_4222:                             ;   in Loop: Header=BB4_3827 Depth=3
	s_or_b64 exec, exec, s[34:35]
.LBB4_4223:                             ;   in Loop: Header=BB4_3827 Depth=3
	s_or_b64 exec, exec, s[28:29]
	v_mul_f32_e32 v16, v17, v16
	v_and_b32_e32 v2, 0x7f800000, v16
	v_cmp_ne_u64_e32 vcc, s[62:63], v[2:3]
                                        ; implicit-def: $vgpr31
	s_and_saveexec_b64 s[28:29], vcc
	s_xor_b64 s[34:35], exec, s[28:29]
	s_cbranch_execz .LBB4_4241
; %bb.4224:                             ;   in Loop: Header=BB4_3827 Depth=3
	v_and_b32_e32 v2, 0x7fffffff, v16
	v_cmp_gt_u64_e32 vcc, s[72:73], v[2:3]
	v_and_b32_sdwa v23, v16, s70 dst_sel:DWORD dst_unused:UNUSED_PAD src0_sel:BYTE_3 src1_sel:DWORD
                                        ; implicit-def: $vgpr31
	s_and_saveexec_b64 s[28:29], vcc
	s_xor_b64 s[36:37], exec, s[28:29]
	s_cbranch_execz .LBB4_4238
; %bb.4225:                             ;   in Loop: Header=BB4_3827 Depth=3
	v_cmp_ne_u32_e32 vcc, 0, v16
	v_mov_b32_e32 v31, 0
	s_and_saveexec_b64 s[38:39], vcc
	s_cbranch_execz .LBB4_4237
; %bb.4226:                             ;   in Loop: Header=BB4_3827 Depth=3
	v_bfe_u32 v31, v16, 23, 8
	v_cmp_gt_u32_e64 s[28:29], s80, v31
	v_sub_u32_e32 v2, 0x79, v31
	v_and_b32_e32 v1, 0x7fffff, v16
	v_cmp_eq_u32_e32 vcc, 0, v31
	v_cndmask_b32_e64 v2, 0, v2, s[28:29]
	v_mov_b32_e32 v6, 0x78
	s_waitcnt vmcnt(0)
	v_or_b32_e32 v5, 0x800000, v1
	v_cndmask_b32_e32 v35, v2, v6, vcc
	v_cndmask_b32_e32 v2, v5, v1, vcc
	v_add_u32_e32 v1, 20, v35
	v_lshlrev_b64 v[5:6], v1, -1
	v_add_u32_e32 v1, 19, v35
	v_lshlrev_b64 v[16:17], v1, 1
	v_bfi_b32 v6, v6, 0, 0
	v_bfi_b32 v5, v5, 0, v2
	v_cmp_eq_u64_e64 s[28:29], v[5:6], v[16:17]
	v_lshrrev_b64 v[16:17], v35, v[2:3]
	v_mov_b32_e32 v18, v17
	v_mov_b32_e32 v17, v16
	s_and_saveexec_b64 s[48:49], s[28:29]
; %bb.4227:                             ;   in Loop: Header=BB4_3827 Depth=3
	v_bfe_u32 v1, v16, 20, 1
	v_add_co_u32_e64 v1, s[28:29], v16, v1
	v_add_co_u32_e64 v17, s[28:29], -1, v1
; %bb.4228:                             ;   in Loop: Header=BB4_3827 Depth=3
	s_or_b64 exec, exec, s[48:49]
	v_add_u32_e32 v1, 0xffffff81, v31
	v_mov_b32_e32 v2, 0xffffff82
	v_cndmask_b32_e32 v1, v1, v2, vcc
	v_lshrrev_b32_e32 v2, 23, v16
	v_add3_u32 v31, v35, v1, v2
	v_add_u32_e32 v1, 6, v31
	v_and_b32_e32 v2, 0xfffff, v17
	v_add_u32_e32 v2, v2, v16
	v_cmp_ne_u32_e32 vcc, 0, v1
                                        ; implicit-def: $vgpr16_vgpr17
                                        ; implicit-def: $vgpr18
	s_and_saveexec_b64 s[28:29], vcc
	s_xor_b64 s[28:29], exec, s[28:29]
; %bb.4229:                             ;   in Loop: Header=BB4_3827 Depth=3
	v_cmp_lt_u64_e32 vcc, s[88:89], v[2:3]
	v_add_u32_e32 v5, 7, v31
	v_cndmask_b32_e32 v18, v1, v5, vcc
	v_cndmask_b32_e64 v1, 0, 1, vcc
	v_lshrrev_b64 v[16:17], v1, v[2:3]
; %bb.4230:                             ;   in Loop: Header=BB4_3827 Depth=3
	s_andn2_saveexec_b64 s[28:29], s[28:29]
; %bb.4231:                             ;   in Loop: Header=BB4_3827 Depth=3
	v_mov_b32_e32 v17, v3
	v_bfe_u32 v18, v2, 23, 1
	v_mov_b32_e32 v16, v2
; %bb.4232:                             ;   in Loop: Header=BB4_3827 Depth=3
	s_or_b64 exec, exec, s[28:29]
	v_lshrrev_b64 v[1:2], 20, v[16:17]
	v_cmp_gt_i32_e32 vcc, 16, v18
	v_cndmask_b32_e32 v17, 0, v2, vcc
	v_cndmask_b32_e32 v16, 7, v1, vcc
	v_cmp_ne_u64_e32 vcc, 0, v[16:17]
	v_cmp_ne_u32_e64 s[28:29], 0, v18
	s_or_b64 s[28:29], s[28:29], vcc
                                        ; implicit-def: $vgpr31
	s_mov_b64 s[44:45], exec
	buffer_load_dword v5, off, s[0:3], s33 offset:68 ; 4-byte Folded Reload
	s_and_b64 vcc, s[44:45], s[28:29]
	s_xor_b64 s[28:29], vcc, s[44:45]
	s_mov_b64 exec, vcc
; %bb.4233:                             ;   in Loop: Header=BB4_3827 Depth=3
	v_min_i32_e32 v1, 15, v18
	v_lshl_or_b32 v1, v1, 3, v23
	v_and_or_b32 v31, v16, 7, v1
                                        ; implicit-def: $vgpr23
; %bb.4234:                             ;   in Loop: Header=BB4_3827 Depth=3
	s_andn2_saveexec_b64 s[28:29], s[28:29]
; %bb.4235:                             ;   in Loop: Header=BB4_3827 Depth=3
	v_mov_b32_e32 v31, v23
; %bb.4236:                             ;   in Loop: Header=BB4_3827 Depth=3
	s_or_b64 exec, exec, s[28:29]
.LBB4_4237:                             ;   in Loop: Header=BB4_3827 Depth=3
	s_or_b64 exec, exec, s[38:39]
                                        ; implicit-def: $vgpr23
.LBB4_4238:                             ;   in Loop: Header=BB4_3827 Depth=3
	s_andn2_saveexec_b64 s[28:29], s[36:37]
; %bb.4239:                             ;   in Loop: Header=BB4_3827 Depth=3
	v_or_b32_e32 v31, 0x7e, v23
; %bb.4240:                             ;   in Loop: Header=BB4_3827 Depth=3
	s_or_b64 exec, exec, s[28:29]
                                        ; implicit-def: $vgpr16
.LBB4_4241:                             ;   in Loop: Header=BB4_3827 Depth=3
	s_andn2_saveexec_b64 s[28:29], s[34:35]
; %bb.4242:                             ;   in Loop: Header=BB4_3827 Depth=3
	v_or_b32_sdwa v31, v16, s71 dst_sel:DWORD dst_unused:UNUSED_PAD src0_sel:BYTE_3 src1_sel:DWORD
; %bb.4243:                             ;   in Loop: Header=BB4_3827 Depth=3
	s_or_b64 exec, exec, s[28:29]
	v_and_b32_e32 v2, 0xff, v30
	v_cmp_ne_u16_e32 vcc, 0, v2
	v_mov_b32_e32 v16, 0
	v_mov_b32_e32 v17, 0
	s_and_saveexec_b64 s[28:29], vcc
	s_cbranch_execz .LBB4_4249
; %bb.4244:                             ;   in Loop: Header=BB4_3827 Depth=3
	v_cmp_ne_u16_e32 vcc, s70, v2
	v_bfrev_b32_e32 v17, 1
	s_and_saveexec_b64 s[34:35], vcc
	s_cbranch_execz .LBB4_4248
; %bb.4245:                             ;   in Loop: Header=BB4_3827 Depth=3
	v_and_b32_e32 v1, 0x7f, v30
	v_cmp_ne_u32_e32 vcc, s71, v1
	v_mov_b32_e32 v17, 0x7f800001
	s_and_saveexec_b64 s[36:37], vcc
	s_cbranch_execz .LBB4_4247
; %bb.4246:                             ;   in Loop: Header=BB4_3827 Depth=3
	s_waitcnt vmcnt(0)
	v_and_b32_e32 v5, 7, v2
	v_lshrrev_b32_e32 v6, 3, v1
	v_cmp_gt_u32_e32 vcc, 8, v1
	v_ffbh_u32_e32 v1, v5
	v_min_u32_e32 v17, 32, v1
	v_subrev_u32_e32 v1, 28, v17
	v_lshlrev_b64 v[1:2], v1, v[2:3]
	v_sub_u32_e32 v2, 29, v17
	v_and_b32_e32 v1, 7, v1
	v_cndmask_b32_e32 v2, v6, v2, vcc
	v_cndmask_b32_e32 v1, v5, v1, vcc
	v_lshlrev_b32_e32 v5, 24, v30
	v_lshlrev_b32_e32 v1, 20, v1
	v_and_b32_e32 v5, 0x80000000, v5
	v_lshl_add_u32 v2, v2, 23, v0
	v_or3_b32 v17, v5, v2, v1
	buffer_load_dword v5, off, s[0:3], s33 offset:68 ; 4-byte Folded Reload
.LBB4_4247:                             ;   in Loop: Header=BB4_3827 Depth=3
	s_or_b64 exec, exec, s[36:37]
.LBB4_4248:                             ;   in Loop: Header=BB4_3827 Depth=3
	s_or_b64 exec, exec, s[34:35]
.LBB4_4249:                             ;   in Loop: Header=BB4_3827 Depth=3
	s_or_b64 exec, exec, s[28:29]
	v_and_b32_e32 v2, 0xff, v28
	v_cmp_ne_u16_e32 vcc, 0, v2
	s_and_saveexec_b64 s[28:29], vcc
	s_cbranch_execz .LBB4_4255
; %bb.4250:                             ;   in Loop: Header=BB4_3827 Depth=3
	v_cmp_ne_u16_e32 vcc, s70, v2
	v_bfrev_b32_e32 v16, 1
	s_and_saveexec_b64 s[34:35], vcc
	s_cbranch_execz .LBB4_4254
; %bb.4251:                             ;   in Loop: Header=BB4_3827 Depth=3
	v_and_b32_e32 v1, 0x7f, v28
	v_cmp_ne_u32_e32 vcc, s71, v1
	v_mov_b32_e32 v16, 0x7f800001
	s_and_saveexec_b64 s[36:37], vcc
	s_cbranch_execz .LBB4_4253
; %bb.4252:                             ;   in Loop: Header=BB4_3827 Depth=3
	s_waitcnt vmcnt(0)
	v_and_b32_e32 v5, 7, v2
	v_lshrrev_b32_e32 v6, 3, v1
	v_cmp_gt_u32_e32 vcc, 8, v1
	v_ffbh_u32_e32 v1, v5
	v_min_u32_e32 v16, 32, v1
	v_subrev_u32_e32 v1, 28, v16
	v_lshlrev_b64 v[1:2], v1, v[2:3]
	v_sub_u32_e32 v2, 29, v16
	v_and_b32_e32 v1, 7, v1
	v_cndmask_b32_e32 v2, v6, v2, vcc
	v_cndmask_b32_e32 v1, v5, v1, vcc
	v_lshlrev_b32_e32 v5, 24, v28
	v_lshlrev_b32_e32 v1, 20, v1
	v_and_b32_e32 v5, 0x80000000, v5
	v_lshl_add_u32 v2, v2, 23, v0
	v_or3_b32 v16, v5, v2, v1
	buffer_load_dword v5, off, s[0:3], s33 offset:68 ; 4-byte Folded Reload
.LBB4_4253:                             ;   in Loop: Header=BB4_3827 Depth=3
	s_or_b64 exec, exec, s[36:37]
.LBB4_4254:                             ;   in Loop: Header=BB4_3827 Depth=3
	s_or_b64 exec, exec, s[34:35]
.LBB4_4255:                             ;   in Loop: Header=BB4_3827 Depth=3
	s_or_b64 exec, exec, s[28:29]
	v_mul_f32_e32 v16, v17, v16
	v_and_b32_e32 v2, 0x7f800000, v16
	v_cmp_ne_u64_e32 vcc, s[62:63], v[2:3]
                                        ; implicit-def: $vgpr28
	s_and_saveexec_b64 s[28:29], vcc
	s_xor_b64 s[34:35], exec, s[28:29]
	s_cbranch_execz .LBB4_4273
; %bb.4256:                             ;   in Loop: Header=BB4_3827 Depth=3
	v_and_b32_e32 v2, 0x7fffffff, v16
	v_cmp_gt_u64_e32 vcc, s[72:73], v[2:3]
	v_and_b32_sdwa v23, v16, s70 dst_sel:DWORD dst_unused:UNUSED_PAD src0_sel:BYTE_3 src1_sel:DWORD
                                        ; implicit-def: $vgpr28
	s_and_saveexec_b64 s[28:29], vcc
	s_xor_b64 s[36:37], exec, s[28:29]
	s_cbranch_execz .LBB4_4270
; %bb.4257:                             ;   in Loop: Header=BB4_3827 Depth=3
	v_cmp_ne_u32_e32 vcc, 0, v16
	v_mov_b32_e32 v28, 0
	s_and_saveexec_b64 s[38:39], vcc
	s_cbranch_execz .LBB4_4269
; %bb.4258:                             ;   in Loop: Header=BB4_3827 Depth=3
	v_bfe_u32 v28, v16, 23, 8
	v_cmp_gt_u32_e64 s[28:29], s80, v28
	v_sub_u32_e32 v2, 0x79, v28
	v_and_b32_e32 v1, 0x7fffff, v16
	v_cmp_eq_u32_e32 vcc, 0, v28
	v_cndmask_b32_e64 v2, 0, v2, s[28:29]
	v_mov_b32_e32 v6, 0x78
	s_waitcnt vmcnt(0)
	v_or_b32_e32 v5, 0x800000, v1
	v_cndmask_b32_e32 v30, v2, v6, vcc
	v_cndmask_b32_e32 v2, v5, v1, vcc
	v_add_u32_e32 v1, 20, v30
	v_lshlrev_b64 v[5:6], v1, -1
	v_add_u32_e32 v1, 19, v30
	v_lshlrev_b64 v[16:17], v1, 1
	v_bfi_b32 v6, v6, 0, 0
	v_bfi_b32 v5, v5, 0, v2
	v_cmp_eq_u64_e64 s[28:29], v[5:6], v[16:17]
	v_lshrrev_b64 v[16:17], v30, v[2:3]
	v_mov_b32_e32 v18, v17
	v_mov_b32_e32 v17, v16
	s_and_saveexec_b64 s[48:49], s[28:29]
; %bb.4259:                             ;   in Loop: Header=BB4_3827 Depth=3
	v_bfe_u32 v1, v16, 20, 1
	v_add_co_u32_e64 v1, s[28:29], v16, v1
	v_add_co_u32_e64 v17, s[28:29], -1, v1
; %bb.4260:                             ;   in Loop: Header=BB4_3827 Depth=3
	s_or_b64 exec, exec, s[48:49]
	v_add_u32_e32 v1, 0xffffff81, v28
	v_mov_b32_e32 v2, 0xffffff82
	v_cndmask_b32_e32 v1, v1, v2, vcc
	v_lshrrev_b32_e32 v2, 23, v16
	v_add3_u32 v28, v30, v1, v2
	v_add_u32_e32 v1, 6, v28
	v_and_b32_e32 v2, 0xfffff, v17
	v_add_u32_e32 v2, v2, v16
	v_cmp_ne_u32_e32 vcc, 0, v1
                                        ; implicit-def: $vgpr16_vgpr17
                                        ; implicit-def: $vgpr18
	s_and_saveexec_b64 s[28:29], vcc
	s_xor_b64 s[28:29], exec, s[28:29]
; %bb.4261:                             ;   in Loop: Header=BB4_3827 Depth=3
	v_cmp_lt_u64_e32 vcc, s[88:89], v[2:3]
	v_add_u32_e32 v5, 7, v28
	v_cndmask_b32_e32 v18, v1, v5, vcc
	v_cndmask_b32_e64 v1, 0, 1, vcc
	v_lshrrev_b64 v[16:17], v1, v[2:3]
; %bb.4262:                             ;   in Loop: Header=BB4_3827 Depth=3
	s_andn2_saveexec_b64 s[28:29], s[28:29]
; %bb.4263:                             ;   in Loop: Header=BB4_3827 Depth=3
	v_mov_b32_e32 v17, v3
	v_bfe_u32 v18, v2, 23, 1
	v_mov_b32_e32 v16, v2
; %bb.4264:                             ;   in Loop: Header=BB4_3827 Depth=3
	s_or_b64 exec, exec, s[28:29]
	v_lshrrev_b64 v[1:2], 20, v[16:17]
	v_cmp_gt_i32_e32 vcc, 16, v18
	v_cndmask_b32_e32 v17, 0, v2, vcc
	v_cndmask_b32_e32 v16, 7, v1, vcc
	v_cmp_ne_u64_e32 vcc, 0, v[16:17]
	v_cmp_ne_u32_e64 s[28:29], 0, v18
	s_or_b64 s[28:29], s[28:29], vcc
                                        ; implicit-def: $vgpr28
	s_mov_b64 s[44:45], exec
	buffer_load_dword v5, off, s[0:3], s33 offset:68 ; 4-byte Folded Reload
	s_and_b64 vcc, s[44:45], s[28:29]
	s_xor_b64 s[28:29], vcc, s[44:45]
	s_mov_b64 exec, vcc
; %bb.4265:                             ;   in Loop: Header=BB4_3827 Depth=3
	v_min_i32_e32 v1, 15, v18
	v_lshl_or_b32 v1, v1, 3, v23
	v_and_or_b32 v28, v16, 7, v1
                                        ; implicit-def: $vgpr23
; %bb.4266:                             ;   in Loop: Header=BB4_3827 Depth=3
	s_andn2_saveexec_b64 s[28:29], s[28:29]
; %bb.4267:                             ;   in Loop: Header=BB4_3827 Depth=3
	v_mov_b32_e32 v28, v23
; %bb.4268:                             ;   in Loop: Header=BB4_3827 Depth=3
	s_or_b64 exec, exec, s[28:29]
.LBB4_4269:                             ;   in Loop: Header=BB4_3827 Depth=3
	s_or_b64 exec, exec, s[38:39]
                                        ; implicit-def: $vgpr23
.LBB4_4270:                             ;   in Loop: Header=BB4_3827 Depth=3
	s_andn2_saveexec_b64 s[28:29], s[36:37]
; %bb.4271:                             ;   in Loop: Header=BB4_3827 Depth=3
	v_or_b32_e32 v28, 0x7e, v23
; %bb.4272:                             ;   in Loop: Header=BB4_3827 Depth=3
	s_or_b64 exec, exec, s[28:29]
                                        ; implicit-def: $vgpr16
.LBB4_4273:                             ;   in Loop: Header=BB4_3827 Depth=3
	s_andn2_saveexec_b64 s[28:29], s[34:35]
; %bb.4274:                             ;   in Loop: Header=BB4_3827 Depth=3
	v_or_b32_sdwa v28, v16, s71 dst_sel:DWORD dst_unused:UNUSED_PAD src0_sel:BYTE_3 src1_sel:DWORD
; %bb.4275:                             ;   in Loop: Header=BB4_3827 Depth=3
	s_or_b64 exec, exec, s[28:29]
	v_and_b32_e32 v2, 0xff, v27
	v_cmp_ne_u16_e32 vcc, 0, v2
	v_mov_b32_e32 v16, 0
	v_mov_b32_e32 v17, 0
	s_and_saveexec_b64 s[28:29], vcc
	s_cbranch_execz .LBB4_4281
; %bb.4276:                             ;   in Loop: Header=BB4_3827 Depth=3
	v_cmp_ne_u16_e32 vcc, s70, v2
	v_bfrev_b32_e32 v17, 1
	s_and_saveexec_b64 s[34:35], vcc
	s_cbranch_execz .LBB4_4280
; %bb.4277:                             ;   in Loop: Header=BB4_3827 Depth=3
	v_and_b32_e32 v1, 0x7f, v27
	v_cmp_ne_u32_e32 vcc, s71, v1
	v_mov_b32_e32 v17, 0x7f800001
	s_and_saveexec_b64 s[36:37], vcc
	s_cbranch_execz .LBB4_4279
; %bb.4278:                             ;   in Loop: Header=BB4_3827 Depth=3
	s_waitcnt vmcnt(0)
	v_and_b32_e32 v5, 7, v2
	v_lshrrev_b32_e32 v6, 3, v1
	v_cmp_gt_u32_e32 vcc, 8, v1
	v_ffbh_u32_e32 v1, v5
	v_min_u32_e32 v17, 32, v1
	v_subrev_u32_e32 v1, 28, v17
	v_lshlrev_b64 v[1:2], v1, v[2:3]
	v_sub_u32_e32 v2, 29, v17
	v_and_b32_e32 v1, 7, v1
	v_cndmask_b32_e32 v2, v6, v2, vcc
	v_cndmask_b32_e32 v1, v5, v1, vcc
	v_lshlrev_b32_e32 v5, 24, v27
	v_lshlrev_b32_e32 v1, 20, v1
	v_and_b32_e32 v5, 0x80000000, v5
	v_lshl_add_u32 v2, v2, 23, v0
	v_or3_b32 v17, v5, v2, v1
	buffer_load_dword v5, off, s[0:3], s33 offset:68 ; 4-byte Folded Reload
.LBB4_4279:                             ;   in Loop: Header=BB4_3827 Depth=3
	s_or_b64 exec, exec, s[36:37]
.LBB4_4280:                             ;   in Loop: Header=BB4_3827 Depth=3
	s_or_b64 exec, exec, s[34:35]
.LBB4_4281:                             ;   in Loop: Header=BB4_3827 Depth=3
	s_or_b64 exec, exec, s[28:29]
	v_and_b32_e32 v2, 0xff, v25
	v_cmp_ne_u16_e32 vcc, 0, v2
	s_and_saveexec_b64 s[28:29], vcc
	s_cbranch_execz .LBB4_4287
; %bb.4282:                             ;   in Loop: Header=BB4_3827 Depth=3
	v_cmp_ne_u16_e32 vcc, s70, v2
	v_bfrev_b32_e32 v16, 1
	s_and_saveexec_b64 s[34:35], vcc
	s_cbranch_execz .LBB4_4286
; %bb.4283:                             ;   in Loop: Header=BB4_3827 Depth=3
	v_and_b32_e32 v1, 0x7f, v25
	v_cmp_ne_u32_e32 vcc, s71, v1
	v_mov_b32_e32 v16, 0x7f800001
	s_and_saveexec_b64 s[36:37], vcc
	s_cbranch_execz .LBB4_4285
; %bb.4284:                             ;   in Loop: Header=BB4_3827 Depth=3
	s_waitcnt vmcnt(0)
	v_and_b32_e32 v5, 7, v2
	v_lshrrev_b32_e32 v6, 3, v1
	v_cmp_gt_u32_e32 vcc, 8, v1
	v_ffbh_u32_e32 v1, v5
	v_min_u32_e32 v16, 32, v1
	v_subrev_u32_e32 v1, 28, v16
	v_lshlrev_b64 v[1:2], v1, v[2:3]
	v_sub_u32_e32 v2, 29, v16
	v_and_b32_e32 v1, 7, v1
	v_cndmask_b32_e32 v2, v6, v2, vcc
	v_cndmask_b32_e32 v1, v5, v1, vcc
	v_lshlrev_b32_e32 v5, 24, v25
	v_lshlrev_b32_e32 v1, 20, v1
	v_and_b32_e32 v5, 0x80000000, v5
	v_lshl_add_u32 v2, v2, 23, v0
	v_or3_b32 v16, v5, v2, v1
	buffer_load_dword v5, off, s[0:3], s33 offset:68 ; 4-byte Folded Reload
.LBB4_4285:                             ;   in Loop: Header=BB4_3827 Depth=3
	s_or_b64 exec, exec, s[36:37]
.LBB4_4286:                             ;   in Loop: Header=BB4_3827 Depth=3
	s_or_b64 exec, exec, s[34:35]
.LBB4_4287:                             ;   in Loop: Header=BB4_3827 Depth=3
	s_or_b64 exec, exec, s[28:29]
	v_mul_f32_e32 v16, v17, v16
	v_and_b32_e32 v2, 0x7f800000, v16
	v_cmp_ne_u64_e32 vcc, s[62:63], v[2:3]
                                        ; implicit-def: $vgpr25
	s_and_saveexec_b64 s[28:29], vcc
	s_xor_b64 s[34:35], exec, s[28:29]
	s_cbranch_execz .LBB4_4305
; %bb.4288:                             ;   in Loop: Header=BB4_3827 Depth=3
	v_and_b32_e32 v2, 0x7fffffff, v16
	v_cmp_gt_u64_e32 vcc, s[72:73], v[2:3]
	v_and_b32_sdwa v23, v16, s70 dst_sel:DWORD dst_unused:UNUSED_PAD src0_sel:BYTE_3 src1_sel:DWORD
                                        ; implicit-def: $vgpr25
	s_and_saveexec_b64 s[28:29], vcc
	s_xor_b64 s[36:37], exec, s[28:29]
	s_cbranch_execz .LBB4_4302
; %bb.4289:                             ;   in Loop: Header=BB4_3827 Depth=3
	v_cmp_ne_u32_e32 vcc, 0, v16
	v_mov_b32_e32 v25, 0
	s_and_saveexec_b64 s[38:39], vcc
	s_cbranch_execz .LBB4_4301
; %bb.4290:                             ;   in Loop: Header=BB4_3827 Depth=3
	v_bfe_u32 v25, v16, 23, 8
	v_cmp_gt_u32_e64 s[28:29], s80, v25
	v_sub_u32_e32 v2, 0x79, v25
	v_and_b32_e32 v1, 0x7fffff, v16
	v_cmp_eq_u32_e32 vcc, 0, v25
	v_cndmask_b32_e64 v2, 0, v2, s[28:29]
	v_mov_b32_e32 v6, 0x78
	s_waitcnt vmcnt(0)
	v_or_b32_e32 v5, 0x800000, v1
	v_cndmask_b32_e32 v27, v2, v6, vcc
	v_cndmask_b32_e32 v2, v5, v1, vcc
	v_add_u32_e32 v1, 20, v27
	v_lshlrev_b64 v[5:6], v1, -1
	v_add_u32_e32 v1, 19, v27
	v_lshlrev_b64 v[16:17], v1, 1
	v_bfi_b32 v6, v6, 0, 0
	v_bfi_b32 v5, v5, 0, v2
	v_cmp_eq_u64_e64 s[28:29], v[5:6], v[16:17]
	v_lshrrev_b64 v[16:17], v27, v[2:3]
	v_mov_b32_e32 v18, v17
	v_mov_b32_e32 v17, v16
	s_and_saveexec_b64 s[48:49], s[28:29]
; %bb.4291:                             ;   in Loop: Header=BB4_3827 Depth=3
	v_bfe_u32 v1, v16, 20, 1
	v_add_co_u32_e64 v1, s[28:29], v16, v1
	v_add_co_u32_e64 v17, s[28:29], -1, v1
; %bb.4292:                             ;   in Loop: Header=BB4_3827 Depth=3
	s_or_b64 exec, exec, s[48:49]
	v_add_u32_e32 v1, 0xffffff81, v25
	v_mov_b32_e32 v2, 0xffffff82
	v_cndmask_b32_e32 v1, v1, v2, vcc
	v_lshrrev_b32_e32 v2, 23, v16
	v_add3_u32 v25, v27, v1, v2
	v_add_u32_e32 v1, 6, v25
	v_and_b32_e32 v2, 0xfffff, v17
	v_add_u32_e32 v2, v2, v16
	v_cmp_ne_u32_e32 vcc, 0, v1
                                        ; implicit-def: $vgpr16_vgpr17
                                        ; implicit-def: $vgpr18
	s_and_saveexec_b64 s[28:29], vcc
	s_xor_b64 s[28:29], exec, s[28:29]
; %bb.4293:                             ;   in Loop: Header=BB4_3827 Depth=3
	v_cmp_lt_u64_e32 vcc, s[88:89], v[2:3]
	v_add_u32_e32 v5, 7, v25
	v_cndmask_b32_e32 v18, v1, v5, vcc
	v_cndmask_b32_e64 v1, 0, 1, vcc
	v_lshrrev_b64 v[16:17], v1, v[2:3]
; %bb.4294:                             ;   in Loop: Header=BB4_3827 Depth=3
	s_andn2_saveexec_b64 s[28:29], s[28:29]
; %bb.4295:                             ;   in Loop: Header=BB4_3827 Depth=3
	v_mov_b32_e32 v17, v3
	v_bfe_u32 v18, v2, 23, 1
	v_mov_b32_e32 v16, v2
; %bb.4296:                             ;   in Loop: Header=BB4_3827 Depth=3
	s_or_b64 exec, exec, s[28:29]
	v_lshrrev_b64 v[1:2], 20, v[16:17]
	v_cmp_gt_i32_e32 vcc, 16, v18
	v_cndmask_b32_e32 v17, 0, v2, vcc
	v_cndmask_b32_e32 v16, 7, v1, vcc
	v_cmp_ne_u64_e32 vcc, 0, v[16:17]
	v_cmp_ne_u32_e64 s[28:29], 0, v18
	s_or_b64 s[28:29], s[28:29], vcc
                                        ; implicit-def: $vgpr25
	s_mov_b64 s[44:45], exec
	buffer_load_dword v5, off, s[0:3], s33 offset:68 ; 4-byte Folded Reload
	s_and_b64 vcc, s[44:45], s[28:29]
	s_xor_b64 s[28:29], vcc, s[44:45]
	s_mov_b64 exec, vcc
; %bb.4297:                             ;   in Loop: Header=BB4_3827 Depth=3
	v_min_i32_e32 v1, 15, v18
	v_lshl_or_b32 v1, v1, 3, v23
	v_and_or_b32 v25, v16, 7, v1
                                        ; implicit-def: $vgpr23
; %bb.4298:                             ;   in Loop: Header=BB4_3827 Depth=3
	s_andn2_saveexec_b64 s[28:29], s[28:29]
; %bb.4299:                             ;   in Loop: Header=BB4_3827 Depth=3
	v_mov_b32_e32 v25, v23
; %bb.4300:                             ;   in Loop: Header=BB4_3827 Depth=3
	s_or_b64 exec, exec, s[28:29]
.LBB4_4301:                             ;   in Loop: Header=BB4_3827 Depth=3
	s_or_b64 exec, exec, s[38:39]
                                        ; implicit-def: $vgpr23
.LBB4_4302:                             ;   in Loop: Header=BB4_3827 Depth=3
	s_andn2_saveexec_b64 s[28:29], s[36:37]
; %bb.4303:                             ;   in Loop: Header=BB4_3827 Depth=3
	v_or_b32_e32 v25, 0x7e, v23
; %bb.4304:                             ;   in Loop: Header=BB4_3827 Depth=3
	s_or_b64 exec, exec, s[28:29]
                                        ; implicit-def: $vgpr16
.LBB4_4305:                             ;   in Loop: Header=BB4_3827 Depth=3
	s_andn2_saveexec_b64 s[28:29], s[34:35]
; %bb.4306:                             ;   in Loop: Header=BB4_3827 Depth=3
	v_or_b32_sdwa v25, v16, s71 dst_sel:DWORD dst_unused:UNUSED_PAD src0_sel:BYTE_3 src1_sel:DWORD
; %bb.4307:                             ;   in Loop: Header=BB4_3827 Depth=3
	s_or_b64 exec, exec, s[28:29]
	v_and_b32_e32 v2, 0xff, v24
	v_cmp_ne_u16_e32 vcc, 0, v2
	v_mov_b32_e32 v16, 0
	v_mov_b32_e32 v17, 0
	s_and_saveexec_b64 s[28:29], vcc
	s_cbranch_execz .LBB4_4313
; %bb.4308:                             ;   in Loop: Header=BB4_3827 Depth=3
	v_cmp_ne_u16_e32 vcc, s70, v2
	v_bfrev_b32_e32 v17, 1
	s_and_saveexec_b64 s[34:35], vcc
	s_cbranch_execz .LBB4_4312
; %bb.4309:                             ;   in Loop: Header=BB4_3827 Depth=3
	v_and_b32_e32 v1, 0x7f, v24
	v_cmp_ne_u32_e32 vcc, s71, v1
	v_mov_b32_e32 v17, 0x7f800001
	s_and_saveexec_b64 s[36:37], vcc
	s_cbranch_execz .LBB4_4311
; %bb.4310:                             ;   in Loop: Header=BB4_3827 Depth=3
	s_waitcnt vmcnt(0)
	v_and_b32_e32 v5, 7, v2
	v_lshrrev_b32_e32 v6, 3, v1
	v_cmp_gt_u32_e32 vcc, 8, v1
	v_ffbh_u32_e32 v1, v5
	v_min_u32_e32 v17, 32, v1
	v_subrev_u32_e32 v1, 28, v17
	v_lshlrev_b64 v[1:2], v1, v[2:3]
	v_sub_u32_e32 v2, 29, v17
	v_and_b32_e32 v1, 7, v1
	v_cndmask_b32_e32 v2, v6, v2, vcc
	v_cndmask_b32_e32 v1, v5, v1, vcc
	v_lshlrev_b32_e32 v5, 24, v24
	v_lshlrev_b32_e32 v1, 20, v1
	v_and_b32_e32 v5, 0x80000000, v5
	v_lshl_add_u32 v2, v2, 23, v0
	v_or3_b32 v17, v5, v2, v1
	buffer_load_dword v5, off, s[0:3], s33 offset:68 ; 4-byte Folded Reload
.LBB4_4311:                             ;   in Loop: Header=BB4_3827 Depth=3
	s_or_b64 exec, exec, s[36:37]
.LBB4_4312:                             ;   in Loop: Header=BB4_3827 Depth=3
	s_or_b64 exec, exec, s[34:35]
.LBB4_4313:                             ;   in Loop: Header=BB4_3827 Depth=3
	s_or_b64 exec, exec, s[28:29]
	v_and_b32_e32 v2, 0xff, v22
	v_cmp_ne_u16_e32 vcc, 0, v2
	s_and_saveexec_b64 s[28:29], vcc
	s_cbranch_execz .LBB4_4319
; %bb.4314:                             ;   in Loop: Header=BB4_3827 Depth=3
	v_cmp_ne_u16_e32 vcc, s70, v2
	v_bfrev_b32_e32 v16, 1
	s_and_saveexec_b64 s[34:35], vcc
	s_cbranch_execz .LBB4_4318
; %bb.4315:                             ;   in Loop: Header=BB4_3827 Depth=3
	v_and_b32_e32 v1, 0x7f, v22
	v_cmp_ne_u32_e32 vcc, s71, v1
	v_mov_b32_e32 v16, 0x7f800001
	s_and_saveexec_b64 s[36:37], vcc
	s_cbranch_execz .LBB4_4317
; %bb.4316:                             ;   in Loop: Header=BB4_3827 Depth=3
	s_waitcnt vmcnt(0)
	v_and_b32_e32 v5, 7, v2
	v_lshrrev_b32_e32 v6, 3, v1
	v_cmp_gt_u32_e32 vcc, 8, v1
	v_ffbh_u32_e32 v1, v5
	v_min_u32_e32 v16, 32, v1
	v_subrev_u32_e32 v1, 28, v16
	v_lshlrev_b64 v[1:2], v1, v[2:3]
	v_sub_u32_e32 v2, 29, v16
	v_and_b32_e32 v1, 7, v1
	v_cndmask_b32_e32 v2, v6, v2, vcc
	v_cndmask_b32_e32 v1, v5, v1, vcc
	v_lshlrev_b32_e32 v5, 24, v22
	v_lshlrev_b32_e32 v1, 20, v1
	v_and_b32_e32 v5, 0x80000000, v5
	v_lshl_add_u32 v2, v2, 23, v0
	v_or3_b32 v16, v5, v2, v1
	buffer_load_dword v5, off, s[0:3], s33 offset:68 ; 4-byte Folded Reload
.LBB4_4317:                             ;   in Loop: Header=BB4_3827 Depth=3
	s_or_b64 exec, exec, s[36:37]
.LBB4_4318:                             ;   in Loop: Header=BB4_3827 Depth=3
	s_or_b64 exec, exec, s[34:35]
.LBB4_4319:                             ;   in Loop: Header=BB4_3827 Depth=3
	s_or_b64 exec, exec, s[28:29]
	v_mul_f32_e32 v16, v17, v16
	v_and_b32_e32 v2, 0x7f800000, v16
	v_cmp_ne_u64_e32 vcc, s[62:63], v[2:3]
                                        ; implicit-def: $vgpr2
	s_and_saveexec_b64 s[28:29], vcc
	s_xor_b64 s[34:35], exec, s[28:29]
	s_cbranch_execz .LBB4_4337
; %bb.4320:                             ;   in Loop: Header=BB4_3827 Depth=3
	v_and_b32_e32 v2, 0x7fffffff, v16
	v_cmp_gt_u64_e32 vcc, s[72:73], v[2:3]
	v_and_b32_sdwa v22, v16, s70 dst_sel:DWORD dst_unused:UNUSED_PAD src0_sel:BYTE_3 src1_sel:DWORD
                                        ; implicit-def: $vgpr2
	s_and_saveexec_b64 s[28:29], vcc
	s_xor_b64 s[36:37], exec, s[28:29]
	s_cbranch_execz .LBB4_4334
; %bb.4321:                             ;   in Loop: Header=BB4_3827 Depth=3
	v_cmp_ne_u32_e32 vcc, 0, v16
	v_mov_b32_e32 v2, 0
	s_and_saveexec_b64 s[38:39], vcc
	s_cbranch_execz .LBB4_4333
; %bb.4322:                             ;   in Loop: Header=BB4_3827 Depth=3
	v_bfe_u32 v23, v16, 23, 8
	v_cmp_gt_u32_e64 s[28:29], s80, v23
	v_sub_u32_e32 v2, 0x79, v23
	v_and_b32_e32 v1, 0x7fffff, v16
	v_cmp_eq_u32_e32 vcc, 0, v23
	v_cndmask_b32_e64 v2, 0, v2, s[28:29]
	v_mov_b32_e32 v6, 0x78
	s_waitcnt vmcnt(0)
	v_or_b32_e32 v5, 0x800000, v1
	v_cndmask_b32_e32 v24, v2, v6, vcc
	v_cndmask_b32_e32 v2, v5, v1, vcc
	v_add_u32_e32 v1, 20, v24
	v_lshlrev_b64 v[5:6], v1, -1
	v_add_u32_e32 v1, 19, v24
	v_lshlrev_b64 v[16:17], v1, 1
	v_bfi_b32 v6, v6, 0, 0
	v_bfi_b32 v5, v5, 0, v2
	v_cmp_eq_u64_e64 s[28:29], v[5:6], v[16:17]
	v_lshrrev_b64 v[16:17], v24, v[2:3]
	v_mov_b32_e32 v18, v17
	v_mov_b32_e32 v17, v16
	s_and_saveexec_b64 s[48:49], s[28:29]
; %bb.4323:                             ;   in Loop: Header=BB4_3827 Depth=3
	v_bfe_u32 v1, v16, 20, 1
	v_add_co_u32_e64 v1, s[28:29], v16, v1
	v_add_co_u32_e64 v17, s[28:29], -1, v1
; %bb.4324:                             ;   in Loop: Header=BB4_3827 Depth=3
	s_or_b64 exec, exec, s[48:49]
	v_add_u32_e32 v1, 0xffffff81, v23
	v_mov_b32_e32 v2, 0xffffff82
	v_cndmask_b32_e32 v1, v1, v2, vcc
	v_lshrrev_b32_e32 v2, 23, v16
	v_add3_u32 v23, v24, v1, v2
	v_add_u32_e32 v1, 6, v23
	v_and_b32_e32 v2, 0xfffff, v17
	v_add_u32_e32 v2, v2, v16
	v_cmp_ne_u32_e32 vcc, 0, v1
                                        ; implicit-def: $vgpr16_vgpr17
                                        ; implicit-def: $vgpr18
	s_and_saveexec_b64 s[28:29], vcc
	s_xor_b64 s[28:29], exec, s[28:29]
; %bb.4325:                             ;   in Loop: Header=BB4_3827 Depth=3
	v_cmp_lt_u64_e32 vcc, s[88:89], v[2:3]
	v_add_u32_e32 v5, 7, v23
	v_cndmask_b32_e32 v18, v1, v5, vcc
	v_cndmask_b32_e64 v1, 0, 1, vcc
	v_lshrrev_b64 v[16:17], v1, v[2:3]
; %bb.4326:                             ;   in Loop: Header=BB4_3827 Depth=3
	s_andn2_saveexec_b64 s[28:29], s[28:29]
; %bb.4327:                             ;   in Loop: Header=BB4_3827 Depth=3
	v_mov_b32_e32 v17, v3
	v_bfe_u32 v18, v2, 23, 1
	v_mov_b32_e32 v16, v2
; %bb.4328:                             ;   in Loop: Header=BB4_3827 Depth=3
	s_or_b64 exec, exec, s[28:29]
	v_lshrrev_b64 v[1:2], 20, v[16:17]
	v_cmp_gt_i32_e32 vcc, 16, v18
	v_cndmask_b32_e32 v17, 0, v2, vcc
	v_cndmask_b32_e32 v16, 7, v1, vcc
	v_cmp_ne_u64_e32 vcc, 0, v[16:17]
	v_cmp_ne_u32_e64 s[28:29], 0, v18
	s_or_b64 s[28:29], s[28:29], vcc
                                        ; implicit-def: $vgpr2
	s_mov_b64 s[44:45], exec
	buffer_load_dword v5, off, s[0:3], s33 offset:68 ; 4-byte Folded Reload
	s_and_b64 vcc, s[44:45], s[28:29]
	s_xor_b64 s[28:29], vcc, s[44:45]
	s_mov_b64 exec, vcc
; %bb.4329:                             ;   in Loop: Header=BB4_3827 Depth=3
	v_min_i32_e32 v1, 15, v18
	v_lshl_or_b32 v1, v1, 3, v22
	v_and_or_b32 v2, v16, 7, v1
                                        ; implicit-def: $vgpr22
; %bb.4330:                             ;   in Loop: Header=BB4_3827 Depth=3
	s_andn2_saveexec_b64 s[28:29], s[28:29]
; %bb.4331:                             ;   in Loop: Header=BB4_3827 Depth=3
	v_mov_b32_e32 v2, v22
; %bb.4332:                             ;   in Loop: Header=BB4_3827 Depth=3
	s_or_b64 exec, exec, s[28:29]
.LBB4_4333:                             ;   in Loop: Header=BB4_3827 Depth=3
	s_or_b64 exec, exec, s[38:39]
                                        ; implicit-def: $vgpr22
.LBB4_4334:                             ;   in Loop: Header=BB4_3827 Depth=3
	s_andn2_saveexec_b64 s[28:29], s[36:37]
; %bb.4335:                             ;   in Loop: Header=BB4_3827 Depth=3
	v_or_b32_e32 v2, 0x7e, v22
; %bb.4336:                             ;   in Loop: Header=BB4_3827 Depth=3
	s_or_b64 exec, exec, s[28:29]
                                        ; implicit-def: $vgpr16
.LBB4_4337:                             ;   in Loop: Header=BB4_3827 Depth=3
	s_andn2_saveexec_b64 s[28:29], s[34:35]
	s_cbranch_execz .LBB4_3826
; %bb.4338:                             ;   in Loop: Header=BB4_3827 Depth=3
	v_or_b32_sdwa v2, v16, s71 dst_sel:DWORD dst_unused:UNUSED_PAD src0_sel:BYTE_3 src1_sel:DWORD
	s_branch .LBB4_3826
.LBB4_4339:                             ;   in Loop: Header=BB4_2384 Depth=2
	s_or_b64 exec, exec, s[30:31]
	buffer_load_dword v41, off, s[0:3], s33 offset:172 ; 4-byte Folded Reload
	buffer_load_dword v47, off, s[0:3], s33 offset:108 ; 4-byte Folded Reload
	buffer_load_dword v22, off, s[0:3], s33 offset:208 ; 4-byte Folded Reload
	buffer_load_dword v23, off, s[0:3], s33 offset:248 ; 4-byte Folded Reload
	buffer_load_dword v30, off, s[0:3], s33 offset:252 ; 4-byte Folded Reload
	buffer_load_dword v12, off, s[0:3], s33 offset:176 ; 4-byte Folded Reload
	buffer_load_dword v5, off, s[0:3], s33 offset:184 ; 4-byte Folded Reload
	buffer_load_dword v6, off, s[0:3], s33 offset:264 ; 4-byte Folded Reload
	buffer_load_dword v8, off, s[0:3], s33 offset:272 ; 4-byte Folded Reload
.LBB4_4340:                             ;   in Loop: Header=BB4_2384 Depth=2
	s_or_b64 exec, exec, s[40:41]
	s_waitcnt vmcnt(0)
	v_lshlrev_b32_e32 v1, 10, v8
	v_cmp_ne_u32_e32 vcc, v7, v1
	s_and_b64 exec, exec, vcc
	s_cbranch_execz .LBB4_4378
; %bb.4341:                             ;   in Loop: Header=BB4_2384 Depth=2
	v_add_u32_e32 v2, v5, v6
	v_and_b32_e32 v2, 0xffffffc0, v2
	v_sub_u32_e32 v2, v5, v2
	v_lshlrev_b32_e32 v5, 6, v19
	v_sub_u32_e32 v2, v2, v5
	v_add_u32_e32 v1, v1, v2
	v_sub_u32_e32 v6, v7, v1
	v_cmp_lt_i32_e32 vcc, 0, v6
	s_and_b64 exec, exec, vcc
	s_cbranch_execz .LBB4_4378
; %bb.4342:                             ;   in Loop: Header=BB4_2384 Depth=2
	s_trap 2
	ds_read_b128 v[8:11], v0
	v_add_u32_e32 v1, v1, v12
	v_ashrrev_i32_e32 v2, 31, v1
	s_mov_b64 s[30:31], 0
	s_waitcnt lgkmcnt(0)
	v_add_co_u32_e32 v8, vcc, v8, v1
	v_addc_co_u32_e32 v9, vcc, v9, v2, vcc
	v_add_co_u32_e32 v10, vcc, v10, v1
	v_addc_co_u32_e32 v11, vcc, v11, v2, vcc
	v_mov_b32_e32 v13, v9
	v_mov_b32_e32 v15, v11
	;; [unrolled: 1-line block ×4, first 2 shown]
.LBB4_4343:                             ;   Parent Loop BB4_47 Depth=1
                                        ;     Parent Loop BB4_2384 Depth=2
                                        ; =>    This Loop Header: Depth=3
                                        ;         Child Loop BB4_4376 Depth 4
	flat_load_ubyte v17, v[12:13] glc slc
	flat_load_ubyte v7, v[14:15] glc slc
	v_mov_b32_e32 v5, 0
	v_mov_b32_e32 v16, 0
	s_waitcnt vmcnt(0) lgkmcnt(0)
	v_cmp_ne_u16_e32 vcc, 0, v17
	s_and_saveexec_b64 s[28:29], vcc
	s_cbranch_execz .LBB4_4349
; %bb.4344:                             ;   in Loop: Header=BB4_4343 Depth=3
	v_cmp_ne_u16_e32 vcc, s70, v17
	v_bfrev_b32_e32 v16, 1
	s_and_saveexec_b64 s[40:41], vcc
	s_cbranch_execz .LBB4_4348
; %bb.4345:                             ;   in Loop: Header=BB4_4343 Depth=3
	v_and_b32_e32 v2, 0xffff, v17
	v_and_b32_e32 v1, 0x7f, v2
	v_cmp_ne_u32_e32 vcc, s71, v1
	v_mov_b32_e32 v16, 0x7f800001
	s_and_saveexec_b64 s[34:35], vcc
	s_cbranch_execz .LBB4_4347
; %bb.4346:                             ;   in Loop: Header=BB4_4343 Depth=3
	v_and_b32_e32 v16, 7, v2
	v_lshrrev_b32_e32 v18, 3, v1
	v_cmp_gt_u32_e32 vcc, 8, v1
	v_ffbh_u32_e32 v1, v16
	v_min_u32_e32 v19, 32, v1
	v_subrev_u32_e32 v1, 28, v19
	v_lshlrev_b64 v[1:2], v1, v[2:3]
	v_sub_u32_e32 v2, 29, v19
	v_and_b32_e32 v1, 7, v1
	v_cndmask_b32_e32 v2, v18, v2, vcc
	v_cndmask_b32_e32 v1, v16, v1, vcc
	v_lshlrev_b32_e32 v16, 24, v17
	v_lshlrev_b32_e32 v1, 20, v1
	v_and_b32_e32 v16, 0x80000000, v16
	v_lshl_add_u32 v2, v2, 23, v0
	v_or3_b32 v16, v16, v2, v1
.LBB4_4347:                             ;   in Loop: Header=BB4_4343 Depth=3
	s_or_b64 exec, exec, s[34:35]
.LBB4_4348:                             ;   in Loop: Header=BB4_4343 Depth=3
	s_or_b64 exec, exec, s[40:41]
.LBB4_4349:                             ;   in Loop: Header=BB4_4343 Depth=3
	s_or_b64 exec, exec, s[28:29]
	v_and_b32_e32 v2, 0xff, v7
	v_cmp_ne_u16_e32 vcc, 0, v2
	s_and_saveexec_b64 s[28:29], vcc
	s_cbranch_execz .LBB4_4355
; %bb.4350:                             ;   in Loop: Header=BB4_4343 Depth=3
	v_cmp_ne_u16_e32 vcc, s70, v2
	v_bfrev_b32_e32 v5, 1
	s_and_saveexec_b64 s[40:41], vcc
	s_cbranch_execz .LBB4_4354
; %bb.4351:                             ;   in Loop: Header=BB4_4343 Depth=3
	v_and_b32_e32 v1, 0x7f, v7
	v_cmp_ne_u32_e32 vcc, s71, v1
	v_mov_b32_e32 v5, 0x7f800001
	s_and_saveexec_b64 s[34:35], vcc
	s_cbranch_execz .LBB4_4353
; %bb.4352:                             ;   in Loop: Header=BB4_4343 Depth=3
	v_and_b32_e32 v5, 7, v2
	v_lshrrev_b32_e32 v17, 3, v1
	v_cmp_gt_u32_e32 vcc, 8, v1
	v_ffbh_u32_e32 v1, v5
	v_min_u32_e32 v18, 32, v1
	v_subrev_u32_e32 v1, 28, v18
	v_lshlrev_b64 v[1:2], v1, v[2:3]
	v_sub_u32_e32 v2, 29, v18
	v_and_b32_e32 v1, 7, v1
	v_lshlrev_b32_e32 v7, 24, v7
	v_cndmask_b32_e32 v2, v17, v2, vcc
	v_cndmask_b32_e32 v1, v5, v1, vcc
	v_and_b32_e32 v7, 0x80000000, v7
	v_lshlrev_b32_e32 v1, 20, v1
	v_lshl_add_u32 v2, v2, 23, v0
	v_or3_b32 v5, v7, v2, v1
.LBB4_4353:                             ;   in Loop: Header=BB4_4343 Depth=3
	s_or_b64 exec, exec, s[34:35]
.LBB4_4354:                             ;   in Loop: Header=BB4_4343 Depth=3
	s_or_b64 exec, exec, s[40:41]
.LBB4_4355:                             ;   in Loop: Header=BB4_4343 Depth=3
	s_or_b64 exec, exec, s[28:29]
	v_mul_f32_e32 v7, v16, v5
	v_and_b32_e32 v2, 0x7f800000, v7
	v_cmp_ne_u64_e32 vcc, s[62:63], v[2:3]
                                        ; implicit-def: $vgpr2
	s_and_saveexec_b64 s[28:29], vcc
	s_xor_b64 s[40:41], exec, s[28:29]
	s_cbranch_execz .LBB4_4373
; %bb.4356:                             ;   in Loop: Header=BB4_4343 Depth=3
	v_and_b32_e32 v2, 0x7fffffff, v7
	v_cmp_gt_u64_e32 vcc, s[72:73], v[2:3]
	v_and_b32_sdwa v5, v7, s70 dst_sel:DWORD dst_unused:UNUSED_PAD src0_sel:BYTE_3 src1_sel:DWORD
                                        ; implicit-def: $vgpr2
	s_and_saveexec_b64 s[28:29], vcc
	s_xor_b64 s[34:35], exec, s[28:29]
	s_cbranch_execz .LBB4_4370
; %bb.4357:                             ;   in Loop: Header=BB4_4343 Depth=3
	v_cmp_ne_u32_e32 vcc, 0, v7
	v_mov_b32_e32 v2, 0
	s_and_saveexec_b64 s[36:37], vcc
	s_cbranch_execz .LBB4_4369
; %bb.4358:                             ;   in Loop: Header=BB4_4343 Depth=3
	v_and_b32_e32 v1, 0x7fffff, v7
	v_bfe_u32 v7, v7, 23, 8
	v_cmp_gt_u32_e64 s[28:29], s80, v7
	v_sub_u32_e32 v2, 0x79, v7
	v_cmp_eq_u32_e32 vcc, 0, v7
	v_cndmask_b32_e64 v2, 0, v2, s[28:29]
	v_mov_b32_e32 v17, 0x78
	v_or_b32_e32 v16, 0x800000, v1
	v_cndmask_b32_e32 v19, v2, v17, vcc
	v_cndmask_b32_e32 v2, v16, v1, vcc
	v_add_u32_e32 v1, 20, v19
	v_lshlrev_b64 v[16:17], v1, -1
	v_add_u32_e32 v1, 19, v19
	v_lshlrev_b64 v[20:21], v1, 1
	v_bfi_b32 v17, v17, 0, 0
	v_bfi_b32 v16, v16, 0, v2
	v_cmp_eq_u64_e64 s[28:29], v[16:17], v[20:21]
	v_lshrrev_b64 v[16:17], v19, v[2:3]
	v_mov_b32_e32 v18, v17
	v_mov_b32_e32 v17, v16
	s_and_saveexec_b64 s[38:39], s[28:29]
; %bb.4359:                             ;   in Loop: Header=BB4_4343 Depth=3
	v_bfe_u32 v1, v16, 20, 1
	v_add_co_u32_e64 v1, s[28:29], v16, v1
	v_add_co_u32_e64 v17, s[28:29], -1, v1
; %bb.4360:                             ;   in Loop: Header=BB4_4343 Depth=3
	s_or_b64 exec, exec, s[38:39]
	v_add_u32_e32 v1, 0xffffff81, v7
	v_mov_b32_e32 v2, 0xffffff82
	v_cndmask_b32_e32 v1, v1, v2, vcc
	v_lshrrev_b32_e32 v2, 23, v16
	v_add3_u32 v18, v19, v1, v2
	v_add_u32_e32 v1, 6, v18
	v_and_b32_e32 v2, 0xfffff, v17
	v_add_u32_e32 v2, v2, v16
	v_cmp_ne_u32_e32 vcc, 0, v1
                                        ; implicit-def: $vgpr16_vgpr17
                                        ; implicit-def: $vgpr7
	s_and_saveexec_b64 s[28:29], vcc
	s_xor_b64 s[28:29], exec, s[28:29]
; %bb.4361:                             ;   in Loop: Header=BB4_4343 Depth=3
	v_cmp_lt_u64_e32 vcc, s[88:89], v[2:3]
	v_add_u32_e32 v7, 7, v18
	v_cndmask_b32_e32 v7, v1, v7, vcc
	v_cndmask_b32_e64 v1, 0, 1, vcc
	v_lshrrev_b64 v[16:17], v1, v[2:3]
; %bb.4362:                             ;   in Loop: Header=BB4_4343 Depth=3
	s_andn2_saveexec_b64 s[28:29], s[28:29]
; %bb.4363:                             ;   in Loop: Header=BB4_4343 Depth=3
	v_mov_b32_e32 v17, v3
	v_bfe_u32 v7, v2, 23, 1
	v_mov_b32_e32 v16, v2
; %bb.4364:                             ;   in Loop: Header=BB4_4343 Depth=3
	s_or_b64 exec, exec, s[28:29]
	v_lshrrev_b64 v[1:2], 20, v[16:17]
	v_cmp_gt_i32_e32 vcc, 16, v7
	v_cndmask_b32_e32 v17, 0, v2, vcc
	v_cndmask_b32_e32 v16, 7, v1, vcc
	v_cmp_ne_u64_e32 vcc, 0, v[16:17]
	v_cmp_ne_u32_e64 s[28:29], 0, v7
	s_or_b64 s[28:29], s[28:29], vcc
                                        ; implicit-def: $vgpr2
	s_and_saveexec_b64 s[44:45], s[28:29]
	s_xor_b64 s[28:29], exec, s[44:45]
; %bb.4365:                             ;   in Loop: Header=BB4_4343 Depth=3
	v_min_i32_e32 v1, 15, v7
	v_lshl_or_b32 v1, v1, 3, v5
	v_and_or_b32 v2, v16, 7, v1
                                        ; implicit-def: $vgpr5
; %bb.4366:                             ;   in Loop: Header=BB4_4343 Depth=3
	s_andn2_saveexec_b64 s[28:29], s[28:29]
; %bb.4367:                             ;   in Loop: Header=BB4_4343 Depth=3
	v_mov_b32_e32 v2, v5
; %bb.4368:                             ;   in Loop: Header=BB4_4343 Depth=3
	s_or_b64 exec, exec, s[28:29]
.LBB4_4369:                             ;   in Loop: Header=BB4_4343 Depth=3
	s_or_b64 exec, exec, s[36:37]
                                        ; implicit-def: $vgpr5
.LBB4_4370:                             ;   in Loop: Header=BB4_4343 Depth=3
	s_andn2_saveexec_b64 s[28:29], s[34:35]
; %bb.4371:                             ;   in Loop: Header=BB4_4343 Depth=3
	v_or_b32_e32 v2, 0x7e, v5
; %bb.4372:                             ;   in Loop: Header=BB4_4343 Depth=3
	s_or_b64 exec, exec, s[28:29]
                                        ; implicit-def: $vgpr7
.LBB4_4373:                             ;   in Loop: Header=BB4_4343 Depth=3
	s_andn2_saveexec_b64 s[28:29], s[40:41]
; %bb.4374:                             ;   in Loop: Header=BB4_4343 Depth=3
	v_or_b32_sdwa v2, v7, s71 dst_sel:DWORD dst_unused:UNUSED_PAD src0_sel:BYTE_3 src1_sel:DWORD
; %bb.4375:                             ;   in Loop: Header=BB4_4343 Depth=3
	s_or_b64 exec, exec, s[28:29]
	s_mov_b64 s[36:37], 0
	s_mov_b64 s[34:35], -1
.LBB4_4376:                             ;   Parent Loop BB4_47 Depth=1
                                        ;     Parent Loop BB4_2384 Depth=2
                                        ;       Parent Loop BB4_4343 Depth=3
                                        ; =>      This Inner Loop Header: Depth=4
	s_cmp_eq_u32 s36, 1
	s_cselect_b64 vcc, -1, 0
	v_cndmask_b32_e32 v16, v8, v10, vcc
	v_cndmask_b32_e32 v17, v9, v11, vcc
	v_add_co_u32_e64 v1, s[28:29], 64, v16
	s_cmp_eq_u32 s36, 0
	v_addc_co_u32_e64 v5, s[28:29], 0, v17, s[28:29]
	s_cselect_b64 s[28:29], -1, 0
	s_and_b64 s[40:41], exec, s[34:35]
	s_mov_b64 s[36:37], 1
	s_mov_b64 s[34:35], 0
	v_cndmask_b32_e32 v11, v11, v5, vcc
	v_cndmask_b32_e32 v10, v10, v1, vcc
	v_cndmask_b32_e64 v9, v9, v5, s[28:29]
	v_cndmask_b32_e64 v8, v8, v1, s[28:29]
	s_mov_b64 vcc, s[40:41]
	flat_store_byte v[16:17], v2 glc slc
	s_cbranch_vccnz .LBB4_4376
; %bb.4377:                             ;   in Loop: Header=BB4_4343 Depth=3
	buffer_load_dword v1, off, s[0:3], s33 offset:128 ; 4-byte Folded Reload
	buffer_load_dword v2, off, s[0:3], s33 offset:132 ; 4-byte Folded Reload
	v_sub_u32_e32 v6, v6, v47
	s_waitcnt vmcnt(0)
	v_add_co_u32_e32 v12, vcc, v12, v1
	v_addc_co_u32_e32 v13, vcc, v13, v2, vcc
	v_add_co_u32_e32 v14, vcc, v14, v1
	buffer_load_dword v1, off, s[0:3], s33 offset:120 ; 4-byte Folded Reload
	v_addc_co_u32_e32 v15, vcc, v15, v2, vcc
	buffer_load_dword v2, off, s[0:3], s33 offset:124 ; 4-byte Folded Reload
	s_waitcnt vmcnt(0)
	v_add_co_u32_e32 v8, vcc, v8, v1
	v_addc_co_u32_e32 v9, vcc, v9, v2, vcc
	v_cmp_gt_i32_e32 vcc, 1, v6
	s_or_b64 s[30:31], vcc, s[30:31]
	v_add_co_u32_e32 v10, vcc, v10, v1
	v_addc_co_u32_e32 v11, vcc, v11, v2, vcc
	s_andn2_b64 exec, exec, s[30:31]
	s_cbranch_execnz .LBB4_4343
.LBB4_4378:                             ;   in Loop: Header=BB4_2384 Depth=2
	s_or_b64 exec, exec, s[42:43]
	s_branch .LBB4_6295
.LBB4_4379:                             ;   in Loop: Header=BB4_2384 Depth=2
	s_mov_b64 s[40:41], -1
	s_and_saveexec_b64 s[28:29], s[22:23]
	s_cbranch_execz .LBB4_4381
; %bb.4380:                             ;   in Loop: Header=BB4_2384 Depth=2
	ds_read_b32 v1, v0 offset:720
	s_waitcnt lgkmcnt(0)
	v_and_b32_e32 v1, 15, v1
	v_cmp_eq_u32_e32 vcc, 0, v1
	s_orn2_b64 s[40:41], vcc, exec
.LBB4_4381:                             ;   in Loop: Header=BB4_2384 Depth=2
	s_or_b64 exec, exec, s[28:29]
	s_and_saveexec_b64 s[28:29], s[18:19]
	s_cbranch_execz .LBB4_4383
; %bb.4382:                             ;   in Loop: Header=BB4_2384 Depth=2
	ds_read_b32 v1, v0 offset:784
	s_waitcnt lgkmcnt(0)
	v_and_b32_e32 v1, 15, v1
	v_cmp_eq_u32_e32 vcc, 0, v1
	s_and_b64 s[42:43], s[40:41], vcc
	s_andn2_b64 s[40:41], s[40:41], exec
	s_and_b64 s[42:43], s[42:43], exec
	s_or_b64 s[40:41], s[40:41], s[42:43]
.LBB4_4383:                             ;   in Loop: Header=BB4_2384 Depth=2
	s_or_b64 exec, exec, s[28:29]
	buffer_load_dword v7, off, s[0:3], s33 offset:172 ; 4-byte Folded Reload
	buffer_load_dword v2, off, s[0:3], s33 offset:112 ; 4-byte Folded Reload
	s_xor_b64 s[40:41], s[40:41], -1
	v_cndmask_b32_e64 v1, 0, 1, s[40:41]
	s_mov_b64 s[28:29], -1
	v_mov_b32_e32 v61, 0
	v_cmp_ne_u32_e32 vcc, 0, v1
	v_mov_b32_e32 v18, v40
	s_cbranch_vccz .LBB4_4385
; %bb.4384:                             ;   in Loop: Header=BB4_2384 Depth=2
	s_and_saveexec_b64 s[40:41], s[28:29]
	s_cbranch_execnz .LBB4_5742
	s_branch .LBB4_6294
.LBB4_4385:                             ;   in Loop: Header=BB4_2384 Depth=2
	v_ashrrev_i32_e32 v1, 31, v40
	v_lshrrev_b32_e32 v1, 21, v1
	v_add_u32_e32 v1, v40, v1
	v_ashrrev_i32_e32 v41, 11, v1
	buffer_load_dword v1, off, s[0:3], s33 offset:112 ; 4-byte Folded Reload
	s_waitcnt vmcnt(0)
	v_sub_u32_e32 v52, v41, v1
	v_cmp_lt_i32_e32 vcc, 0, v52
	s_and_saveexec_b64 s[40:41], vcc
	s_cbranch_execz .LBB4_5285
; %bb.4386:                             ;   in Loop: Header=BB4_2384 Depth=2
	s_trap 2
	ds_read_b64 v[1:2], v0
	buffer_load_dword v5, off, s[0:3], s33 offset:228 ; 4-byte Folded Reload
	buffer_load_dword v6, off, s[0:3], s33 offset:200 ; 4-byte Folded Reload
	;; [unrolled: 1-line block ×3, first 2 shown]
	s_mov_b64 s[42:43], 0
	s_waitcnt vmcnt(0)
	v_add_co_u32_e32 v26, vcc, v6, v5
	buffer_load_dword v6, off, s[0:3], s33 offset:232 ; 4-byte Folded Reload
	s_waitcnt vmcnt(0)
	v_addc_co_u32_e32 v27, vcc, v7, v6, vcc
	s_waitcnt lgkmcnt(0)
	v_add_co_u32_e32 v28, vcc, v1, v5
	v_addc_co_u32_e32 v29, vcc, v2, v6, vcc
	buffer_load_dword v1, off, s[0:3], s33 offset:188 ; 4-byte Folded Reload
	buffer_load_dword v2, off, s[0:3], s33 offset:192 ; 4-byte Folded Reload
	s_waitcnt vmcnt(1)
	v_add_co_u32_e32 v30, vcc, v1, v5
	s_waitcnt vmcnt(0)
	v_addc_co_u32_e32 v31, vcc, v2, v6, vcc
	s_branch .LBB4_4388
.LBB4_4387:                             ;   in Loop: Header=BB4_4388 Depth=3
	s_or_b64 exec, exec, s[28:29]
	v_lshl_or_b32 v1, v34, 8, v55
	v_lshlrev_b32_e32 v6, 16, v24
	v_lshlrev_b32_e32 v7, 24, v25
	v_or3_b32 v6, v1, v6, v7
	buffer_load_dword v1, off, s[0:3], s33 offset:176 ; 4-byte Folded Reload
	v_lshlrev_b32_e32 v7, 24, v53
	v_lshlrev_b32_e32 v8, 24, v59
	v_lshl_or_b32 v9, v42, 8, v56
	v_lshlrev_b32_e32 v10, 24, v17
	v_lshlrev_b32_e32 v11, 24, v54
	;; [unrolled: 1-line block ×3, first 2 shown]
	s_waitcnt vmcnt(0)
	v_lshl_or_b32 v1, v5, 8, v1
	v_lshlrev_b32_e32 v5, 16, v37
	v_or3_b32 v5, v1, v5, v7
	v_lshl_or_b32 v1, v45, 8, v35
	v_lshlrev_b32_e32 v7, 16, v58
	v_or3_b32 v7, v1, v7, v8
	v_lshlrev_b32_e32 v1, 24, v19
	v_lshlrev_b32_e32 v8, 16, v20
	v_or3_b32 v8, v9, v8, v1
	v_lshl_or_b32 v1, v57, 8, v36
	v_lshlrev_b32_e32 v9, 16, v16
	v_or3_b32 v10, v1, v9, v10
	v_lshl_or_b32 v1, v22, 8, v21
	;; [unrolled: 3-line block ×3, first 2 shown]
	v_lshlrev_b32_e32 v11, 16, v61
	v_or3_b32 v11, v1, v11, v13
	v_lshlrev_b32_e32 v1, 24, v2
	v_lshlrev_b32_e32 v2, 16, v12
	v_lshl_or_b32 v12, v43, 8, v50
	v_or3_b32 v12, v12, v2, v1
	global_store_dwordx4 v[30:31], v[5:8], off glc slc
	global_store_dwordx4 v[30:31], v[9:12], off offset:1024 glc slc
	buffer_load_dword v2, off, s[0:3], s33 offset:72 ; 4-byte Folded Reload
	buffer_load_dword v1, off, s[0:3], s33 offset:64 ; 4-byte Folded Reload
	s_waitcnt vmcnt(1)
	v_add_co_u32_e32 v26, vcc, v26, v2
	v_addc_co_u32_e32 v27, vcc, 0, v27, vcc
	v_add_co_u32_e32 v28, vcc, v28, v2
	v_addc_co_u32_e32 v29, vcc, 0, v29, vcc
	s_waitcnt vmcnt(0)
	v_sub_u32_e32 v52, v52, v1
	v_cmp_gt_i32_e32 vcc, 1, v52
	s_or_b64 s[42:43], vcc, s[42:43]
	v_add_co_u32_e32 v30, vcc, v30, v2
	v_addc_co_u32_e32 v31, vcc, 0, v31, vcc
	s_andn2_b64 exec, exec, s[42:43]
	s_cbranch_execz .LBB4_5284
.LBB4_4388:                             ;   Parent Loop BB4_47 Depth=1
                                        ;     Parent Loop BB4_2384 Depth=2
                                        ; =>    This Inner Loop Header: Depth=3
	global_load_dwordx4 v[20:23], v[26:27], off glc slc
	global_load_dwordx4 v[12:15], v[26:27], off offset:1024 glc slc
	global_load_dwordx4 v[16:19], v[28:29], off glc slc
	global_load_dwordx4 v[8:11], v[28:29], off offset:1024 glc slc
	v_mov_b32_e32 v2, 0
	v_mov_b32_e32 v5, 0
	s_waitcnt vmcnt(3)
	v_cmp_ne_u16_sdwa s[44:45], v20, v3 src0_sel:BYTE_0 src1_sel:DWORD
	s_and_saveexec_b64 s[28:29], s[44:45]
	s_cbranch_execz .LBB4_4394
; %bb.4389:                             ;   in Loop: Header=BB4_4388 Depth=3
	v_cmp_ne_u16_sdwa s[44:45], v20, s70 src0_sel:BYTE_0 src1_sel:DWORD
	v_bfrev_b32_e32 v5, 1
	s_and_saveexec_b64 s[30:31], s[44:45]
	s_cbranch_execz .LBB4_4393
; %bb.4390:                             ;   in Loop: Header=BB4_4388 Depth=3
	v_and_b32_e32 v1, 0x7f, v20
	v_cmp_ne_u32_e32 vcc, s71, v1
	v_mov_b32_e32 v5, 0x7f800001
	s_and_saveexec_b64 s[34:35], vcc
	s_cbranch_execz .LBB4_4392
; %bb.4391:                             ;   in Loop: Header=BB4_4388 Depth=3
	v_and_b32_e32 v5, 7, v20
	v_lshrrev_b32_e32 v6, 3, v1
	v_cmp_gt_u32_e32 vcc, 8, v1
	v_ffbh_u32_e32 v1, v5
	v_min_u32_e32 v1, 32, v1
	v_subrev_u32_e32 v5, 28, v1
	v_sub_u32_e32 v1, 29, v1
	v_cndmask_b32_e32 v5, 0, v5, vcc
	v_cndmask_b32_e32 v1, v6, v1, vcc
	v_lshlrev_b64 v[5:6], v5, v[20:21]
	v_lshlrev_b32_e32 v6, 24, v20
	v_lshlrev_b32_e32 v5, 20, v5
	v_and_b32_e32 v5, 0x700000, v5
	v_and_b32_e32 v6, 0x80000000, v6
	v_lshl_add_u32 v1, v1, 23, v0
	v_or3_b32 v5, v6, v1, v5
.LBB4_4392:                             ;   in Loop: Header=BB4_4388 Depth=3
	s_or_b64 exec, exec, s[34:35]
.LBB4_4393:                             ;   in Loop: Header=BB4_4388 Depth=3
	s_or_b64 exec, exec, s[30:31]
.LBB4_4394:                             ;   in Loop: Header=BB4_4388 Depth=3
	s_or_b64 exec, exec, s[28:29]
	s_waitcnt vmcnt(1)
	v_cmp_ne_u16_sdwa s[44:45], v16, v3 src0_sel:BYTE_0 src1_sel:DWORD
	s_and_saveexec_b64 s[28:29], s[44:45]
	s_cbranch_execz .LBB4_4400
; %bb.4395:                             ;   in Loop: Header=BB4_4388 Depth=3
	v_cmp_ne_u16_sdwa s[44:45], v16, s70 src0_sel:BYTE_0 src1_sel:DWORD
	v_bfrev_b32_e32 v2, 1
	s_and_saveexec_b64 s[30:31], s[44:45]
	s_cbranch_execz .LBB4_4399
; %bb.4396:                             ;   in Loop: Header=BB4_4388 Depth=3
	v_and_b32_e32 v1, 0x7f, v16
	v_cmp_ne_u32_e32 vcc, s71, v1
	v_mov_b32_e32 v2, 0x7f800001
	s_and_saveexec_b64 s[34:35], vcc
	s_cbranch_execz .LBB4_4398
; %bb.4397:                             ;   in Loop: Header=BB4_4388 Depth=3
	v_and_b32_e32 v2, 7, v16
	v_lshrrev_b32_e32 v6, 3, v1
	v_cmp_gt_u32_e32 vcc, 8, v1
	v_ffbh_u32_e32 v1, v2
	v_min_u32_e32 v1, 32, v1
	v_subrev_u32_e32 v2, 28, v1
	v_sub_u32_e32 v1, 29, v1
	v_cndmask_b32_e32 v6, v6, v1, vcc
	v_cndmask_b32_e32 v1, 0, v2, vcc
	v_lshlrev_b64 v[1:2], v1, v[16:17]
	v_lshlrev_b32_e32 v2, 24, v16
	v_lshlrev_b32_e32 v1, 20, v1
	v_and_b32_e32 v1, 0x700000, v1
	v_and_b32_e32 v2, 0x80000000, v2
	v_lshl_add_u32 v6, v6, 23, v0
	v_or3_b32 v2, v2, v6, v1
.LBB4_4398:                             ;   in Loop: Header=BB4_4388 Depth=3
	s_or_b64 exec, exec, s[34:35]
.LBB4_4399:                             ;   in Loop: Header=BB4_4388 Depth=3
	s_or_b64 exec, exec, s[30:31]
.LBB4_4400:                             ;   in Loop: Header=BB4_4388 Depth=3
	s_or_b64 exec, exec, s[28:29]
	v_mul_f32_e32 v24, v5, v2
	v_and_b32_e32 v2, 0x7f800000, v24
	v_cmp_ne_u64_e32 vcc, s[62:63], v[2:3]
                                        ; implicit-def: $vgpr1
                                        ; kill: killed $vgpr1
	s_and_saveexec_b64 s[28:29], vcc
	s_xor_b64 s[30:31], exec, s[28:29]
	s_cbranch_execz .LBB4_4414
; %bb.4401:                             ;   in Loop: Header=BB4_4388 Depth=3
	v_and_b32_e32 v2, 0x7fffffff, v24
	v_cmp_gt_u64_e32 vcc, s[72:73], v[2:3]
	v_and_b32_sdwa v5, v24, s70 dst_sel:DWORD dst_unused:UNUSED_PAD src0_sel:BYTE_3 src1_sel:DWORD
                                        ; implicit-def: $vgpr1
                                        ; kill: killed $vgpr1
	s_and_saveexec_b64 s[28:29], vcc
	s_xor_b64 s[34:35], exec, s[28:29]
	s_cbranch_execz .LBB4_4411
; %bb.4402:                             ;   in Loop: Header=BB4_4388 Depth=3
	v_mov_b32_e32 v1, 0
	v_cmp_ne_u32_e32 vcc, 0, v24
	buffer_store_dword v1, off, s[0:3], s33 offset:176 ; 4-byte Folded Spill
	s_and_saveexec_b64 s[36:37], vcc
	s_cbranch_execz .LBB4_4410
; %bb.4403:                             ;   in Loop: Header=BB4_4388 Depth=3
	v_bfe_u32 v7, v24, 23, 8
	v_cmp_gt_u32_e64 s[28:29], s80, v7
	v_sub_u32_e32 v2, 0x79, v7
	v_and_b32_e32 v1, 0x7fffff, v24
	v_cmp_eq_u32_e32 vcc, 0, v7
	v_cndmask_b32_e64 v2, 0, v2, s[28:29]
	v_mov_b32_e32 v24, 0x78
	v_or_b32_e32 v6, 0x800000, v1
	v_cndmask_b32_e32 v34, v2, v24, vcc
	v_cndmask_b32_e32 v2, v6, v1, vcc
	v_add_u32_e32 v1, 20, v34
	v_lshlrev_b64 v[24:25], v1, -1
	v_add_u32_e32 v1, 19, v34
	v_lshlrev_b64 v[35:36], v1, 1
	v_bfi_b32 v25, v25, 0, 0
	v_bfi_b32 v24, v24, 0, v2
	v_cmp_eq_u64_e64 s[28:29], v[24:25], v[35:36]
	v_lshrrev_b64 v[24:25], v34, v[2:3]
	v_mov_b32_e32 v59, v25
	v_mov_b32_e32 v58, v24
	s_and_saveexec_b64 s[38:39], s[28:29]
; %bb.4404:                             ;   in Loop: Header=BB4_4388 Depth=3
	v_bfe_u32 v1, v24, 20, 1
	v_add_co_u32_e64 v1, s[28:29], v24, v1
	v_add_co_u32_e64 v58, s[28:29], -1, v1
; %bb.4405:                             ;   in Loop: Header=BB4_4388 Depth=3
	s_or_b64 exec, exec, s[38:39]
	v_add_u32_e32 v1, 0xffffff81, v7
	v_mov_b32_e32 v2, 0xffffff82
	v_cndmask_b32_e32 v1, v1, v2, vcc
	v_lshrrev_b32_e32 v2, 23, v24
	v_add3_u32 v6, v34, v1, v2
	v_add_u32_e32 v1, 6, v6
	v_and_b32_e32 v2, 0xfffff, v58
	v_add_u32_e32 v2, v2, v24
	v_cmp_ne_u32_e32 vcc, 0, v1
                                        ; implicit-def: $vgpr24_vgpr25
                                        ; implicit-def: $vgpr7
	s_and_saveexec_b64 s[28:29], vcc
	s_xor_b64 s[28:29], exec, s[28:29]
; %bb.4406:                             ;   in Loop: Header=BB4_4388 Depth=3
	v_cmp_lt_u64_e32 vcc, s[88:89], v[2:3]
	v_add_u32_e32 v6, 7, v6
	v_cndmask_b32_e32 v7, v1, v6, vcc
	v_cndmask_b32_e64 v1, 0, 1, vcc
	v_lshrrev_b64 v[24:25], v1, v[2:3]
; %bb.4407:                             ;   in Loop: Header=BB4_4388 Depth=3
	s_andn2_saveexec_b64 s[28:29], s[28:29]
; %bb.4408:                             ;   in Loop: Header=BB4_4388 Depth=3
	v_mov_b32_e32 v25, v3
	v_bfe_u32 v7, v2, 23, 1
	v_mov_b32_e32 v24, v2
; %bb.4409:                             ;   in Loop: Header=BB4_4388 Depth=3
	s_or_b64 exec, exec, s[28:29]
	v_lshrrev_b64 v[1:2], 20, v[24:25]
	v_cmp_gt_i32_e32 vcc, 16, v7
	v_cndmask_b32_e32 v2, 0, v2, vcc
	v_cndmask_b32_e32 v1, 7, v1, vcc
	v_cmp_eq_u64_e64 s[28:29], 0, v[1:2]
	v_min_i32_e32 v2, 15, v7
	v_lshlrev_b32_e32 v2, 3, v2
	v_cmp_eq_u32_e32 vcc, 0, v7
	v_and_b32_e32 v2, 0xf8, v2
	v_and_or_b32 v1, v1, 7, v2
	s_and_b64 s[28:29], vcc, s[28:29]
	v_cndmask_b32_e64 v1, v1, 0, s[28:29]
	v_or_b32_e32 v1, v1, v5
	buffer_store_dword v1, off, s[0:3], s33 offset:176 ; 4-byte Folded Spill
.LBB4_4410:                             ;   in Loop: Header=BB4_4388 Depth=3
	s_or_b64 exec, exec, s[36:37]
                                        ; implicit-def: $vgpr5
.LBB4_4411:                             ;   in Loop: Header=BB4_4388 Depth=3
	s_andn2_saveexec_b64 s[28:29], s[34:35]
	s_cbranch_execz .LBB4_4413
; %bb.4412:                             ;   in Loop: Header=BB4_4388 Depth=3
	v_or_b32_e32 v1, 0x7e, v5
	buffer_store_dword v1, off, s[0:3], s33 offset:176 ; 4-byte Folded Spill
.LBB4_4413:                             ;   in Loop: Header=BB4_4388 Depth=3
	s_or_b64 exec, exec, s[28:29]
                                        ; implicit-def: $vgpr24
.LBB4_4414:                             ;   in Loop: Header=BB4_4388 Depth=3
	s_andn2_saveexec_b64 s[28:29], s[30:31]
	s_cbranch_execz .LBB4_4416
; %bb.4415:                             ;   in Loop: Header=BB4_4388 Depth=3
	v_or_b32_sdwa v1, v24, s71 dst_sel:DWORD dst_unused:UNUSED_PAD src0_sel:BYTE_3 src1_sel:DWORD
	buffer_store_dword v1, off, s[0:3], s33 offset:176 ; 4-byte Folded Spill
.LBB4_4416:                             ;   in Loop: Header=BB4_4388 Depth=3
	s_or_b64 exec, exec, s[28:29]
	v_lshrrev_b16_e32 v2, 8, v20
	v_cmp_ne_u16_e32 vcc, 0, v2
	v_mov_b32_e32 v5, 0
	v_mov_b32_e32 v24, 0
	s_and_saveexec_b64 s[28:29], vcc
	s_cbranch_execz .LBB4_4422
; %bb.4417:                             ;   in Loop: Header=BB4_4388 Depth=3
	v_cmp_ne_u16_e32 vcc, s70, v2
	v_bfrev_b32_e32 v24, 1
	s_and_saveexec_b64 s[30:31], vcc
	s_cbranch_execz .LBB4_4421
; %bb.4418:                             ;   in Loop: Header=BB4_4388 Depth=3
	v_and_b32_e32 v1, 0x7f, v2
	v_cmp_ne_u32_e32 vcc, s71, v1
	v_mov_b32_e32 v24, 0x7f800001
	s_and_saveexec_b64 s[34:35], vcc
	s_cbranch_execz .LBB4_4420
; %bb.4419:                             ;   in Loop: Header=BB4_4388 Depth=3
	v_and_b32_e32 v6, 7, v2
	v_lshrrev_b32_e32 v7, 3, v1
	v_cmp_gt_u32_e32 vcc, 8, v1
	v_ffbh_u32_e32 v1, v6
	v_min_u32_e32 v24, 32, v1
	v_subrev_u32_e32 v1, 28, v24
	v_lshlrev_b64 v[1:2], v1, v[2:3]
	v_sub_u32_e32 v2, 29, v24
	v_and_b32_e32 v1, 7, v1
	v_cndmask_b32_e32 v2, v7, v2, vcc
	v_cndmask_b32_e32 v1, v6, v1, vcc
	v_lshlrev_b32_e32 v6, 16, v20
	v_lshlrev_b32_e32 v1, 20, v1
	v_and_b32_e32 v6, 0x80000000, v6
	v_lshl_add_u32 v2, v2, 23, v0
	v_or3_b32 v24, v6, v2, v1
.LBB4_4420:                             ;   in Loop: Header=BB4_4388 Depth=3
	s_or_b64 exec, exec, s[34:35]
.LBB4_4421:                             ;   in Loop: Header=BB4_4388 Depth=3
	s_or_b64 exec, exec, s[30:31]
.LBB4_4422:                             ;   in Loop: Header=BB4_4388 Depth=3
	s_or_b64 exec, exec, s[28:29]
	v_lshrrev_b16_e32 v2, 8, v16
	v_cmp_ne_u16_e32 vcc, 0, v2
	s_and_saveexec_b64 s[28:29], vcc
	s_cbranch_execz .LBB4_4428
; %bb.4423:                             ;   in Loop: Header=BB4_4388 Depth=3
	v_cmp_ne_u16_e32 vcc, s70, v2
	v_bfrev_b32_e32 v5, 1
	s_and_saveexec_b64 s[30:31], vcc
	s_cbranch_execz .LBB4_4427
; %bb.4424:                             ;   in Loop: Header=BB4_4388 Depth=3
	v_and_b32_e32 v1, 0x7f, v2
	v_cmp_ne_u32_e32 vcc, s71, v1
	v_mov_b32_e32 v5, 0x7f800001
	s_and_saveexec_b64 s[34:35], vcc
	s_cbranch_execz .LBB4_4426
; %bb.4425:                             ;   in Loop: Header=BB4_4388 Depth=3
	v_and_b32_e32 v5, 7, v2
	v_lshrrev_b32_e32 v6, 3, v1
	v_cmp_gt_u32_e32 vcc, 8, v1
	v_ffbh_u32_e32 v1, v5
	v_min_u32_e32 v7, 32, v1
	v_subrev_u32_e32 v1, 28, v7
	v_lshlrev_b64 v[1:2], v1, v[2:3]
	v_sub_u32_e32 v2, 29, v7
	v_and_b32_e32 v1, 7, v1
	v_cndmask_b32_e32 v2, v6, v2, vcc
	v_cndmask_b32_e32 v1, v5, v1, vcc
	v_lshlrev_b32_e32 v5, 16, v16
	v_lshlrev_b32_e32 v1, 20, v1
	v_and_b32_e32 v5, 0x80000000, v5
	v_lshl_add_u32 v2, v2, 23, v0
	v_or3_b32 v5, v5, v2, v1
.LBB4_4426:                             ;   in Loop: Header=BB4_4388 Depth=3
	s_or_b64 exec, exec, s[34:35]
.LBB4_4427:                             ;   in Loop: Header=BB4_4388 Depth=3
	s_or_b64 exec, exec, s[30:31]
.LBB4_4428:                             ;   in Loop: Header=BB4_4388 Depth=3
	s_or_b64 exec, exec, s[28:29]
	v_mul_f32_e32 v24, v24, v5
	v_and_b32_e32 v2, 0x7f800000, v24
	v_cmp_ne_u64_e32 vcc, s[62:63], v[2:3]
                                        ; implicit-def: $vgpr5
	s_and_saveexec_b64 s[28:29], vcc
	s_xor_b64 s[30:31], exec, s[28:29]
	s_cbranch_execz .LBB4_4442
; %bb.4429:                             ;   in Loop: Header=BB4_4388 Depth=3
	v_and_b32_e32 v2, 0x7fffffff, v24
	v_cmp_gt_u64_e32 vcc, s[72:73], v[2:3]
	v_and_b32_sdwa v34, v24, s70 dst_sel:DWORD dst_unused:UNUSED_PAD src0_sel:BYTE_3 src1_sel:DWORD
                                        ; implicit-def: $vgpr5
	s_and_saveexec_b64 s[28:29], vcc
	s_xor_b64 s[34:35], exec, s[28:29]
	s_cbranch_execz .LBB4_4439
; %bb.4430:                             ;   in Loop: Header=BB4_4388 Depth=3
	v_mov_b32_e32 v5, 0
	v_cmp_ne_u32_e32 vcc, 0, v24
	s_and_saveexec_b64 s[36:37], vcc
	s_cbranch_execz .LBB4_4438
; %bb.4431:                             ;   in Loop: Header=BB4_4388 Depth=3
	v_bfe_u32 v5, v24, 23, 8
	v_cmp_gt_u32_e64 s[28:29], s80, v5
	v_sub_u32_e32 v2, 0x79, v5
	v_and_b32_e32 v1, 0x7fffff, v24
	v_cmp_eq_u32_e32 vcc, 0, v5
	v_cndmask_b32_e64 v2, 0, v2, s[28:29]
	v_mov_b32_e32 v7, 0x78
	v_or_b32_e32 v6, 0x800000, v1
	v_cndmask_b32_e32 v35, v2, v7, vcc
	v_cndmask_b32_e32 v2, v6, v1, vcc
	v_add_u32_e32 v1, 20, v35
	v_lshlrev_b64 v[24:25], v1, -1
	v_add_u32_e32 v1, 19, v35
	v_lshlrev_b64 v[36:37], v1, 1
	v_bfi_b32 v25, v25, 0, 0
	v_bfi_b32 v24, v24, 0, v2
	v_cmp_eq_u64_e64 s[28:29], v[24:25], v[36:37]
	v_lshrrev_b64 v[24:25], v35, v[2:3]
	v_mov_b32_e32 v59, v25
	v_mov_b32_e32 v58, v24
	s_and_saveexec_b64 s[38:39], s[28:29]
; %bb.4432:                             ;   in Loop: Header=BB4_4388 Depth=3
	v_bfe_u32 v1, v24, 20, 1
	v_add_co_u32_e64 v1, s[28:29], v24, v1
	v_add_co_u32_e64 v58, s[28:29], -1, v1
; %bb.4433:                             ;   in Loop: Header=BB4_4388 Depth=3
	s_or_b64 exec, exec, s[38:39]
	v_add_u32_e32 v1, 0xffffff81, v5
	v_mov_b32_e32 v2, 0xffffff82
	v_cndmask_b32_e32 v1, v1, v2, vcc
	v_lshrrev_b32_e32 v2, 23, v24
	v_add3_u32 v6, v35, v1, v2
	v_add_u32_e32 v1, 6, v6
	v_and_b32_e32 v2, 0xfffff, v58
	v_add_u32_e32 v2, v2, v24
	v_cmp_ne_u32_e32 vcc, 0, v1
                                        ; implicit-def: $vgpr24_vgpr25
                                        ; implicit-def: $vgpr5
	s_and_saveexec_b64 s[28:29], vcc
	s_xor_b64 s[28:29], exec, s[28:29]
; %bb.4434:                             ;   in Loop: Header=BB4_4388 Depth=3
	v_cmp_lt_u64_e32 vcc, s[88:89], v[2:3]
	v_add_u32_e32 v5, 7, v6
	v_cndmask_b32_e32 v5, v1, v5, vcc
	v_cndmask_b32_e64 v1, 0, 1, vcc
	v_lshrrev_b64 v[24:25], v1, v[2:3]
; %bb.4435:                             ;   in Loop: Header=BB4_4388 Depth=3
	s_andn2_saveexec_b64 s[28:29], s[28:29]
; %bb.4436:                             ;   in Loop: Header=BB4_4388 Depth=3
	v_mov_b32_e32 v25, v3
	v_bfe_u32 v5, v2, 23, 1
	v_mov_b32_e32 v24, v2
; %bb.4437:                             ;   in Loop: Header=BB4_4388 Depth=3
	s_or_b64 exec, exec, s[28:29]
	v_lshrrev_b64 v[1:2], 20, v[24:25]
	v_cmp_gt_i32_e32 vcc, 16, v5
	v_cndmask_b32_e32 v2, 0, v2, vcc
	v_cndmask_b32_e32 v1, 7, v1, vcc
	v_cmp_eq_u64_e64 s[28:29], 0, v[1:2]
	v_min_i32_e32 v2, 15, v5
	v_lshlrev_b32_e32 v2, 3, v2
	v_cmp_eq_u32_e32 vcc, 0, v5
	v_and_b32_e32 v2, 0xf8, v2
	v_and_or_b32 v1, v1, 7, v2
	s_and_b64 s[28:29], vcc, s[28:29]
	v_cndmask_b32_e64 v1, v1, 0, s[28:29]
	v_or_b32_e32 v5, v1, v34
.LBB4_4438:                             ;   in Loop: Header=BB4_4388 Depth=3
	s_or_b64 exec, exec, s[36:37]
                                        ; implicit-def: $vgpr34
.LBB4_4439:                             ;   in Loop: Header=BB4_4388 Depth=3
	s_andn2_saveexec_b64 s[28:29], s[34:35]
; %bb.4440:                             ;   in Loop: Header=BB4_4388 Depth=3
	v_or_b32_e32 v5, 0x7e, v34
; %bb.4441:                             ;   in Loop: Header=BB4_4388 Depth=3
	s_or_b64 exec, exec, s[28:29]
                                        ; implicit-def: $vgpr24
.LBB4_4442:                             ;   in Loop: Header=BB4_4388 Depth=3
	s_andn2_saveexec_b64 s[28:29], s[30:31]
; %bb.4443:                             ;   in Loop: Header=BB4_4388 Depth=3
	v_or_b32_sdwa v5, v24, s71 dst_sel:DWORD dst_unused:UNUSED_PAD src0_sel:BYTE_3 src1_sel:DWORD
; %bb.4444:                             ;   in Loop: Header=BB4_4388 Depth=3
	s_or_b64 exec, exec, s[28:29]
	v_lshrrev_b32_e32 v2, 16, v20
	v_cmp_ne_u16_sdwa s[44:45], v2, v3 src0_sel:BYTE_0 src1_sel:DWORD
	v_mov_b32_e32 v24, 0
	v_mov_b32_e32 v25, 0
	s_and_saveexec_b64 s[28:29], s[44:45]
	s_cbranch_execz .LBB4_4450
; %bb.4445:                             ;   in Loop: Header=BB4_4388 Depth=3
	v_cmp_ne_u16_sdwa s[44:45], v2, s70 src0_sel:BYTE_0 src1_sel:DWORD
	v_bfrev_b32_e32 v25, 1
	s_and_saveexec_b64 s[30:31], s[44:45]
	s_cbranch_execz .LBB4_4449
; %bb.4446:                             ;   in Loop: Header=BB4_4388 Depth=3
	v_bfe_u32 v1, v20, 16, 7
	v_cmp_ne_u32_e32 vcc, s71, v1
	v_mov_b32_e32 v25, 0x7f800001
	s_and_saveexec_b64 s[34:35], vcc
	s_cbranch_execz .LBB4_4448
; %bb.4447:                             ;   in Loop: Header=BB4_4388 Depth=3
	v_and_b32_e32 v6, 7, v2
	v_lshrrev_b32_e32 v7, 3, v1
	v_cmp_gt_u32_e32 vcc, 8, v1
	v_ffbh_u32_e32 v1, v6
	v_min_u32_e32 v1, 32, v1
	v_subrev_u32_e32 v25, 28, v1
	v_lshlrev_b64 v[34:35], v25, v[2:3]
	v_sub_u32_e32 v1, 29, v1
	v_and_b32_e32 v25, 7, v34
	v_cndmask_b32_e32 v1, v7, v1, vcc
	v_cndmask_b32_e32 v6, v6, v25, vcc
	v_lshlrev_b32_e32 v2, 24, v2
	v_lshlrev_b32_e32 v6, 20, v6
	v_and_b32_e32 v2, 0x80000000, v2
	v_lshl_add_u32 v1, v1, 23, v0
	v_or3_b32 v25, v2, v1, v6
.LBB4_4448:                             ;   in Loop: Header=BB4_4388 Depth=3
	s_or_b64 exec, exec, s[34:35]
.LBB4_4449:                             ;   in Loop: Header=BB4_4388 Depth=3
	s_or_b64 exec, exec, s[30:31]
.LBB4_4450:                             ;   in Loop: Header=BB4_4388 Depth=3
	s_or_b64 exec, exec, s[28:29]
	v_lshrrev_b32_e32 v2, 16, v16
	v_cmp_ne_u16_sdwa s[44:45], v2, v3 src0_sel:BYTE_0 src1_sel:DWORD
	s_and_saveexec_b64 s[28:29], s[44:45]
	s_cbranch_execz .LBB4_4456
; %bb.4451:                             ;   in Loop: Header=BB4_4388 Depth=3
	v_cmp_ne_u16_sdwa s[44:45], v2, s70 src0_sel:BYTE_0 src1_sel:DWORD
	v_bfrev_b32_e32 v24, 1
	s_and_saveexec_b64 s[30:31], s[44:45]
	s_cbranch_execz .LBB4_4455
; %bb.4452:                             ;   in Loop: Header=BB4_4388 Depth=3
	v_bfe_u32 v1, v16, 16, 7
	v_cmp_ne_u32_e32 vcc, s71, v1
	v_mov_b32_e32 v24, 0x7f800001
	s_and_saveexec_b64 s[34:35], vcc
	s_cbranch_execz .LBB4_4454
; %bb.4453:                             ;   in Loop: Header=BB4_4388 Depth=3
	v_and_b32_e32 v6, 7, v2
	v_lshrrev_b32_e32 v7, 3, v1
	v_cmp_gt_u32_e32 vcc, 8, v1
	v_ffbh_u32_e32 v1, v6
	v_min_u32_e32 v24, 32, v1
	v_subrev_u32_e32 v1, 28, v24
	v_lshlrev_b64 v[1:2], v1, v[2:3]
	v_sub_u32_e32 v2, 29, v24
	v_and_b32_e32 v1, 7, v1
	v_cndmask_b32_e32 v2, v7, v2, vcc
	v_cndmask_b32_e32 v1, v6, v1, vcc
	v_lshlrev_b32_e32 v6, 8, v16
	v_lshlrev_b32_e32 v1, 20, v1
	v_and_b32_e32 v6, 0x80000000, v6
	v_lshl_add_u32 v2, v2, 23, v0
	v_or3_b32 v24, v6, v2, v1
.LBB4_4454:                             ;   in Loop: Header=BB4_4388 Depth=3
	s_or_b64 exec, exec, s[34:35]
.LBB4_4455:                             ;   in Loop: Header=BB4_4388 Depth=3
	s_or_b64 exec, exec, s[30:31]
.LBB4_4456:                             ;   in Loop: Header=BB4_4388 Depth=3
	s_or_b64 exec, exec, s[28:29]
	v_mul_f32_e32 v24, v25, v24
	v_and_b32_e32 v2, 0x7f800000, v24
	v_cmp_ne_u64_e32 vcc, s[62:63], v[2:3]
                                        ; implicit-def: $vgpr37
	s_and_saveexec_b64 s[28:29], vcc
	s_xor_b64 s[30:31], exec, s[28:29]
	s_cbranch_execz .LBB4_4470
; %bb.4457:                             ;   in Loop: Header=BB4_4388 Depth=3
	v_and_b32_e32 v2, 0x7fffffff, v24
	v_cmp_gt_u64_e32 vcc, s[72:73], v[2:3]
	v_and_b32_sdwa v34, v24, s70 dst_sel:DWORD dst_unused:UNUSED_PAD src0_sel:BYTE_3 src1_sel:DWORD
                                        ; implicit-def: $vgpr37
	s_and_saveexec_b64 s[28:29], vcc
	s_xor_b64 s[34:35], exec, s[28:29]
	s_cbranch_execz .LBB4_4467
; %bb.4458:                             ;   in Loop: Header=BB4_4388 Depth=3
	v_mov_b32_e32 v37, 0
	v_cmp_ne_u32_e32 vcc, 0, v24
	s_and_saveexec_b64 s[36:37], vcc
	s_cbranch_execz .LBB4_4466
; %bb.4459:                             ;   in Loop: Header=BB4_4388 Depth=3
	v_bfe_u32 v35, v24, 23, 8
	v_cmp_gt_u32_e64 s[28:29], s80, v35
	v_sub_u32_e32 v2, 0x79, v35
	v_and_b32_e32 v1, 0x7fffff, v24
	v_cmp_eq_u32_e32 vcc, 0, v35
	v_cndmask_b32_e64 v2, 0, v2, s[28:29]
	v_mov_b32_e32 v7, 0x78
	v_or_b32_e32 v6, 0x800000, v1
	v_cndmask_b32_e32 v36, v2, v7, vcc
	v_cndmask_b32_e32 v2, v6, v1, vcc
	v_add_u32_e32 v1, 20, v36
	v_lshlrev_b64 v[24:25], v1, -1
	v_add_u32_e32 v1, 19, v36
	v_lshlrev_b64 v[50:51], v1, 1
	v_bfi_b32 v25, v25, 0, 0
	v_bfi_b32 v24, v24, 0, v2
	v_cmp_eq_u64_e64 s[28:29], v[24:25], v[50:51]
	v_lshrrev_b64 v[24:25], v36, v[2:3]
	v_mov_b32_e32 v59, v25
	v_mov_b32_e32 v58, v24
	s_and_saveexec_b64 s[38:39], s[28:29]
; %bb.4460:                             ;   in Loop: Header=BB4_4388 Depth=3
	v_bfe_u32 v1, v24, 20, 1
	v_add_co_u32_e64 v1, s[28:29], v24, v1
	v_add_co_u32_e64 v58, s[28:29], -1, v1
; %bb.4461:                             ;   in Loop: Header=BB4_4388 Depth=3
	s_or_b64 exec, exec, s[38:39]
	v_add_u32_e32 v1, 0xffffff81, v35
	v_mov_b32_e32 v2, 0xffffff82
	v_cndmask_b32_e32 v1, v1, v2, vcc
	v_lshrrev_b32_e32 v2, 23, v24
	v_add3_u32 v6, v36, v1, v2
	v_add_u32_e32 v1, 6, v6
	v_and_b32_e32 v2, 0xfffff, v58
	v_add_u32_e32 v2, v2, v24
	v_cmp_ne_u32_e32 vcc, 0, v1
                                        ; implicit-def: $vgpr24_vgpr25
                                        ; implicit-def: $vgpr35
	s_and_saveexec_b64 s[28:29], vcc
	s_xor_b64 s[28:29], exec, s[28:29]
; %bb.4462:                             ;   in Loop: Header=BB4_4388 Depth=3
	v_cmp_lt_u64_e32 vcc, s[88:89], v[2:3]
	v_add_u32_e32 v6, 7, v6
	v_cndmask_b32_e32 v35, v1, v6, vcc
	v_cndmask_b32_e64 v1, 0, 1, vcc
	v_lshrrev_b64 v[24:25], v1, v[2:3]
; %bb.4463:                             ;   in Loop: Header=BB4_4388 Depth=3
	s_andn2_saveexec_b64 s[28:29], s[28:29]
; %bb.4464:                             ;   in Loop: Header=BB4_4388 Depth=3
	v_mov_b32_e32 v25, v3
	v_bfe_u32 v35, v2, 23, 1
	v_mov_b32_e32 v24, v2
; %bb.4465:                             ;   in Loop: Header=BB4_4388 Depth=3
	s_or_b64 exec, exec, s[28:29]
	v_lshrrev_b64 v[1:2], 20, v[24:25]
	v_cmp_gt_i32_e32 vcc, 16, v35
	v_cndmask_b32_e32 v2, 0, v2, vcc
	v_cndmask_b32_e32 v1, 7, v1, vcc
	v_cmp_eq_u64_e64 s[28:29], 0, v[1:2]
	v_min_i32_e32 v2, 15, v35
	v_lshlrev_b32_e32 v2, 3, v2
	v_cmp_eq_u32_e32 vcc, 0, v35
	v_and_b32_e32 v2, 0xf8, v2
	v_and_or_b32 v1, v1, 7, v2
	s_and_b64 s[28:29], vcc, s[28:29]
	v_cndmask_b32_e64 v1, v1, 0, s[28:29]
	v_or_b32_e32 v37, v1, v34
.LBB4_4466:                             ;   in Loop: Header=BB4_4388 Depth=3
	s_or_b64 exec, exec, s[36:37]
                                        ; implicit-def: $vgpr34
.LBB4_4467:                             ;   in Loop: Header=BB4_4388 Depth=3
	s_andn2_saveexec_b64 s[28:29], s[34:35]
; %bb.4468:                             ;   in Loop: Header=BB4_4388 Depth=3
	v_or_b32_e32 v37, 0x7e, v34
; %bb.4469:                             ;   in Loop: Header=BB4_4388 Depth=3
	s_or_b64 exec, exec, s[28:29]
                                        ; implicit-def: $vgpr24
.LBB4_4470:                             ;   in Loop: Header=BB4_4388 Depth=3
	s_andn2_saveexec_b64 s[28:29], s[30:31]
; %bb.4471:                             ;   in Loop: Header=BB4_4388 Depth=3
	v_or_b32_sdwa v37, v24, s71 dst_sel:DWORD dst_unused:UNUSED_PAD src0_sel:BYTE_3 src1_sel:DWORD
; %bb.4472:                             ;   in Loop: Header=BB4_4388 Depth=3
	s_or_b64 exec, exec, s[28:29]
	v_cmp_lt_u32_e32 vcc, s57, v20
	v_mov_b32_e32 v24, 0
	v_mov_b32_e32 v25, 0
	s_and_saveexec_b64 s[28:29], vcc
	s_cbranch_execz .LBB4_4478
; %bb.4473:                             ;   in Loop: Header=BB4_4388 Depth=3
	v_lshrrev_b32_e32 v2, 24, v20
	v_cmp_ne_u32_e32 vcc, s70, v2
	v_bfrev_b32_e32 v25, 1
	s_and_saveexec_b64 s[30:31], vcc
	s_cbranch_execz .LBB4_4477
; %bb.4474:                             ;   in Loop: Header=BB4_4388 Depth=3
	v_bfe_u32 v1, v20, 24, 7
	v_cmp_ne_u32_e32 vcc, s71, v1
	v_mov_b32_e32 v25, 0x7f800001
	s_and_saveexec_b64 s[34:35], vcc
	s_cbranch_execz .LBB4_4476
; %bb.4475:                             ;   in Loop: Header=BB4_4388 Depth=3
	v_and_b32_e32 v6, 7, v2
	v_lshrrev_b32_e32 v7, 3, v1
	v_cmp_gt_u32_e32 vcc, 8, v1
	v_ffbh_u32_e32 v1, v6
	v_min_u32_e32 v1, 32, v1
	v_subrev_u32_e32 v25, 28, v1
	v_lshlrev_b64 v[34:35], v25, v[2:3]
	v_sub_u32_e32 v1, 29, v1
	v_and_b32_e32 v25, 7, v34
	v_cndmask_b32_e32 v1, v7, v1, vcc
	v_cndmask_b32_e32 v6, v6, v25, vcc
	v_lshlrev_b32_e32 v2, 24, v2
	v_lshlrev_b32_e32 v6, 20, v6
	v_and_b32_e32 v2, 0x80000000, v2
	v_lshl_add_u32 v1, v1, 23, v0
	v_or3_b32 v25, v2, v1, v6
.LBB4_4476:                             ;   in Loop: Header=BB4_4388 Depth=3
	s_or_b64 exec, exec, s[34:35]
.LBB4_4477:                             ;   in Loop: Header=BB4_4388 Depth=3
	s_or_b64 exec, exec, s[30:31]
.LBB4_4478:                             ;   in Loop: Header=BB4_4388 Depth=3
	s_or_b64 exec, exec, s[28:29]
	v_cmp_lt_u32_e32 vcc, s57, v16
	s_and_saveexec_b64 s[28:29], vcc
	s_cbranch_execz .LBB4_4484
; %bb.4479:                             ;   in Loop: Header=BB4_4388 Depth=3
	v_lshrrev_b32_e32 v2, 24, v16
	v_cmp_ne_u32_e32 vcc, s70, v2
	v_bfrev_b32_e32 v24, 1
	s_and_saveexec_b64 s[30:31], vcc
	s_cbranch_execz .LBB4_4483
; %bb.4480:                             ;   in Loop: Header=BB4_4388 Depth=3
	v_bfe_u32 v1, v16, 24, 7
	v_cmp_ne_u32_e32 vcc, s71, v1
	v_mov_b32_e32 v24, 0x7f800001
	s_and_saveexec_b64 s[34:35], vcc
	s_cbranch_execz .LBB4_4482
; %bb.4481:                             ;   in Loop: Header=BB4_4388 Depth=3
	v_and_b32_e32 v6, 7, v2
	v_lshrrev_b32_e32 v7, 3, v1
	v_cmp_gt_u32_e32 vcc, 8, v1
	v_ffbh_u32_e32 v1, v6
	v_min_u32_e32 v1, 32, v1
	v_subrev_u32_e32 v24, 28, v1
	v_lshlrev_b64 v[34:35], v24, v[2:3]
	v_sub_u32_e32 v1, 29, v1
	v_and_b32_e32 v24, 7, v34
	v_cndmask_b32_e32 v1, v7, v1, vcc
	v_cndmask_b32_e32 v6, v6, v24, vcc
	v_lshlrev_b32_e32 v2, 24, v2
	v_lshlrev_b32_e32 v6, 20, v6
	v_and_b32_e32 v2, 0x80000000, v2
	v_lshl_add_u32 v1, v1, 23, v0
	v_or3_b32 v24, v2, v1, v6
.LBB4_4482:                             ;   in Loop: Header=BB4_4388 Depth=3
	s_or_b64 exec, exec, s[34:35]
.LBB4_4483:                             ;   in Loop: Header=BB4_4388 Depth=3
	s_or_b64 exec, exec, s[30:31]
.LBB4_4484:                             ;   in Loop: Header=BB4_4388 Depth=3
	s_or_b64 exec, exec, s[28:29]
	v_mul_f32_e32 v24, v25, v24
	v_and_b32_e32 v2, 0x7f800000, v24
	v_cmp_ne_u64_e32 vcc, s[62:63], v[2:3]
                                        ; implicit-def: $vgpr53
	s_and_saveexec_b64 s[28:29], vcc
	s_xor_b64 s[30:31], exec, s[28:29]
	s_cbranch_execz .LBB4_4498
; %bb.4485:                             ;   in Loop: Header=BB4_4388 Depth=3
	v_and_b32_e32 v2, 0x7fffffff, v24
	v_cmp_gt_u64_e32 vcc, s[72:73], v[2:3]
	v_and_b32_sdwa v34, v24, s70 dst_sel:DWORD dst_unused:UNUSED_PAD src0_sel:BYTE_3 src1_sel:DWORD
                                        ; implicit-def: $vgpr53
	s_and_saveexec_b64 s[28:29], vcc
	s_xor_b64 s[34:35], exec, s[28:29]
	s_cbranch_execz .LBB4_4495
; %bb.4486:                             ;   in Loop: Header=BB4_4388 Depth=3
	v_mov_b32_e32 v53, 0
	v_cmp_ne_u32_e32 vcc, 0, v24
	s_and_saveexec_b64 s[36:37], vcc
	s_cbranch_execz .LBB4_4494
; %bb.4487:                             ;   in Loop: Header=BB4_4388 Depth=3
	v_bfe_u32 v35, v24, 23, 8
	v_cmp_gt_u32_e64 s[28:29], s80, v35
	v_sub_u32_e32 v2, 0x79, v35
	v_and_b32_e32 v1, 0x7fffff, v24
	v_cmp_eq_u32_e32 vcc, 0, v35
	v_cndmask_b32_e64 v2, 0, v2, s[28:29]
	v_mov_b32_e32 v7, 0x78
	v_or_b32_e32 v6, 0x800000, v1
	v_cndmask_b32_e32 v36, v2, v7, vcc
	v_cndmask_b32_e32 v2, v6, v1, vcc
	v_add_u32_e32 v1, 20, v36
	v_lshlrev_b64 v[24:25], v1, -1
	v_add_u32_e32 v1, 19, v36
	v_lshlrev_b64 v[50:51], v1, 1
	v_bfi_b32 v25, v25, 0, 0
	v_bfi_b32 v24, v24, 0, v2
	v_cmp_eq_u64_e64 s[28:29], v[24:25], v[50:51]
	v_lshrrev_b64 v[24:25], v36, v[2:3]
	v_mov_b32_e32 v59, v25
	v_mov_b32_e32 v58, v24
	s_and_saveexec_b64 s[38:39], s[28:29]
; %bb.4488:                             ;   in Loop: Header=BB4_4388 Depth=3
	v_bfe_u32 v1, v24, 20, 1
	v_add_co_u32_e64 v1, s[28:29], v24, v1
	v_add_co_u32_e64 v58, s[28:29], -1, v1
; %bb.4489:                             ;   in Loop: Header=BB4_4388 Depth=3
	s_or_b64 exec, exec, s[38:39]
	v_add_u32_e32 v1, 0xffffff81, v35
	v_mov_b32_e32 v2, 0xffffff82
	v_cndmask_b32_e32 v1, v1, v2, vcc
	v_lshrrev_b32_e32 v2, 23, v24
	v_add3_u32 v6, v36, v1, v2
	v_add_u32_e32 v1, 6, v6
	v_and_b32_e32 v2, 0xfffff, v58
	v_add_u32_e32 v2, v2, v24
	v_cmp_ne_u32_e32 vcc, 0, v1
                                        ; implicit-def: $vgpr24_vgpr25
                                        ; implicit-def: $vgpr35
	s_and_saveexec_b64 s[28:29], vcc
	s_xor_b64 s[28:29], exec, s[28:29]
; %bb.4490:                             ;   in Loop: Header=BB4_4388 Depth=3
	v_cmp_lt_u64_e32 vcc, s[88:89], v[2:3]
	v_add_u32_e32 v6, 7, v6
	v_cndmask_b32_e32 v35, v1, v6, vcc
	v_cndmask_b32_e64 v1, 0, 1, vcc
	v_lshrrev_b64 v[24:25], v1, v[2:3]
; %bb.4491:                             ;   in Loop: Header=BB4_4388 Depth=3
	s_andn2_saveexec_b64 s[28:29], s[28:29]
; %bb.4492:                             ;   in Loop: Header=BB4_4388 Depth=3
	v_mov_b32_e32 v25, v3
	v_bfe_u32 v35, v2, 23, 1
	v_mov_b32_e32 v24, v2
; %bb.4493:                             ;   in Loop: Header=BB4_4388 Depth=3
	s_or_b64 exec, exec, s[28:29]
	v_lshrrev_b64 v[1:2], 20, v[24:25]
	v_cmp_gt_i32_e32 vcc, 16, v35
	v_cndmask_b32_e32 v2, 0, v2, vcc
	v_cndmask_b32_e32 v1, 7, v1, vcc
	v_cmp_eq_u64_e64 s[28:29], 0, v[1:2]
	v_min_i32_e32 v2, 15, v35
	v_lshlrev_b32_e32 v2, 3, v2
	v_cmp_eq_u32_e32 vcc, 0, v35
	v_and_b32_e32 v2, 0xf8, v2
	v_and_or_b32 v1, v1, 7, v2
	s_and_b64 s[28:29], vcc, s[28:29]
	v_cndmask_b32_e64 v1, v1, 0, s[28:29]
	v_or_b32_e32 v53, v1, v34
.LBB4_4494:                             ;   in Loop: Header=BB4_4388 Depth=3
	s_or_b64 exec, exec, s[36:37]
                                        ; implicit-def: $vgpr34
.LBB4_4495:                             ;   in Loop: Header=BB4_4388 Depth=3
	s_andn2_saveexec_b64 s[28:29], s[34:35]
; %bb.4496:                             ;   in Loop: Header=BB4_4388 Depth=3
	v_or_b32_e32 v53, 0x7e, v34
; %bb.4497:                             ;   in Loop: Header=BB4_4388 Depth=3
	s_or_b64 exec, exec, s[28:29]
                                        ; implicit-def: $vgpr24
.LBB4_4498:                             ;   in Loop: Header=BB4_4388 Depth=3
	s_andn2_saveexec_b64 s[28:29], s[30:31]
; %bb.4499:                             ;   in Loop: Header=BB4_4388 Depth=3
	v_or_b32_sdwa v53, v24, s71 dst_sel:DWORD dst_unused:UNUSED_PAD src0_sel:BYTE_3 src1_sel:DWORD
; %bb.4500:                             ;   in Loop: Header=BB4_4388 Depth=3
	s_or_b64 exec, exec, s[28:29]
	v_mov_b32_e32 v2, v21
	v_cmp_ne_u16_sdwa s[44:45], v21, v3 src0_sel:BYTE_0 src1_sel:DWORD
	v_mov_b32_e32 v25, 0
	v_mov_b32_e32 v24, 0
	s_and_saveexec_b64 s[28:29], s[44:45]
	s_cbranch_execz .LBB4_4506
; %bb.4501:                             ;   in Loop: Header=BB4_4388 Depth=3
	v_cmp_ne_u16_sdwa s[44:45], v21, s70 src0_sel:BYTE_0 src1_sel:DWORD
	v_bfrev_b32_e32 v24, 1
	s_and_saveexec_b64 s[30:31], s[44:45]
	s_cbranch_execz .LBB4_4505
; %bb.4502:                             ;   in Loop: Header=BB4_4388 Depth=3
	v_and_b32_e32 v1, 0x7f, v21
	v_cmp_ne_u32_e32 vcc, s71, v1
	v_mov_b32_e32 v24, 0x7f800001
	s_and_saveexec_b64 s[34:35], vcc
	s_cbranch_execz .LBB4_4504
; %bb.4503:                             ;   in Loop: Header=BB4_4388 Depth=3
	v_and_b32_e32 v6, 7, v21
	v_lshrrev_b32_e32 v7, 3, v1
	v_cmp_gt_u32_e32 vcc, 8, v1
	v_ffbh_u32_e32 v1, v6
	v_min_u32_e32 v1, 32, v1
	v_subrev_u32_e32 v6, 28, v1
	v_cndmask_b32_e32 v6, 0, v6, vcc
	v_lshlrev_b64 v[34:35], v6, v[2:3]
	v_sub_u32_e32 v1, 29, v1
	v_cndmask_b32_e32 v1, v7, v1, vcc
	v_lshlrev_b32_e32 v6, 20, v34
	v_lshlrev_b32_e32 v7, 24, v2
	v_and_b32_e32 v6, 0x700000, v6
	v_and_b32_e32 v7, 0x80000000, v7
	v_lshl_add_u32 v1, v1, 23, v0
	v_or3_b32 v24, v7, v1, v6
.LBB4_4504:                             ;   in Loop: Header=BB4_4388 Depth=3
	s_or_b64 exec, exec, s[34:35]
.LBB4_4505:                             ;   in Loop: Header=BB4_4388 Depth=3
	s_or_b64 exec, exec, s[30:31]
.LBB4_4506:                             ;   in Loop: Header=BB4_4388 Depth=3
	s_or_b64 exec, exec, s[28:29]
	v_cmp_ne_u16_sdwa s[44:45], v17, v3 src0_sel:BYTE_0 src1_sel:DWORD
	s_and_saveexec_b64 s[28:29], s[44:45]
	s_cbranch_execz .LBB4_4512
; %bb.4507:                             ;   in Loop: Header=BB4_4388 Depth=3
	v_cmp_ne_u16_sdwa s[44:45], v17, s70 src0_sel:BYTE_0 src1_sel:DWORD
	v_bfrev_b32_e32 v25, 1
	s_and_saveexec_b64 s[30:31], s[44:45]
	s_cbranch_execz .LBB4_4511
; %bb.4508:                             ;   in Loop: Header=BB4_4388 Depth=3
	v_and_b32_e32 v1, 0x7f, v17
	v_cmp_ne_u32_e32 vcc, s71, v1
	v_mov_b32_e32 v25, 0x7f800001
	s_and_saveexec_b64 s[34:35], vcc
	s_cbranch_execz .LBB4_4510
; %bb.4509:                             ;   in Loop: Header=BB4_4388 Depth=3
	v_and_b32_e32 v6, 7, v17
	v_lshrrev_b32_e32 v7, 3, v1
	v_cmp_gt_u32_e32 vcc, 8, v1
	v_ffbh_u32_e32 v1, v6
	v_min_u32_e32 v1, 32, v1
	v_subrev_u32_e32 v6, 28, v1
	v_mov_b32_e32 v34, v17
	v_mov_b32_e32 v35, v3
	v_cndmask_b32_e32 v6, 0, v6, vcc
	v_lshlrev_b64 v[35:36], v6, v[34:35]
	v_sub_u32_e32 v1, 29, v1
	v_cndmask_b32_e32 v1, v7, v1, vcc
	v_lshlrev_b32_e32 v6, 20, v35
	v_lshlrev_b32_e32 v7, 24, v34
	v_and_b32_e32 v6, 0x700000, v6
	v_and_b32_e32 v7, 0x80000000, v7
	v_lshl_add_u32 v1, v1, 23, v0
	v_or3_b32 v25, v7, v1, v6
.LBB4_4510:                             ;   in Loop: Header=BB4_4388 Depth=3
	s_or_b64 exec, exec, s[34:35]
.LBB4_4511:                             ;   in Loop: Header=BB4_4388 Depth=3
	s_or_b64 exec, exec, s[30:31]
.LBB4_4512:                             ;   in Loop: Header=BB4_4388 Depth=3
	s_or_b64 exec, exec, s[28:29]
	v_mul_f32_e32 v24, v24, v25
	v_and_b32_e32 v34, 0x7f800000, v24
	v_mov_b32_e32 v35, v3
	v_cmp_ne_u64_e32 vcc, s[62:63], v[34:35]
                                        ; implicit-def: $vgpr55
	s_and_saveexec_b64 s[28:29], vcc
	s_xor_b64 s[30:31], exec, s[28:29]
	s_cbranch_execz .LBB4_4526
; %bb.4513:                             ;   in Loop: Header=BB4_4388 Depth=3
	v_and_b32_e32 v34, 0x7fffffff, v24
	v_mov_b32_e32 v35, v3
	v_cmp_gt_u64_e32 vcc, s[72:73], v[34:35]
	v_and_b32_sdwa v34, v24, s70 dst_sel:DWORD dst_unused:UNUSED_PAD src0_sel:BYTE_3 src1_sel:DWORD
                                        ; implicit-def: $vgpr55
	s_and_saveexec_b64 s[28:29], vcc
	s_xor_b64 s[34:35], exec, s[28:29]
	s_cbranch_execz .LBB4_4523
; %bb.4514:                             ;   in Loop: Header=BB4_4388 Depth=3
	v_mov_b32_e32 v55, 0
	v_cmp_ne_u32_e32 vcc, 0, v24
	s_and_saveexec_b64 s[36:37], vcc
	s_cbranch_execz .LBB4_4522
; %bb.4515:                             ;   in Loop: Header=BB4_4388 Depth=3
	v_bfe_u32 v35, v24, 23, 8
	v_cmp_gt_u32_e64 s[28:29], s80, v35
	v_sub_u32_e32 v6, 0x79, v35
	v_and_b32_e32 v1, 0x7fffff, v24
	v_cmp_eq_u32_e32 vcc, 0, v35
	v_cndmask_b32_e64 v6, 0, v6, s[28:29]
	v_mov_b32_e32 v24, 0x78
	v_or_b32_e32 v7, 0x800000, v1
	v_cndmask_b32_e32 v36, v6, v24, vcc
	v_cndmask_b32_e32 v24, v7, v1, vcc
	v_add_u32_e32 v1, 20, v36
	v_lshlrev_b64 v[50:51], v1, -1
	v_mov_b32_e32 v25, v3
	v_add_u32_e32 v1, 19, v36
	v_bfi_b32 v50, v50, 0, v24
	v_lshlrev_b64 v[54:55], v1, 1
	v_lshrrev_b64 v[24:25], v36, v[24:25]
	v_bfi_b32 v51, v51, 0, 0
	v_cmp_eq_u64_e64 s[28:29], v[50:51], v[54:55]
	v_mov_b32_e32 v59, v25
	v_mov_b32_e32 v58, v24
	s_and_saveexec_b64 s[38:39], s[28:29]
; %bb.4516:                             ;   in Loop: Header=BB4_4388 Depth=3
	v_bfe_u32 v1, v24, 20, 1
	v_add_co_u32_e64 v1, s[28:29], v24, v1
	v_add_co_u32_e64 v58, s[28:29], -1, v1
; %bb.4517:                             ;   in Loop: Header=BB4_4388 Depth=3
	s_or_b64 exec, exec, s[38:39]
	v_add_u32_e32 v1, 0xffffff81, v35
	v_mov_b32_e32 v6, 0xffffff82
	v_cndmask_b32_e32 v1, v1, v6, vcc
	v_lshrrev_b32_e32 v6, 23, v24
	v_add3_u32 v6, v36, v1, v6
	v_add_u32_e32 v1, 6, v6
	v_and_b32_e32 v7, 0xfffff, v58
	v_add_u32_e32 v58, v7, v24
	v_mov_b32_e32 v59, v3
	v_cmp_ne_u32_e32 vcc, 0, v1
                                        ; implicit-def: $vgpr24
	s_and_saveexec_b64 s[28:29], vcc
	s_xor_b64 s[28:29], exec, s[28:29]
; %bb.4518:                             ;   in Loop: Header=BB4_4388 Depth=3
	v_cmp_lt_u64_e32 vcc, s[88:89], v[58:59]
	v_add_u32_e32 v6, 7, v6
	v_cndmask_b32_e32 v24, v1, v6, vcc
	v_cndmask_b32_e64 v1, 0, 1, vcc
	v_lshrrev_b64 v[58:59], v1, v[58:59]
; %bb.4519:                             ;   in Loop: Header=BB4_4388 Depth=3
	s_andn2_saveexec_b64 s[28:29], s[28:29]
; %bb.4520:                             ;   in Loop: Header=BB4_4388 Depth=3
	v_bfe_u32 v24, v58, 23, 1
; %bb.4521:                             ;   in Loop: Header=BB4_4388 Depth=3
	s_or_b64 exec, exec, s[28:29]
	v_lshrrev_b64 v[35:36], 20, v[58:59]
	v_cmp_gt_i32_e32 vcc, 16, v24
	v_cndmask_b32_e32 v36, 0, v36, vcc
	v_cndmask_b32_e32 v35, 7, v35, vcc
	v_min_i32_e32 v1, 15, v24
	v_cmp_eq_u64_e64 s[28:29], 0, v[35:36]
	v_lshlrev_b32_e32 v1, 3, v1
	v_cmp_eq_u32_e32 vcc, 0, v24
	v_and_b32_e32 v1, 0xf8, v1
	v_and_or_b32 v1, v35, 7, v1
	s_and_b64 s[28:29], vcc, s[28:29]
	v_cndmask_b32_e64 v1, v1, 0, s[28:29]
	v_or_b32_e32 v55, v1, v34
.LBB4_4522:                             ;   in Loop: Header=BB4_4388 Depth=3
	s_or_b64 exec, exec, s[36:37]
                                        ; implicit-def: $vgpr34
.LBB4_4523:                             ;   in Loop: Header=BB4_4388 Depth=3
	s_andn2_saveexec_b64 s[28:29], s[34:35]
; %bb.4524:                             ;   in Loop: Header=BB4_4388 Depth=3
	v_or_b32_e32 v55, 0x7e, v34
; %bb.4525:                             ;   in Loop: Header=BB4_4388 Depth=3
	s_or_b64 exec, exec, s[28:29]
                                        ; implicit-def: $vgpr24
.LBB4_4526:                             ;   in Loop: Header=BB4_4388 Depth=3
	s_andn2_saveexec_b64 s[28:29], s[30:31]
; %bb.4527:                             ;   in Loop: Header=BB4_4388 Depth=3
	v_or_b32_sdwa v55, v24, s71 dst_sel:DWORD dst_unused:UNUSED_PAD src0_sel:BYTE_3 src1_sel:DWORD
; %bb.4528:                             ;   in Loop: Header=BB4_4388 Depth=3
	s_or_b64 exec, exec, s[28:29]
	v_lshrrev_b16_e32 v24, 8, v2
	v_cmp_ne_u16_e32 vcc, 0, v24
	v_mov_b32_e32 v25, 0
	v_mov_b32_e32 v34, 0
	s_and_saveexec_b64 s[28:29], vcc
	s_cbranch_execz .LBB4_4534
; %bb.4529:                             ;   in Loop: Header=BB4_4388 Depth=3
	v_cmp_ne_u16_e32 vcc, s70, v24
	v_bfrev_b32_e32 v34, 1
	s_and_saveexec_b64 s[30:31], vcc
	s_cbranch_execz .LBB4_4533
; %bb.4530:                             ;   in Loop: Header=BB4_4388 Depth=3
	v_and_b32_e32 v1, 0x7f, v24
	v_cmp_ne_u32_e32 vcc, s71, v1
	v_mov_b32_e32 v34, 0x7f800001
	s_and_saveexec_b64 s[34:35], vcc
	s_cbranch_execz .LBB4_4532
; %bb.4531:                             ;   in Loop: Header=BB4_4388 Depth=3
	v_and_b32_e32 v6, 7, v24
	v_lshrrev_b32_e32 v7, 3, v1
	v_cmp_gt_u32_e32 vcc, 8, v1
	v_ffbh_u32_e32 v1, v6
	v_min_u32_e32 v1, 32, v1
	v_subrev_u32_e32 v34, 28, v1
	v_lshlrev_b64 v[34:35], v34, v[24:25]
	v_sub_u32_e32 v1, 29, v1
	v_and_b32_e32 v24, 7, v34
	v_cndmask_b32_e32 v1, v7, v1, vcc
	v_cndmask_b32_e32 v6, v6, v24, vcc
	v_lshlrev_b32_e32 v2, 16, v2
	v_lshlrev_b32_e32 v6, 20, v6
	v_and_b32_e32 v2, 0x80000000, v2
	v_lshl_add_u32 v1, v1, 23, v0
	v_or3_b32 v34, v2, v1, v6
.LBB4_4532:                             ;   in Loop: Header=BB4_4388 Depth=3
	s_or_b64 exec, exec, s[34:35]
.LBB4_4533:                             ;   in Loop: Header=BB4_4388 Depth=3
	s_or_b64 exec, exec, s[30:31]
.LBB4_4534:                             ;   in Loop: Header=BB4_4388 Depth=3
	s_or_b64 exec, exec, s[28:29]
	v_lshrrev_b16_e32 v2, 8, v17
	v_cmp_ne_u16_e32 vcc, 0, v2
	s_and_saveexec_b64 s[28:29], vcc
	s_cbranch_execz .LBB4_4540
; %bb.4535:                             ;   in Loop: Header=BB4_4388 Depth=3
	v_cmp_ne_u16_e32 vcc, s70, v2
	v_bfrev_b32_e32 v25, 1
	s_and_saveexec_b64 s[30:31], vcc
	s_cbranch_execz .LBB4_4539
; %bb.4536:                             ;   in Loop: Header=BB4_4388 Depth=3
	v_and_b32_e32 v1, 0x7f, v2
	v_cmp_ne_u32_e32 vcc, s71, v1
	v_mov_b32_e32 v25, 0x7f800001
	s_and_saveexec_b64 s[34:35], vcc
	s_cbranch_execz .LBB4_4538
; %bb.4537:                             ;   in Loop: Header=BB4_4388 Depth=3
	v_and_b32_e32 v6, 7, v2
	v_lshrrev_b32_e32 v7, 3, v1
	v_cmp_gt_u32_e32 vcc, 8, v1
	v_ffbh_u32_e32 v1, v6
	v_min_u32_e32 v24, 32, v1
	v_subrev_u32_e32 v1, 28, v24
	v_lshlrev_b64 v[1:2], v1, v[2:3]
	v_sub_u32_e32 v2, 29, v24
	v_and_b32_e32 v1, 7, v1
	v_cndmask_b32_e32 v2, v7, v2, vcc
	v_cndmask_b32_e32 v1, v6, v1, vcc
	v_lshlrev_b32_e32 v6, 16, v17
	v_lshlrev_b32_e32 v1, 20, v1
	v_and_b32_e32 v6, 0x80000000, v6
	v_lshl_add_u32 v2, v2, 23, v0
	v_or3_b32 v25, v6, v2, v1
.LBB4_4538:                             ;   in Loop: Header=BB4_4388 Depth=3
	s_or_b64 exec, exec, s[34:35]
.LBB4_4539:                             ;   in Loop: Header=BB4_4388 Depth=3
	s_or_b64 exec, exec, s[30:31]
.LBB4_4540:                             ;   in Loop: Header=BB4_4388 Depth=3
	s_or_b64 exec, exec, s[28:29]
	v_mul_f32_e32 v24, v34, v25
	v_and_b32_e32 v2, 0x7f800000, v24
	v_cmp_ne_u64_e32 vcc, s[62:63], v[2:3]
                                        ; implicit-def: $vgpr34
	s_and_saveexec_b64 s[28:29], vcc
	s_xor_b64 s[30:31], exec, s[28:29]
	s_cbranch_execz .LBB4_4554
; %bb.4541:                             ;   in Loop: Header=BB4_4388 Depth=3
	v_and_b32_e32 v2, 0x7fffffff, v24
	v_cmp_gt_u64_e32 vcc, s[72:73], v[2:3]
	v_and_b32_sdwa v35, v24, s70 dst_sel:DWORD dst_unused:UNUSED_PAD src0_sel:BYTE_3 src1_sel:DWORD
                                        ; implicit-def: $vgpr34
	s_and_saveexec_b64 s[28:29], vcc
	s_xor_b64 s[34:35], exec, s[28:29]
	s_cbranch_execz .LBB4_4551
; %bb.4542:                             ;   in Loop: Header=BB4_4388 Depth=3
	v_mov_b32_e32 v34, 0
	v_cmp_ne_u32_e32 vcc, 0, v24
	s_and_saveexec_b64 s[36:37], vcc
	s_cbranch_execz .LBB4_4550
; %bb.4543:                             ;   in Loop: Header=BB4_4388 Depth=3
	v_bfe_u32 v34, v24, 23, 8
	v_cmp_gt_u32_e64 s[28:29], s80, v34
	v_sub_u32_e32 v2, 0x79, v34
	v_and_b32_e32 v1, 0x7fffff, v24
	v_cmp_eq_u32_e32 vcc, 0, v34
	v_cndmask_b32_e64 v2, 0, v2, s[28:29]
	v_mov_b32_e32 v7, 0x78
	v_or_b32_e32 v6, 0x800000, v1
	v_cndmask_b32_e32 v36, v2, v7, vcc
	v_cndmask_b32_e32 v2, v6, v1, vcc
	v_add_u32_e32 v1, 20, v36
	v_lshlrev_b64 v[24:25], v1, -1
	v_add_u32_e32 v1, 19, v36
	v_lshlrev_b64 v[50:51], v1, 1
	v_bfi_b32 v25, v25, 0, 0
	v_bfi_b32 v24, v24, 0, v2
	v_cmp_eq_u64_e64 s[28:29], v[24:25], v[50:51]
	v_lshrrev_b64 v[24:25], v36, v[2:3]
	v_mov_b32_e32 v59, v25
	v_mov_b32_e32 v58, v24
	s_and_saveexec_b64 s[38:39], s[28:29]
; %bb.4544:                             ;   in Loop: Header=BB4_4388 Depth=3
	v_bfe_u32 v1, v24, 20, 1
	v_add_co_u32_e64 v1, s[28:29], v24, v1
	v_add_co_u32_e64 v58, s[28:29], -1, v1
; %bb.4545:                             ;   in Loop: Header=BB4_4388 Depth=3
	s_or_b64 exec, exec, s[38:39]
	v_add_u32_e32 v1, 0xffffff81, v34
	v_mov_b32_e32 v2, 0xffffff82
	v_cndmask_b32_e32 v1, v1, v2, vcc
	v_lshrrev_b32_e32 v2, 23, v24
	v_add3_u32 v6, v36, v1, v2
	v_add_u32_e32 v1, 6, v6
	v_and_b32_e32 v2, 0xfffff, v58
	v_add_u32_e32 v2, v2, v24
	v_cmp_ne_u32_e32 vcc, 0, v1
                                        ; implicit-def: $vgpr24_vgpr25
                                        ; implicit-def: $vgpr34
	s_and_saveexec_b64 s[28:29], vcc
	s_xor_b64 s[28:29], exec, s[28:29]
; %bb.4546:                             ;   in Loop: Header=BB4_4388 Depth=3
	v_cmp_lt_u64_e32 vcc, s[88:89], v[2:3]
	v_add_u32_e32 v6, 7, v6
	v_cndmask_b32_e32 v34, v1, v6, vcc
	v_cndmask_b32_e64 v1, 0, 1, vcc
	v_lshrrev_b64 v[24:25], v1, v[2:3]
; %bb.4547:                             ;   in Loop: Header=BB4_4388 Depth=3
	s_andn2_saveexec_b64 s[28:29], s[28:29]
; %bb.4548:                             ;   in Loop: Header=BB4_4388 Depth=3
	v_mov_b32_e32 v25, v3
	v_bfe_u32 v34, v2, 23, 1
	v_mov_b32_e32 v24, v2
; %bb.4549:                             ;   in Loop: Header=BB4_4388 Depth=3
	s_or_b64 exec, exec, s[28:29]
	v_lshrrev_b64 v[1:2], 20, v[24:25]
	v_cmp_gt_i32_e32 vcc, 16, v34
	v_cndmask_b32_e32 v2, 0, v2, vcc
	v_cndmask_b32_e32 v1, 7, v1, vcc
	v_cmp_eq_u64_e64 s[28:29], 0, v[1:2]
	v_min_i32_e32 v2, 15, v34
	v_lshlrev_b32_e32 v2, 3, v2
	v_cmp_eq_u32_e32 vcc, 0, v34
	v_and_b32_e32 v2, 0xf8, v2
	v_and_or_b32 v1, v1, 7, v2
	s_and_b64 s[28:29], vcc, s[28:29]
	v_cndmask_b32_e64 v1, v1, 0, s[28:29]
	v_or_b32_e32 v34, v1, v35
.LBB4_4550:                             ;   in Loop: Header=BB4_4388 Depth=3
	s_or_b64 exec, exec, s[36:37]
                                        ; implicit-def: $vgpr35
.LBB4_4551:                             ;   in Loop: Header=BB4_4388 Depth=3
	s_andn2_saveexec_b64 s[28:29], s[34:35]
; %bb.4552:                             ;   in Loop: Header=BB4_4388 Depth=3
	v_or_b32_e32 v34, 0x7e, v35
; %bb.4553:                             ;   in Loop: Header=BB4_4388 Depth=3
	s_or_b64 exec, exec, s[28:29]
                                        ; implicit-def: $vgpr24
.LBB4_4554:                             ;   in Loop: Header=BB4_4388 Depth=3
	s_andn2_saveexec_b64 s[28:29], s[30:31]
; %bb.4555:                             ;   in Loop: Header=BB4_4388 Depth=3
	v_or_b32_sdwa v34, v24, s71 dst_sel:DWORD dst_unused:UNUSED_PAD src0_sel:BYTE_3 src1_sel:DWORD
; %bb.4556:                             ;   in Loop: Header=BB4_4388 Depth=3
	s_or_b64 exec, exec, s[28:29]
	v_lshrrev_b32_e32 v2, 16, v21
	v_cmp_ne_u16_sdwa s[44:45], v2, v3 src0_sel:BYTE_0 src1_sel:DWORD
	v_mov_b32_e32 v24, 0
	v_mov_b32_e32 v25, 0
	s_and_saveexec_b64 s[28:29], s[44:45]
	s_cbranch_execz .LBB4_4562
; %bb.4557:                             ;   in Loop: Header=BB4_4388 Depth=3
	v_cmp_ne_u16_sdwa s[44:45], v2, s70 src0_sel:BYTE_0 src1_sel:DWORD
	v_bfrev_b32_e32 v25, 1
	s_and_saveexec_b64 s[30:31], s[44:45]
	s_cbranch_execz .LBB4_4561
; %bb.4558:                             ;   in Loop: Header=BB4_4388 Depth=3
	v_bfe_u32 v1, v21, 16, 7
	v_cmp_ne_u32_e32 vcc, s71, v1
	v_mov_b32_e32 v25, 0x7f800001
	s_and_saveexec_b64 s[34:35], vcc
	s_cbranch_execz .LBB4_4560
; %bb.4559:                             ;   in Loop: Header=BB4_4388 Depth=3
	v_and_b32_e32 v6, 7, v2
	v_lshrrev_b32_e32 v7, 3, v1
	v_cmp_gt_u32_e32 vcc, 8, v1
	v_ffbh_u32_e32 v1, v6
	v_min_u32_e32 v1, 32, v1
	v_subrev_u32_e32 v25, 28, v1
	v_lshlrev_b64 v[35:36], v25, v[2:3]
	v_sub_u32_e32 v1, 29, v1
	v_and_b32_e32 v25, 7, v35
	v_cndmask_b32_e32 v1, v7, v1, vcc
	v_cndmask_b32_e32 v6, v6, v25, vcc
	v_lshlrev_b32_e32 v2, 24, v2
	v_lshlrev_b32_e32 v6, 20, v6
	v_and_b32_e32 v2, 0x80000000, v2
	v_lshl_add_u32 v1, v1, 23, v0
	v_or3_b32 v25, v2, v1, v6
.LBB4_4560:                             ;   in Loop: Header=BB4_4388 Depth=3
	s_or_b64 exec, exec, s[34:35]
.LBB4_4561:                             ;   in Loop: Header=BB4_4388 Depth=3
	s_or_b64 exec, exec, s[30:31]
.LBB4_4562:                             ;   in Loop: Header=BB4_4388 Depth=3
	s_or_b64 exec, exec, s[28:29]
	v_lshrrev_b32_e32 v2, 16, v17
	v_cmp_ne_u16_sdwa s[44:45], v2, v3 src0_sel:BYTE_0 src1_sel:DWORD
	s_and_saveexec_b64 s[28:29], s[44:45]
	s_cbranch_execz .LBB4_4568
; %bb.4563:                             ;   in Loop: Header=BB4_4388 Depth=3
	v_cmp_ne_u16_sdwa s[44:45], v2, s70 src0_sel:BYTE_0 src1_sel:DWORD
	v_bfrev_b32_e32 v24, 1
	s_and_saveexec_b64 s[30:31], s[44:45]
	s_cbranch_execz .LBB4_4567
; %bb.4564:                             ;   in Loop: Header=BB4_4388 Depth=3
	v_bfe_u32 v1, v17, 16, 7
	v_cmp_ne_u32_e32 vcc, s71, v1
	v_mov_b32_e32 v24, 0x7f800001
	s_and_saveexec_b64 s[34:35], vcc
	s_cbranch_execz .LBB4_4566
; %bb.4565:                             ;   in Loop: Header=BB4_4388 Depth=3
	v_and_b32_e32 v6, 7, v2
	v_lshrrev_b32_e32 v7, 3, v1
	v_cmp_gt_u32_e32 vcc, 8, v1
	v_ffbh_u32_e32 v1, v6
	v_min_u32_e32 v24, 32, v1
	v_subrev_u32_e32 v1, 28, v24
	v_lshlrev_b64 v[1:2], v1, v[2:3]
	v_sub_u32_e32 v2, 29, v24
	v_and_b32_e32 v1, 7, v1
	v_cndmask_b32_e32 v2, v7, v2, vcc
	v_cndmask_b32_e32 v1, v6, v1, vcc
	v_lshlrev_b32_e32 v6, 8, v17
	v_lshlrev_b32_e32 v1, 20, v1
	v_and_b32_e32 v6, 0x80000000, v6
	v_lshl_add_u32 v2, v2, 23, v0
	v_or3_b32 v24, v6, v2, v1
.LBB4_4566:                             ;   in Loop: Header=BB4_4388 Depth=3
	s_or_b64 exec, exec, s[34:35]
.LBB4_4567:                             ;   in Loop: Header=BB4_4388 Depth=3
	s_or_b64 exec, exec, s[30:31]
.LBB4_4568:                             ;   in Loop: Header=BB4_4388 Depth=3
	s_or_b64 exec, exec, s[28:29]
	v_mul_f32_e32 v25, v25, v24
	v_and_b32_e32 v2, 0x7f800000, v25
	v_cmp_ne_u64_e32 vcc, s[62:63], v[2:3]
                                        ; implicit-def: $vgpr24
	s_and_saveexec_b64 s[28:29], vcc
	s_xor_b64 s[30:31], exec, s[28:29]
	s_cbranch_execz .LBB4_4582
; %bb.4569:                             ;   in Loop: Header=BB4_4388 Depth=3
	v_and_b32_e32 v2, 0x7fffffff, v25
	v_cmp_gt_u64_e32 vcc, s[72:73], v[2:3]
	v_and_b32_sdwa v35, v25, s70 dst_sel:DWORD dst_unused:UNUSED_PAD src0_sel:BYTE_3 src1_sel:DWORD
                                        ; implicit-def: $vgpr24
	s_and_saveexec_b64 s[28:29], vcc
	s_xor_b64 s[34:35], exec, s[28:29]
	s_cbranch_execz .LBB4_4579
; %bb.4570:                             ;   in Loop: Header=BB4_4388 Depth=3
	v_mov_b32_e32 v24, 0
	v_cmp_ne_u32_e32 vcc, 0, v25
	s_and_saveexec_b64 s[36:37], vcc
	s_cbranch_execz .LBB4_4578
; %bb.4571:                             ;   in Loop: Header=BB4_4388 Depth=3
	v_bfe_u32 v36, v25, 23, 8
	v_cmp_gt_u32_e64 s[28:29], s80, v36
	v_sub_u32_e32 v2, 0x79, v36
	v_and_b32_e32 v1, 0x7fffff, v25
	v_cmp_eq_u32_e32 vcc, 0, v36
	v_cndmask_b32_e64 v2, 0, v2, s[28:29]
	v_mov_b32_e32 v7, 0x78
	v_or_b32_e32 v6, 0x800000, v1
	v_cndmask_b32_e32 v50, v2, v7, vcc
	v_cndmask_b32_e32 v2, v6, v1, vcc
	v_add_u32_e32 v1, 20, v50
	v_lshlrev_b64 v[24:25], v1, -1
	v_add_u32_e32 v1, 19, v50
	v_lshlrev_b64 v[42:43], v1, 1
	v_bfi_b32 v25, v25, 0, 0
	v_bfi_b32 v24, v24, 0, v2
	v_cmp_eq_u64_e64 s[28:29], v[24:25], v[42:43]
	v_lshrrev_b64 v[24:25], v50, v[2:3]
	v_mov_b32_e32 v59, v25
	v_mov_b32_e32 v58, v24
	s_and_saveexec_b64 s[38:39], s[28:29]
; %bb.4572:                             ;   in Loop: Header=BB4_4388 Depth=3
	v_bfe_u32 v1, v24, 20, 1
	v_add_co_u32_e64 v1, s[28:29], v24, v1
	v_add_co_u32_e64 v58, s[28:29], -1, v1
; %bb.4573:                             ;   in Loop: Header=BB4_4388 Depth=3
	s_or_b64 exec, exec, s[38:39]
	v_add_u32_e32 v1, 0xffffff81, v36
	v_mov_b32_e32 v2, 0xffffff82
	v_cndmask_b32_e32 v1, v1, v2, vcc
	v_lshrrev_b32_e32 v2, 23, v24
	v_add3_u32 v6, v50, v1, v2
	v_add_u32_e32 v1, 6, v6
	v_and_b32_e32 v2, 0xfffff, v58
	v_add_u32_e32 v2, v2, v24
	v_cmp_ne_u32_e32 vcc, 0, v1
                                        ; implicit-def: $vgpr24_vgpr25
                                        ; implicit-def: $vgpr36
	s_and_saveexec_b64 s[28:29], vcc
	s_xor_b64 s[28:29], exec, s[28:29]
; %bb.4574:                             ;   in Loop: Header=BB4_4388 Depth=3
	v_cmp_lt_u64_e32 vcc, s[88:89], v[2:3]
	v_add_u32_e32 v6, 7, v6
	v_cndmask_b32_e32 v36, v1, v6, vcc
	v_cndmask_b32_e64 v1, 0, 1, vcc
	v_lshrrev_b64 v[24:25], v1, v[2:3]
; %bb.4575:                             ;   in Loop: Header=BB4_4388 Depth=3
	s_andn2_saveexec_b64 s[28:29], s[28:29]
; %bb.4576:                             ;   in Loop: Header=BB4_4388 Depth=3
	v_mov_b32_e32 v25, v3
	v_bfe_u32 v36, v2, 23, 1
	v_mov_b32_e32 v24, v2
; %bb.4577:                             ;   in Loop: Header=BB4_4388 Depth=3
	s_or_b64 exec, exec, s[28:29]
	v_lshrrev_b64 v[1:2], 20, v[24:25]
	v_cmp_gt_i32_e32 vcc, 16, v36
	v_cndmask_b32_e32 v2, 0, v2, vcc
	v_cndmask_b32_e32 v1, 7, v1, vcc
	v_cmp_eq_u64_e64 s[28:29], 0, v[1:2]
	v_min_i32_e32 v2, 15, v36
	v_lshlrev_b32_e32 v2, 3, v2
	v_cmp_eq_u32_e32 vcc, 0, v36
	v_and_b32_e32 v2, 0xf8, v2
	v_and_or_b32 v1, v1, 7, v2
	s_and_b64 s[28:29], vcc, s[28:29]
	v_cndmask_b32_e64 v1, v1, 0, s[28:29]
	v_or_b32_e32 v24, v1, v35
.LBB4_4578:                             ;   in Loop: Header=BB4_4388 Depth=3
	s_or_b64 exec, exec, s[36:37]
                                        ; implicit-def: $vgpr35
.LBB4_4579:                             ;   in Loop: Header=BB4_4388 Depth=3
	s_andn2_saveexec_b64 s[28:29], s[34:35]
; %bb.4580:                             ;   in Loop: Header=BB4_4388 Depth=3
	v_or_b32_e32 v24, 0x7e, v35
; %bb.4581:                             ;   in Loop: Header=BB4_4388 Depth=3
	s_or_b64 exec, exec, s[28:29]
                                        ; implicit-def: $vgpr25
.LBB4_4582:                             ;   in Loop: Header=BB4_4388 Depth=3
	s_andn2_saveexec_b64 s[28:29], s[30:31]
; %bb.4583:                             ;   in Loop: Header=BB4_4388 Depth=3
	v_or_b32_sdwa v24, v25, s71 dst_sel:DWORD dst_unused:UNUSED_PAD src0_sel:BYTE_3 src1_sel:DWORD
; %bb.4584:                             ;   in Loop: Header=BB4_4388 Depth=3
	s_or_b64 exec, exec, s[28:29]
	v_cmp_lt_u64_e32 vcc, s[56:57], v[20:21]
	v_mov_b32_e32 v20, 0
	v_mov_b32_e32 v25, 0
	s_and_saveexec_b64 s[28:29], vcc
	s_cbranch_execz .LBB4_4590
; %bb.4585:                             ;   in Loop: Header=BB4_4388 Depth=3
	v_lshrrev_b32_e32 v2, 24, v21
	v_cmp_ne_u32_e32 vcc, s70, v2
	v_bfrev_b32_e32 v25, 1
	s_and_saveexec_b64 s[30:31], vcc
	s_cbranch_execz .LBB4_4589
; %bb.4586:                             ;   in Loop: Header=BB4_4388 Depth=3
	v_bfe_u32 v1, v21, 24, 7
	v_cmp_ne_u32_e32 vcc, s71, v1
	v_mov_b32_e32 v25, 0x7f800001
	s_and_saveexec_b64 s[34:35], vcc
	s_cbranch_execz .LBB4_4588
; %bb.4587:                             ;   in Loop: Header=BB4_4388 Depth=3
	v_and_b32_e32 v6, 7, v2
	v_lshrrev_b32_e32 v7, 3, v1
	v_cmp_gt_u32_e32 vcc, 8, v1
	v_ffbh_u32_e32 v1, v6
	v_min_u32_e32 v1, 32, v1
	v_subrev_u32_e32 v21, 28, v1
	v_lshlrev_b64 v[35:36], v21, v[2:3]
	v_sub_u32_e32 v1, 29, v1
	v_and_b32_e32 v21, 7, v35
	v_cndmask_b32_e32 v1, v7, v1, vcc
	v_cndmask_b32_e32 v6, v6, v21, vcc
	v_lshlrev_b32_e32 v2, 24, v2
	v_lshlrev_b32_e32 v6, 20, v6
	v_and_b32_e32 v2, 0x80000000, v2
	v_lshl_add_u32 v1, v1, 23, v0
	v_or3_b32 v25, v2, v1, v6
.LBB4_4588:                             ;   in Loop: Header=BB4_4388 Depth=3
	s_or_b64 exec, exec, s[34:35]
.LBB4_4589:                             ;   in Loop: Header=BB4_4388 Depth=3
	s_or_b64 exec, exec, s[30:31]
.LBB4_4590:                             ;   in Loop: Header=BB4_4388 Depth=3
	s_or_b64 exec, exec, s[28:29]
	v_cmp_lt_u64_e32 vcc, s[56:57], v[16:17]
	s_and_saveexec_b64 s[28:29], vcc
	s_cbranch_execz .LBB4_4596
; %bb.4591:                             ;   in Loop: Header=BB4_4388 Depth=3
	v_lshrrev_b32_e32 v2, 24, v17
	v_cmp_ne_u32_e32 vcc, s70, v2
	v_bfrev_b32_e32 v20, 1
	s_and_saveexec_b64 s[30:31], vcc
	s_cbranch_execz .LBB4_4595
; %bb.4592:                             ;   in Loop: Header=BB4_4388 Depth=3
	v_bfe_u32 v1, v17, 24, 7
	v_cmp_ne_u32_e32 vcc, s71, v1
	v_mov_b32_e32 v20, 0x7f800001
	s_and_saveexec_b64 s[34:35], vcc
	s_cbranch_execz .LBB4_4594
; %bb.4593:                             ;   in Loop: Header=BB4_4388 Depth=3
	v_and_b32_e32 v6, 7, v2
	v_lshrrev_b32_e32 v7, 3, v1
	v_cmp_gt_u32_e32 vcc, 8, v1
	v_ffbh_u32_e32 v1, v6
	v_min_u32_e32 v1, 32, v1
	v_subrev_u32_e32 v16, 28, v1
	v_lshlrev_b64 v[16:17], v16, v[2:3]
	v_sub_u32_e32 v1, 29, v1
	v_and_b32_e32 v16, 7, v16
	v_cndmask_b32_e32 v1, v7, v1, vcc
	v_cndmask_b32_e32 v6, v6, v16, vcc
	v_lshlrev_b32_e32 v2, 24, v2
	v_lshlrev_b32_e32 v6, 20, v6
	v_and_b32_e32 v2, 0x80000000, v2
	v_lshl_add_u32 v1, v1, 23, v0
	v_or3_b32 v20, v2, v1, v6
.LBB4_4594:                             ;   in Loop: Header=BB4_4388 Depth=3
	s_or_b64 exec, exec, s[34:35]
.LBB4_4595:                             ;   in Loop: Header=BB4_4388 Depth=3
	s_or_b64 exec, exec, s[30:31]
.LBB4_4596:                             ;   in Loop: Header=BB4_4388 Depth=3
	s_or_b64 exec, exec, s[28:29]
	v_mul_f32_e32 v16, v25, v20
	v_and_b32_e32 v2, 0x7f800000, v16
	v_cmp_ne_u64_e32 vcc, s[62:63], v[2:3]
                                        ; implicit-def: $vgpr25
	s_and_saveexec_b64 s[28:29], vcc
	s_xor_b64 s[30:31], exec, s[28:29]
	s_cbranch_execz .LBB4_4610
; %bb.4597:                             ;   in Loop: Header=BB4_4388 Depth=3
	v_and_b32_e32 v2, 0x7fffffff, v16
	v_cmp_gt_u64_e32 vcc, s[72:73], v[2:3]
	v_and_b32_sdwa v35, v16, s70 dst_sel:DWORD dst_unused:UNUSED_PAD src0_sel:BYTE_3 src1_sel:DWORD
                                        ; implicit-def: $vgpr25
	s_and_saveexec_b64 s[28:29], vcc
	s_xor_b64 s[34:35], exec, s[28:29]
	s_cbranch_execz .LBB4_4607
; %bb.4598:                             ;   in Loop: Header=BB4_4388 Depth=3
	v_mov_b32_e32 v25, 0
	v_cmp_ne_u32_e32 vcc, 0, v16
	s_and_saveexec_b64 s[36:37], vcc
	s_cbranch_execz .LBB4_4606
; %bb.4599:                             ;   in Loop: Header=BB4_4388 Depth=3
	v_bfe_u32 v25, v16, 23, 8
	v_cmp_gt_u32_e64 s[28:29], s80, v25
	v_sub_u32_e32 v2, 0x79, v25
	v_and_b32_e32 v1, 0x7fffff, v16
	v_cmp_eq_u32_e32 vcc, 0, v25
	v_cndmask_b32_e64 v2, 0, v2, s[28:29]
	v_mov_b32_e32 v7, 0x78
	v_or_b32_e32 v6, 0x800000, v1
	v_cndmask_b32_e32 v36, v2, v7, vcc
	v_cndmask_b32_e32 v2, v6, v1, vcc
	v_add_u32_e32 v1, 20, v36
	v_lshlrev_b64 v[16:17], v1, -1
	v_add_u32_e32 v1, 19, v36
	v_lshlrev_b64 v[20:21], v1, 1
	v_bfi_b32 v17, v17, 0, 0
	v_bfi_b32 v16, v16, 0, v2
	v_cmp_eq_u64_e64 s[28:29], v[16:17], v[20:21]
	v_lshrrev_b64 v[16:17], v36, v[2:3]
	v_mov_b32_e32 v21, v17
	v_mov_b32_e32 v20, v16
	s_and_saveexec_b64 s[38:39], s[28:29]
; %bb.4600:                             ;   in Loop: Header=BB4_4388 Depth=3
	v_bfe_u32 v1, v16, 20, 1
	v_add_co_u32_e64 v1, s[28:29], v16, v1
	v_add_co_u32_e64 v20, s[28:29], -1, v1
; %bb.4601:                             ;   in Loop: Header=BB4_4388 Depth=3
	s_or_b64 exec, exec, s[38:39]
	v_add_u32_e32 v1, 0xffffff81, v25
	v_mov_b32_e32 v2, 0xffffff82
	v_cndmask_b32_e32 v1, v1, v2, vcc
	v_lshrrev_b32_e32 v2, 23, v16
	v_add3_u32 v6, v36, v1, v2
	v_add_u32_e32 v1, 6, v6
	v_and_b32_e32 v2, 0xfffff, v20
	v_add_u32_e32 v2, v2, v16
	v_cmp_ne_u32_e32 vcc, 0, v1
                                        ; implicit-def: $vgpr16_vgpr17
                                        ; implicit-def: $vgpr20
	s_and_saveexec_b64 s[28:29], vcc
	s_xor_b64 s[28:29], exec, s[28:29]
; %bb.4602:                             ;   in Loop: Header=BB4_4388 Depth=3
	v_cmp_lt_u64_e32 vcc, s[88:89], v[2:3]
	v_add_u32_e32 v6, 7, v6
	v_cndmask_b32_e32 v20, v1, v6, vcc
	v_cndmask_b32_e64 v1, 0, 1, vcc
	v_lshrrev_b64 v[16:17], v1, v[2:3]
; %bb.4603:                             ;   in Loop: Header=BB4_4388 Depth=3
	s_andn2_saveexec_b64 s[28:29], s[28:29]
; %bb.4604:                             ;   in Loop: Header=BB4_4388 Depth=3
	v_mov_b32_e32 v17, v3
	v_bfe_u32 v20, v2, 23, 1
	v_mov_b32_e32 v16, v2
; %bb.4605:                             ;   in Loop: Header=BB4_4388 Depth=3
	s_or_b64 exec, exec, s[28:29]
	v_lshrrev_b64 v[1:2], 20, v[16:17]
	v_cmp_gt_i32_e32 vcc, 16, v20
	v_cndmask_b32_e32 v2, 0, v2, vcc
	v_cndmask_b32_e32 v1, 7, v1, vcc
	v_cmp_eq_u64_e64 s[28:29], 0, v[1:2]
	v_min_i32_e32 v2, 15, v20
	v_lshlrev_b32_e32 v2, 3, v2
	v_cmp_eq_u32_e32 vcc, 0, v20
	v_and_b32_e32 v2, 0xf8, v2
	v_and_or_b32 v1, v1, 7, v2
	s_and_b64 s[28:29], vcc, s[28:29]
	v_cndmask_b32_e64 v1, v1, 0, s[28:29]
	v_or_b32_e32 v25, v1, v35
.LBB4_4606:                             ;   in Loop: Header=BB4_4388 Depth=3
	s_or_b64 exec, exec, s[36:37]
                                        ; implicit-def: $vgpr35
.LBB4_4607:                             ;   in Loop: Header=BB4_4388 Depth=3
	s_andn2_saveexec_b64 s[28:29], s[34:35]
; %bb.4608:                             ;   in Loop: Header=BB4_4388 Depth=3
	v_or_b32_e32 v25, 0x7e, v35
; %bb.4609:                             ;   in Loop: Header=BB4_4388 Depth=3
	s_or_b64 exec, exec, s[28:29]
                                        ; implicit-def: $vgpr16
.LBB4_4610:                             ;   in Loop: Header=BB4_4388 Depth=3
	s_andn2_saveexec_b64 s[28:29], s[30:31]
; %bb.4611:                             ;   in Loop: Header=BB4_4388 Depth=3
	v_or_b32_sdwa v25, v16, s71 dst_sel:DWORD dst_unused:UNUSED_PAD src0_sel:BYTE_3 src1_sel:DWORD
; %bb.4612:                             ;   in Loop: Header=BB4_4388 Depth=3
	s_or_b64 exec, exec, s[28:29]
	v_cmp_ne_u16_sdwa s[44:45], v22, v3 src0_sel:BYTE_0 src1_sel:DWORD
	v_mov_b32_e32 v2, 0
	v_mov_b32_e32 v16, 0
	s_and_saveexec_b64 s[28:29], s[44:45]
	s_cbranch_execz .LBB4_4618
; %bb.4613:                             ;   in Loop: Header=BB4_4388 Depth=3
	v_cmp_ne_u16_sdwa s[44:45], v22, s70 src0_sel:BYTE_0 src1_sel:DWORD
	v_bfrev_b32_e32 v16, 1
	s_and_saveexec_b64 s[30:31], s[44:45]
	s_cbranch_execz .LBB4_4617
; %bb.4614:                             ;   in Loop: Header=BB4_4388 Depth=3
	v_and_b32_e32 v1, 0x7f, v22
	v_cmp_ne_u32_e32 vcc, s71, v1
	v_mov_b32_e32 v16, 0x7f800001
	s_and_saveexec_b64 s[34:35], vcc
	s_cbranch_execz .LBB4_4616
; %bb.4615:                             ;   in Loop: Header=BB4_4388 Depth=3
	v_and_b32_e32 v6, 7, v22
	v_lshrrev_b32_e32 v7, 3, v1
	v_cmp_gt_u32_e32 vcc, 8, v1
	v_ffbh_u32_e32 v1, v6
	v_min_u32_e32 v1, 32, v1
	v_subrev_u32_e32 v6, 28, v1
	v_cndmask_b32_e32 v6, 0, v6, vcc
	v_lshlrev_b64 v[16:17], v6, v[22:23]
	v_sub_u32_e32 v1, 29, v1
	v_cndmask_b32_e32 v1, v7, v1, vcc
	v_lshlrev_b32_e32 v6, 20, v16
	v_lshlrev_b32_e32 v7, 24, v22
	v_and_b32_e32 v6, 0x700000, v6
	v_and_b32_e32 v7, 0x80000000, v7
	v_lshl_add_u32 v1, v1, 23, v0
	v_or3_b32 v16, v7, v1, v6
.LBB4_4616:                             ;   in Loop: Header=BB4_4388 Depth=3
	s_or_b64 exec, exec, s[34:35]
.LBB4_4617:                             ;   in Loop: Header=BB4_4388 Depth=3
	s_or_b64 exec, exec, s[30:31]
.LBB4_4618:                             ;   in Loop: Header=BB4_4388 Depth=3
	s_or_b64 exec, exec, s[28:29]
	v_cmp_ne_u16_sdwa s[44:45], v18, v3 src0_sel:BYTE_0 src1_sel:DWORD
	s_and_saveexec_b64 s[28:29], s[44:45]
	s_cbranch_execz .LBB4_4624
; %bb.4619:                             ;   in Loop: Header=BB4_4388 Depth=3
	v_cmp_ne_u16_sdwa s[44:45], v18, s70 src0_sel:BYTE_0 src1_sel:DWORD
	v_bfrev_b32_e32 v2, 1
	s_and_saveexec_b64 s[30:31], s[44:45]
	s_cbranch_execz .LBB4_4623
; %bb.4620:                             ;   in Loop: Header=BB4_4388 Depth=3
	v_and_b32_e32 v1, 0x7f, v18
	v_cmp_ne_u32_e32 vcc, s71, v1
	v_mov_b32_e32 v2, 0x7f800001
	s_and_saveexec_b64 s[34:35], vcc
	s_cbranch_execz .LBB4_4622
; %bb.4621:                             ;   in Loop: Header=BB4_4388 Depth=3
	v_and_b32_e32 v2, 7, v18
	v_lshrrev_b32_e32 v6, 3, v1
	v_cmp_gt_u32_e32 vcc, 8, v1
	v_ffbh_u32_e32 v1, v2
	v_min_u32_e32 v1, 32, v1
	v_subrev_u32_e32 v2, 28, v1
	v_sub_u32_e32 v1, 29, v1
	v_cndmask_b32_e32 v6, v6, v1, vcc
	v_cndmask_b32_e32 v1, 0, v2, vcc
	v_lshlrev_b64 v[1:2], v1, v[18:19]
	v_lshlrev_b32_e32 v2, 24, v18
	v_lshlrev_b32_e32 v1, 20, v1
	v_and_b32_e32 v1, 0x700000, v1
	v_and_b32_e32 v2, 0x80000000, v2
	v_lshl_add_u32 v6, v6, 23, v0
	v_or3_b32 v2, v2, v6, v1
.LBB4_4622:                             ;   in Loop: Header=BB4_4388 Depth=3
	s_or_b64 exec, exec, s[34:35]
.LBB4_4623:                             ;   in Loop: Header=BB4_4388 Depth=3
	s_or_b64 exec, exec, s[30:31]
.LBB4_4624:                             ;   in Loop: Header=BB4_4388 Depth=3
	s_or_b64 exec, exec, s[28:29]
	v_mul_f32_e32 v16, v16, v2
	v_and_b32_e32 v2, 0x7f800000, v16
	v_cmp_ne_u64_e32 vcc, s[62:63], v[2:3]
                                        ; implicit-def: $vgpr35
	s_and_saveexec_b64 s[28:29], vcc
	s_xor_b64 s[30:31], exec, s[28:29]
	s_cbranch_execz .LBB4_4638
; %bb.4625:                             ;   in Loop: Header=BB4_4388 Depth=3
	v_and_b32_e32 v2, 0x7fffffff, v16
	v_cmp_gt_u64_e32 vcc, s[72:73], v[2:3]
	v_and_b32_sdwa v36, v16, s70 dst_sel:DWORD dst_unused:UNUSED_PAD src0_sel:BYTE_3 src1_sel:DWORD
                                        ; implicit-def: $vgpr35
	s_and_saveexec_b64 s[28:29], vcc
	s_xor_b64 s[34:35], exec, s[28:29]
	s_cbranch_execz .LBB4_4635
; %bb.4626:                             ;   in Loop: Header=BB4_4388 Depth=3
	v_mov_b32_e32 v35, 0
	v_cmp_ne_u32_e32 vcc, 0, v16
	s_and_saveexec_b64 s[36:37], vcc
	s_cbranch_execz .LBB4_4634
; %bb.4627:                             ;   in Loop: Header=BB4_4388 Depth=3
	v_bfe_u32 v35, v16, 23, 8
	v_cmp_gt_u32_e64 s[28:29], s80, v35
	v_sub_u32_e32 v2, 0x79, v35
	v_and_b32_e32 v1, 0x7fffff, v16
	v_cmp_eq_u32_e32 vcc, 0, v35
	v_cndmask_b32_e64 v2, 0, v2, s[28:29]
	v_mov_b32_e32 v7, 0x78
	v_or_b32_e32 v6, 0x800000, v1
	v_cndmask_b32_e32 v50, v2, v7, vcc
	v_cndmask_b32_e32 v2, v6, v1, vcc
	v_add_u32_e32 v1, 20, v50
	v_lshlrev_b64 v[16:17], v1, -1
	v_add_u32_e32 v1, 19, v50
	v_lshlrev_b64 v[20:21], v1, 1
	v_bfi_b32 v17, v17, 0, 0
	v_bfi_b32 v16, v16, 0, v2
	v_cmp_eq_u64_e64 s[28:29], v[16:17], v[20:21]
	v_lshrrev_b64 v[16:17], v50, v[2:3]
	v_mov_b32_e32 v21, v17
	v_mov_b32_e32 v20, v16
	s_and_saveexec_b64 s[38:39], s[28:29]
; %bb.4628:                             ;   in Loop: Header=BB4_4388 Depth=3
	v_bfe_u32 v1, v16, 20, 1
	v_add_co_u32_e64 v1, s[28:29], v16, v1
	v_add_co_u32_e64 v20, s[28:29], -1, v1
; %bb.4629:                             ;   in Loop: Header=BB4_4388 Depth=3
	s_or_b64 exec, exec, s[38:39]
	v_add_u32_e32 v1, 0xffffff81, v35
	v_mov_b32_e32 v2, 0xffffff82
	v_cndmask_b32_e32 v1, v1, v2, vcc
	v_lshrrev_b32_e32 v2, 23, v16
	v_add3_u32 v6, v50, v1, v2
	v_add_u32_e32 v1, 6, v6
	v_and_b32_e32 v2, 0xfffff, v20
	v_add_u32_e32 v2, v2, v16
	v_cmp_ne_u32_e32 vcc, 0, v1
                                        ; implicit-def: $vgpr16_vgpr17
                                        ; implicit-def: $vgpr20
	s_and_saveexec_b64 s[28:29], vcc
	s_xor_b64 s[28:29], exec, s[28:29]
; %bb.4630:                             ;   in Loop: Header=BB4_4388 Depth=3
	v_cmp_lt_u64_e32 vcc, s[88:89], v[2:3]
	v_add_u32_e32 v6, 7, v6
	v_cndmask_b32_e32 v20, v1, v6, vcc
	v_cndmask_b32_e64 v1, 0, 1, vcc
	v_lshrrev_b64 v[16:17], v1, v[2:3]
; %bb.4631:                             ;   in Loop: Header=BB4_4388 Depth=3
	s_andn2_saveexec_b64 s[28:29], s[28:29]
; %bb.4632:                             ;   in Loop: Header=BB4_4388 Depth=3
	v_mov_b32_e32 v17, v3
	v_bfe_u32 v20, v2, 23, 1
	v_mov_b32_e32 v16, v2
; %bb.4633:                             ;   in Loop: Header=BB4_4388 Depth=3
	s_or_b64 exec, exec, s[28:29]
	v_lshrrev_b64 v[1:2], 20, v[16:17]
	v_cmp_gt_i32_e32 vcc, 16, v20
	v_cndmask_b32_e32 v2, 0, v2, vcc
	v_cndmask_b32_e32 v1, 7, v1, vcc
	v_cmp_eq_u64_e64 s[28:29], 0, v[1:2]
	v_min_i32_e32 v2, 15, v20
	v_lshlrev_b32_e32 v2, 3, v2
	v_cmp_eq_u32_e32 vcc, 0, v20
	v_and_b32_e32 v2, 0xf8, v2
	v_and_or_b32 v1, v1, 7, v2
	s_and_b64 s[28:29], vcc, s[28:29]
	v_cndmask_b32_e64 v1, v1, 0, s[28:29]
	v_or_b32_e32 v35, v1, v36
.LBB4_4634:                             ;   in Loop: Header=BB4_4388 Depth=3
	s_or_b64 exec, exec, s[36:37]
                                        ; implicit-def: $vgpr36
.LBB4_4635:                             ;   in Loop: Header=BB4_4388 Depth=3
	s_andn2_saveexec_b64 s[28:29], s[34:35]
; %bb.4636:                             ;   in Loop: Header=BB4_4388 Depth=3
	v_or_b32_e32 v35, 0x7e, v36
; %bb.4637:                             ;   in Loop: Header=BB4_4388 Depth=3
	s_or_b64 exec, exec, s[28:29]
                                        ; implicit-def: $vgpr16
.LBB4_4638:                             ;   in Loop: Header=BB4_4388 Depth=3
	s_andn2_saveexec_b64 s[28:29], s[30:31]
; %bb.4639:                             ;   in Loop: Header=BB4_4388 Depth=3
	v_or_b32_sdwa v35, v16, s71 dst_sel:DWORD dst_unused:UNUSED_PAD src0_sel:BYTE_3 src1_sel:DWORD
; %bb.4640:                             ;   in Loop: Header=BB4_4388 Depth=3
	s_or_b64 exec, exec, s[28:29]
	v_lshrrev_b16_e32 v2, 8, v22
	v_cmp_ne_u16_e32 vcc, 0, v2
	v_mov_b32_e32 v16, 0
	v_mov_b32_e32 v17, 0
	s_and_saveexec_b64 s[28:29], vcc
	s_cbranch_execz .LBB4_4646
; %bb.4641:                             ;   in Loop: Header=BB4_4388 Depth=3
	v_cmp_ne_u16_e32 vcc, s70, v2
	v_bfrev_b32_e32 v17, 1
	s_and_saveexec_b64 s[30:31], vcc
	s_cbranch_execz .LBB4_4645
; %bb.4642:                             ;   in Loop: Header=BB4_4388 Depth=3
	v_and_b32_e32 v1, 0x7f, v2
	v_cmp_ne_u32_e32 vcc, s71, v1
	v_mov_b32_e32 v17, 0x7f800001
	s_and_saveexec_b64 s[34:35], vcc
	s_cbranch_execz .LBB4_4644
; %bb.4643:                             ;   in Loop: Header=BB4_4388 Depth=3
	v_and_b32_e32 v6, 7, v2
	v_lshrrev_b32_e32 v7, 3, v1
	v_cmp_gt_u32_e32 vcc, 8, v1
	v_ffbh_u32_e32 v1, v6
	v_min_u32_e32 v17, 32, v1
	v_subrev_u32_e32 v1, 28, v17
	v_lshlrev_b64 v[1:2], v1, v[2:3]
	v_sub_u32_e32 v2, 29, v17
	v_and_b32_e32 v1, 7, v1
	v_cndmask_b32_e32 v2, v7, v2, vcc
	v_cndmask_b32_e32 v1, v6, v1, vcc
	v_lshlrev_b32_e32 v6, 16, v22
	v_lshlrev_b32_e32 v1, 20, v1
	v_and_b32_e32 v6, 0x80000000, v6
	v_lshl_add_u32 v2, v2, 23, v0
	v_or3_b32 v17, v6, v2, v1
.LBB4_4644:                             ;   in Loop: Header=BB4_4388 Depth=3
	s_or_b64 exec, exec, s[34:35]
.LBB4_4645:                             ;   in Loop: Header=BB4_4388 Depth=3
	s_or_b64 exec, exec, s[30:31]
.LBB4_4646:                             ;   in Loop: Header=BB4_4388 Depth=3
	s_or_b64 exec, exec, s[28:29]
	v_lshrrev_b16_e32 v2, 8, v18
	v_cmp_ne_u16_e32 vcc, 0, v2
	s_and_saveexec_b64 s[28:29], vcc
	s_cbranch_execz .LBB4_4652
; %bb.4647:                             ;   in Loop: Header=BB4_4388 Depth=3
	v_cmp_ne_u16_e32 vcc, s70, v2
	v_bfrev_b32_e32 v16, 1
	s_and_saveexec_b64 s[30:31], vcc
	s_cbranch_execz .LBB4_4651
; %bb.4648:                             ;   in Loop: Header=BB4_4388 Depth=3
	v_and_b32_e32 v1, 0x7f, v2
	v_cmp_ne_u32_e32 vcc, s71, v1
	v_mov_b32_e32 v16, 0x7f800001
	s_and_saveexec_b64 s[34:35], vcc
	s_cbranch_execz .LBB4_4650
; %bb.4649:                             ;   in Loop: Header=BB4_4388 Depth=3
	v_and_b32_e32 v6, 7, v2
	v_lshrrev_b32_e32 v7, 3, v1
	v_cmp_gt_u32_e32 vcc, 8, v1
	v_ffbh_u32_e32 v1, v6
	v_min_u32_e32 v16, 32, v1
	v_subrev_u32_e32 v1, 28, v16
	v_lshlrev_b64 v[1:2], v1, v[2:3]
	v_sub_u32_e32 v2, 29, v16
	v_and_b32_e32 v1, 7, v1
	v_cndmask_b32_e32 v2, v7, v2, vcc
	v_cndmask_b32_e32 v1, v6, v1, vcc
	v_lshlrev_b32_e32 v6, 16, v18
	v_lshlrev_b32_e32 v1, 20, v1
	v_and_b32_e32 v6, 0x80000000, v6
	v_lshl_add_u32 v2, v2, 23, v0
	v_or3_b32 v16, v6, v2, v1
.LBB4_4650:                             ;   in Loop: Header=BB4_4388 Depth=3
	s_or_b64 exec, exec, s[34:35]
.LBB4_4651:                             ;   in Loop: Header=BB4_4388 Depth=3
	s_or_b64 exec, exec, s[30:31]
.LBB4_4652:                             ;   in Loop: Header=BB4_4388 Depth=3
	s_or_b64 exec, exec, s[28:29]
	v_mul_f32_e32 v16, v17, v16
	v_and_b32_e32 v2, 0x7f800000, v16
	v_cmp_ne_u64_e32 vcc, s[62:63], v[2:3]
                                        ; implicit-def: $vgpr45
	s_and_saveexec_b64 s[28:29], vcc
	s_xor_b64 s[30:31], exec, s[28:29]
	s_cbranch_execz .LBB4_4666
; %bb.4653:                             ;   in Loop: Header=BB4_4388 Depth=3
	v_and_b32_e32 v2, 0x7fffffff, v16
	v_cmp_gt_u64_e32 vcc, s[72:73], v[2:3]
	v_and_b32_sdwa v36, v16, s70 dst_sel:DWORD dst_unused:UNUSED_PAD src0_sel:BYTE_3 src1_sel:DWORD
                                        ; implicit-def: $vgpr45
	s_and_saveexec_b64 s[28:29], vcc
	s_xor_b64 s[34:35], exec, s[28:29]
	s_cbranch_execz .LBB4_4663
; %bb.4654:                             ;   in Loop: Header=BB4_4388 Depth=3
	v_mov_b32_e32 v45, 0
	v_cmp_ne_u32_e32 vcc, 0, v16
	s_and_saveexec_b64 s[36:37], vcc
	s_cbranch_execz .LBB4_4662
; %bb.4655:                             ;   in Loop: Header=BB4_4388 Depth=3
	v_bfe_u32 v50, v16, 23, 8
	v_cmp_gt_u32_e64 s[28:29], s80, v50
	v_sub_u32_e32 v2, 0x79, v50
	v_and_b32_e32 v1, 0x7fffff, v16
	v_cmp_eq_u32_e32 vcc, 0, v50
	v_cndmask_b32_e64 v2, 0, v2, s[28:29]
	v_mov_b32_e32 v7, 0x78
	v_or_b32_e32 v6, 0x800000, v1
	v_cndmask_b32_e32 v51, v2, v7, vcc
	v_cndmask_b32_e32 v2, v6, v1, vcc
	v_add_u32_e32 v1, 20, v51
	v_lshlrev_b64 v[16:17], v1, -1
	v_add_u32_e32 v1, 19, v51
	v_lshlrev_b64 v[20:21], v1, 1
	v_bfi_b32 v17, v17, 0, 0
	v_bfi_b32 v16, v16, 0, v2
	v_cmp_eq_u64_e64 s[28:29], v[16:17], v[20:21]
	v_lshrrev_b64 v[16:17], v51, v[2:3]
	v_mov_b32_e32 v21, v17
	v_mov_b32_e32 v20, v16
	s_and_saveexec_b64 s[38:39], s[28:29]
; %bb.4656:                             ;   in Loop: Header=BB4_4388 Depth=3
	v_bfe_u32 v1, v16, 20, 1
	v_add_co_u32_e64 v1, s[28:29], v16, v1
	v_add_co_u32_e64 v20, s[28:29], -1, v1
; %bb.4657:                             ;   in Loop: Header=BB4_4388 Depth=3
	s_or_b64 exec, exec, s[38:39]
	v_add_u32_e32 v1, 0xffffff81, v50
	v_mov_b32_e32 v2, 0xffffff82
	v_cndmask_b32_e32 v1, v1, v2, vcc
	v_lshrrev_b32_e32 v2, 23, v16
	v_add3_u32 v6, v51, v1, v2
	v_add_u32_e32 v1, 6, v6
	v_and_b32_e32 v2, 0xfffff, v20
	v_add_u32_e32 v2, v2, v16
	v_cmp_ne_u32_e32 vcc, 0, v1
                                        ; implicit-def: $vgpr16_vgpr17
                                        ; implicit-def: $vgpr20
	s_and_saveexec_b64 s[28:29], vcc
	s_xor_b64 s[28:29], exec, s[28:29]
; %bb.4658:                             ;   in Loop: Header=BB4_4388 Depth=3
	v_cmp_lt_u64_e32 vcc, s[88:89], v[2:3]
	v_add_u32_e32 v6, 7, v6
	v_cndmask_b32_e32 v20, v1, v6, vcc
	v_cndmask_b32_e64 v1, 0, 1, vcc
	v_lshrrev_b64 v[16:17], v1, v[2:3]
; %bb.4659:                             ;   in Loop: Header=BB4_4388 Depth=3
	s_andn2_saveexec_b64 s[28:29], s[28:29]
; %bb.4660:                             ;   in Loop: Header=BB4_4388 Depth=3
	v_mov_b32_e32 v17, v3
	v_bfe_u32 v20, v2, 23, 1
	v_mov_b32_e32 v16, v2
; %bb.4661:                             ;   in Loop: Header=BB4_4388 Depth=3
	s_or_b64 exec, exec, s[28:29]
	v_lshrrev_b64 v[1:2], 20, v[16:17]
	v_cmp_gt_i32_e32 vcc, 16, v20
	v_cndmask_b32_e32 v2, 0, v2, vcc
	v_cndmask_b32_e32 v1, 7, v1, vcc
	v_cmp_eq_u64_e64 s[28:29], 0, v[1:2]
	v_min_i32_e32 v2, 15, v20
	v_lshlrev_b32_e32 v2, 3, v2
	v_cmp_eq_u32_e32 vcc, 0, v20
	v_and_b32_e32 v2, 0xf8, v2
	v_and_or_b32 v1, v1, 7, v2
	s_and_b64 s[28:29], vcc, s[28:29]
	v_cndmask_b32_e64 v1, v1, 0, s[28:29]
	v_or_b32_e32 v45, v1, v36
.LBB4_4662:                             ;   in Loop: Header=BB4_4388 Depth=3
	s_or_b64 exec, exec, s[36:37]
                                        ; implicit-def: $vgpr36
.LBB4_4663:                             ;   in Loop: Header=BB4_4388 Depth=3
	s_andn2_saveexec_b64 s[28:29], s[34:35]
; %bb.4664:                             ;   in Loop: Header=BB4_4388 Depth=3
	v_or_b32_e32 v45, 0x7e, v36
; %bb.4665:                             ;   in Loop: Header=BB4_4388 Depth=3
	s_or_b64 exec, exec, s[28:29]
                                        ; implicit-def: $vgpr16
.LBB4_4666:                             ;   in Loop: Header=BB4_4388 Depth=3
	s_andn2_saveexec_b64 s[28:29], s[30:31]
; %bb.4667:                             ;   in Loop: Header=BB4_4388 Depth=3
	v_or_b32_sdwa v45, v16, s71 dst_sel:DWORD dst_unused:UNUSED_PAD src0_sel:BYTE_3 src1_sel:DWORD
; %bb.4668:                             ;   in Loop: Header=BB4_4388 Depth=3
	s_or_b64 exec, exec, s[28:29]
	v_lshrrev_b32_e32 v2, 16, v22
	v_cmp_ne_u16_sdwa s[44:45], v2, v3 src0_sel:BYTE_0 src1_sel:DWORD
	v_mov_b32_e32 v16, 0
	v_mov_b32_e32 v17, 0
	s_and_saveexec_b64 s[28:29], s[44:45]
	s_cbranch_execz .LBB4_4674
; %bb.4669:                             ;   in Loop: Header=BB4_4388 Depth=3
	v_cmp_ne_u16_sdwa s[44:45], v2, s70 src0_sel:BYTE_0 src1_sel:DWORD
	v_bfrev_b32_e32 v17, 1
	s_and_saveexec_b64 s[30:31], s[44:45]
	s_cbranch_execz .LBB4_4673
; %bb.4670:                             ;   in Loop: Header=BB4_4388 Depth=3
	v_bfe_u32 v1, v22, 16, 7
	v_cmp_ne_u32_e32 vcc, s71, v1
	v_mov_b32_e32 v17, 0x7f800001
	s_and_saveexec_b64 s[34:35], vcc
	s_cbranch_execz .LBB4_4672
; %bb.4671:                             ;   in Loop: Header=BB4_4388 Depth=3
	v_and_b32_e32 v6, 7, v2
	v_lshrrev_b32_e32 v7, 3, v1
	v_cmp_gt_u32_e32 vcc, 8, v1
	v_ffbh_u32_e32 v1, v6
	v_min_u32_e32 v1, 32, v1
	v_subrev_u32_e32 v17, 28, v1
	v_lshlrev_b64 v[20:21], v17, v[2:3]
	v_sub_u32_e32 v1, 29, v1
	v_and_b32_e32 v17, 7, v20
	v_cndmask_b32_e32 v1, v7, v1, vcc
	v_cndmask_b32_e32 v6, v6, v17, vcc
	v_lshlrev_b32_e32 v2, 24, v2
	v_lshlrev_b32_e32 v6, 20, v6
	v_and_b32_e32 v2, 0x80000000, v2
	v_lshl_add_u32 v1, v1, 23, v0
	v_or3_b32 v17, v2, v1, v6
.LBB4_4672:                             ;   in Loop: Header=BB4_4388 Depth=3
	s_or_b64 exec, exec, s[34:35]
.LBB4_4673:                             ;   in Loop: Header=BB4_4388 Depth=3
	s_or_b64 exec, exec, s[30:31]
.LBB4_4674:                             ;   in Loop: Header=BB4_4388 Depth=3
	s_or_b64 exec, exec, s[28:29]
	v_lshrrev_b32_e32 v2, 16, v18
	v_cmp_ne_u16_sdwa s[44:45], v2, v3 src0_sel:BYTE_0 src1_sel:DWORD
	s_and_saveexec_b64 s[28:29], s[44:45]
	s_cbranch_execz .LBB4_4680
; %bb.4675:                             ;   in Loop: Header=BB4_4388 Depth=3
	v_cmp_ne_u16_sdwa s[44:45], v2, s70 src0_sel:BYTE_0 src1_sel:DWORD
	v_bfrev_b32_e32 v16, 1
	s_and_saveexec_b64 s[30:31], s[44:45]
	s_cbranch_execz .LBB4_4679
; %bb.4676:                             ;   in Loop: Header=BB4_4388 Depth=3
	v_bfe_u32 v1, v18, 16, 7
	v_cmp_ne_u32_e32 vcc, s71, v1
	v_mov_b32_e32 v16, 0x7f800001
	s_and_saveexec_b64 s[34:35], vcc
	s_cbranch_execz .LBB4_4678
; %bb.4677:                             ;   in Loop: Header=BB4_4388 Depth=3
	v_and_b32_e32 v6, 7, v2
	v_lshrrev_b32_e32 v7, 3, v1
	v_cmp_gt_u32_e32 vcc, 8, v1
	v_ffbh_u32_e32 v1, v6
	v_min_u32_e32 v16, 32, v1
	v_subrev_u32_e32 v1, 28, v16
	v_lshlrev_b64 v[1:2], v1, v[2:3]
	v_sub_u32_e32 v2, 29, v16
	v_and_b32_e32 v1, 7, v1
	v_cndmask_b32_e32 v2, v7, v2, vcc
	v_cndmask_b32_e32 v1, v6, v1, vcc
	v_lshlrev_b32_e32 v6, 8, v18
	v_lshlrev_b32_e32 v1, 20, v1
	v_and_b32_e32 v6, 0x80000000, v6
	v_lshl_add_u32 v2, v2, 23, v0
	v_or3_b32 v16, v6, v2, v1
.LBB4_4678:                             ;   in Loop: Header=BB4_4388 Depth=3
	s_or_b64 exec, exec, s[34:35]
.LBB4_4679:                             ;   in Loop: Header=BB4_4388 Depth=3
	s_or_b64 exec, exec, s[30:31]
.LBB4_4680:                             ;   in Loop: Header=BB4_4388 Depth=3
	s_or_b64 exec, exec, s[28:29]
	v_mul_f32_e32 v16, v17, v16
	v_and_b32_e32 v2, 0x7f800000, v16
	v_cmp_ne_u64_e32 vcc, s[62:63], v[2:3]
                                        ; implicit-def: $vgpr58
	s_and_saveexec_b64 s[28:29], vcc
	s_xor_b64 s[30:31], exec, s[28:29]
	s_cbranch_execz .LBB4_4694
; %bb.4681:                             ;   in Loop: Header=BB4_4388 Depth=3
	v_and_b32_e32 v2, 0x7fffffff, v16
	v_cmp_gt_u64_e32 vcc, s[72:73], v[2:3]
	v_and_b32_sdwa v36, v16, s70 dst_sel:DWORD dst_unused:UNUSED_PAD src0_sel:BYTE_3 src1_sel:DWORD
                                        ; implicit-def: $vgpr58
	s_and_saveexec_b64 s[28:29], vcc
	s_xor_b64 s[34:35], exec, s[28:29]
	s_cbranch_execz .LBB4_4691
; %bb.4682:                             ;   in Loop: Header=BB4_4388 Depth=3
	v_mov_b32_e32 v58, 0
	v_cmp_ne_u32_e32 vcc, 0, v16
	s_and_saveexec_b64 s[36:37], vcc
	s_cbranch_execz .LBB4_4690
; %bb.4683:                             ;   in Loop: Header=BB4_4388 Depth=3
	v_bfe_u32 v50, v16, 23, 8
	v_cmp_gt_u32_e64 s[28:29], s80, v50
	v_sub_u32_e32 v2, 0x79, v50
	v_and_b32_e32 v1, 0x7fffff, v16
	v_cmp_eq_u32_e32 vcc, 0, v50
	v_cndmask_b32_e64 v2, 0, v2, s[28:29]
	v_mov_b32_e32 v7, 0x78
	v_or_b32_e32 v6, 0x800000, v1
	v_cndmask_b32_e32 v51, v2, v7, vcc
	v_cndmask_b32_e32 v2, v6, v1, vcc
	v_add_u32_e32 v1, 20, v51
	v_lshlrev_b64 v[16:17], v1, -1
	v_add_u32_e32 v1, 19, v51
	v_lshlrev_b64 v[20:21], v1, 1
	v_bfi_b32 v17, v17, 0, 0
	v_bfi_b32 v16, v16, 0, v2
	v_cmp_eq_u64_e64 s[28:29], v[16:17], v[20:21]
	v_lshrrev_b64 v[16:17], v51, v[2:3]
	v_mov_b32_e32 v21, v17
	v_mov_b32_e32 v20, v16
	s_and_saveexec_b64 s[38:39], s[28:29]
; %bb.4684:                             ;   in Loop: Header=BB4_4388 Depth=3
	v_bfe_u32 v1, v16, 20, 1
	v_add_co_u32_e64 v1, s[28:29], v16, v1
	v_add_co_u32_e64 v20, s[28:29], -1, v1
; %bb.4685:                             ;   in Loop: Header=BB4_4388 Depth=3
	s_or_b64 exec, exec, s[38:39]
	v_add_u32_e32 v1, 0xffffff81, v50
	v_mov_b32_e32 v2, 0xffffff82
	v_cndmask_b32_e32 v1, v1, v2, vcc
	v_lshrrev_b32_e32 v2, 23, v16
	v_add3_u32 v6, v51, v1, v2
	v_add_u32_e32 v1, 6, v6
	v_and_b32_e32 v2, 0xfffff, v20
	v_add_u32_e32 v2, v2, v16
	v_cmp_ne_u32_e32 vcc, 0, v1
                                        ; implicit-def: $vgpr16_vgpr17
                                        ; implicit-def: $vgpr20
	s_and_saveexec_b64 s[28:29], vcc
	s_xor_b64 s[28:29], exec, s[28:29]
; %bb.4686:                             ;   in Loop: Header=BB4_4388 Depth=3
	v_cmp_lt_u64_e32 vcc, s[88:89], v[2:3]
	v_add_u32_e32 v6, 7, v6
	v_cndmask_b32_e32 v20, v1, v6, vcc
	v_cndmask_b32_e64 v1, 0, 1, vcc
	v_lshrrev_b64 v[16:17], v1, v[2:3]
; %bb.4687:                             ;   in Loop: Header=BB4_4388 Depth=3
	s_andn2_saveexec_b64 s[28:29], s[28:29]
; %bb.4688:                             ;   in Loop: Header=BB4_4388 Depth=3
	v_mov_b32_e32 v17, v3
	v_bfe_u32 v20, v2, 23, 1
	v_mov_b32_e32 v16, v2
; %bb.4689:                             ;   in Loop: Header=BB4_4388 Depth=3
	s_or_b64 exec, exec, s[28:29]
	v_lshrrev_b64 v[1:2], 20, v[16:17]
	v_cmp_gt_i32_e32 vcc, 16, v20
	v_cndmask_b32_e32 v2, 0, v2, vcc
	v_cndmask_b32_e32 v1, 7, v1, vcc
	v_cmp_eq_u64_e64 s[28:29], 0, v[1:2]
	v_min_i32_e32 v2, 15, v20
	v_lshlrev_b32_e32 v2, 3, v2
	v_cmp_eq_u32_e32 vcc, 0, v20
	v_and_b32_e32 v2, 0xf8, v2
	v_and_or_b32 v1, v1, 7, v2
	s_and_b64 s[28:29], vcc, s[28:29]
	v_cndmask_b32_e64 v1, v1, 0, s[28:29]
	v_or_b32_e32 v58, v1, v36
.LBB4_4690:                             ;   in Loop: Header=BB4_4388 Depth=3
	s_or_b64 exec, exec, s[36:37]
                                        ; implicit-def: $vgpr36
.LBB4_4691:                             ;   in Loop: Header=BB4_4388 Depth=3
	s_andn2_saveexec_b64 s[28:29], s[34:35]
; %bb.4692:                             ;   in Loop: Header=BB4_4388 Depth=3
	v_or_b32_e32 v58, 0x7e, v36
; %bb.4693:                             ;   in Loop: Header=BB4_4388 Depth=3
	s_or_b64 exec, exec, s[28:29]
                                        ; implicit-def: $vgpr16
.LBB4_4694:                             ;   in Loop: Header=BB4_4388 Depth=3
	s_andn2_saveexec_b64 s[28:29], s[30:31]
; %bb.4695:                             ;   in Loop: Header=BB4_4388 Depth=3
	v_or_b32_sdwa v58, v16, s71 dst_sel:DWORD dst_unused:UNUSED_PAD src0_sel:BYTE_3 src1_sel:DWORD
; %bb.4696:                             ;   in Loop: Header=BB4_4388 Depth=3
	s_or_b64 exec, exec, s[28:29]
	v_cmp_lt_u32_e32 vcc, s57, v22
	v_mov_b32_e32 v16, 0
	v_mov_b32_e32 v17, 0
	s_and_saveexec_b64 s[28:29], vcc
	s_cbranch_execz .LBB4_4702
; %bb.4697:                             ;   in Loop: Header=BB4_4388 Depth=3
	v_lshrrev_b32_e32 v2, 24, v22
	v_cmp_ne_u32_e32 vcc, s70, v2
	v_bfrev_b32_e32 v17, 1
	s_and_saveexec_b64 s[30:31], vcc
	s_cbranch_execz .LBB4_4701
; %bb.4698:                             ;   in Loop: Header=BB4_4388 Depth=3
	v_bfe_u32 v1, v22, 24, 7
	v_cmp_ne_u32_e32 vcc, s71, v1
	v_mov_b32_e32 v17, 0x7f800001
	s_and_saveexec_b64 s[34:35], vcc
	s_cbranch_execz .LBB4_4700
; %bb.4699:                             ;   in Loop: Header=BB4_4388 Depth=3
	v_and_b32_e32 v6, 7, v2
	v_lshrrev_b32_e32 v7, 3, v1
	v_cmp_gt_u32_e32 vcc, 8, v1
	v_ffbh_u32_e32 v1, v6
	v_min_u32_e32 v1, 32, v1
	v_subrev_u32_e32 v17, 28, v1
	v_lshlrev_b64 v[20:21], v17, v[2:3]
	v_sub_u32_e32 v1, 29, v1
	v_and_b32_e32 v17, 7, v20
	v_cndmask_b32_e32 v1, v7, v1, vcc
	v_cndmask_b32_e32 v6, v6, v17, vcc
	v_lshlrev_b32_e32 v2, 24, v2
	v_lshlrev_b32_e32 v6, 20, v6
	v_and_b32_e32 v2, 0x80000000, v2
	v_lshl_add_u32 v1, v1, 23, v0
	v_or3_b32 v17, v2, v1, v6
.LBB4_4700:                             ;   in Loop: Header=BB4_4388 Depth=3
	s_or_b64 exec, exec, s[34:35]
.LBB4_4701:                             ;   in Loop: Header=BB4_4388 Depth=3
	s_or_b64 exec, exec, s[30:31]
.LBB4_4702:                             ;   in Loop: Header=BB4_4388 Depth=3
	s_or_b64 exec, exec, s[28:29]
	v_cmp_lt_u32_e32 vcc, s57, v18
	s_and_saveexec_b64 s[28:29], vcc
	s_cbranch_execz .LBB4_4708
; %bb.4703:                             ;   in Loop: Header=BB4_4388 Depth=3
	v_lshrrev_b32_e32 v2, 24, v18
	v_cmp_ne_u32_e32 vcc, s70, v2
	v_bfrev_b32_e32 v16, 1
	s_and_saveexec_b64 s[30:31], vcc
	s_cbranch_execz .LBB4_4707
; %bb.4704:                             ;   in Loop: Header=BB4_4388 Depth=3
	v_bfe_u32 v1, v18, 24, 7
	v_cmp_ne_u32_e32 vcc, s71, v1
	v_mov_b32_e32 v16, 0x7f800001
	s_and_saveexec_b64 s[34:35], vcc
	s_cbranch_execz .LBB4_4706
; %bb.4705:                             ;   in Loop: Header=BB4_4388 Depth=3
	v_and_b32_e32 v6, 7, v2
	v_lshrrev_b32_e32 v7, 3, v1
	v_cmp_gt_u32_e32 vcc, 8, v1
	v_ffbh_u32_e32 v1, v6
	v_min_u32_e32 v1, 32, v1
	v_subrev_u32_e32 v16, 28, v1
	v_lshlrev_b64 v[20:21], v16, v[2:3]
	v_sub_u32_e32 v1, 29, v1
	v_and_b32_e32 v16, 7, v20
	v_cndmask_b32_e32 v1, v7, v1, vcc
	v_cndmask_b32_e32 v6, v6, v16, vcc
	v_lshlrev_b32_e32 v2, 24, v2
	v_lshlrev_b32_e32 v6, 20, v6
	v_and_b32_e32 v2, 0x80000000, v2
	v_lshl_add_u32 v1, v1, 23, v0
	v_or3_b32 v16, v2, v1, v6
.LBB4_4706:                             ;   in Loop: Header=BB4_4388 Depth=3
	s_or_b64 exec, exec, s[34:35]
.LBB4_4707:                             ;   in Loop: Header=BB4_4388 Depth=3
	s_or_b64 exec, exec, s[30:31]
.LBB4_4708:                             ;   in Loop: Header=BB4_4388 Depth=3
	s_or_b64 exec, exec, s[28:29]
	v_mul_f32_e32 v16, v17, v16
	v_and_b32_e32 v2, 0x7f800000, v16
	v_cmp_ne_u64_e32 vcc, s[62:63], v[2:3]
                                        ; implicit-def: $vgpr59
	s_and_saveexec_b64 s[28:29], vcc
	s_xor_b64 s[30:31], exec, s[28:29]
	s_cbranch_execz .LBB4_4722
; %bb.4709:                             ;   in Loop: Header=BB4_4388 Depth=3
	v_and_b32_e32 v2, 0x7fffffff, v16
	v_cmp_gt_u64_e32 vcc, s[72:73], v[2:3]
	v_and_b32_sdwa v36, v16, s70 dst_sel:DWORD dst_unused:UNUSED_PAD src0_sel:BYTE_3 src1_sel:DWORD
                                        ; implicit-def: $vgpr59
	s_and_saveexec_b64 s[28:29], vcc
	s_xor_b64 s[34:35], exec, s[28:29]
	s_cbranch_execz .LBB4_4719
; %bb.4710:                             ;   in Loop: Header=BB4_4388 Depth=3
	v_mov_b32_e32 v59, 0
	v_cmp_ne_u32_e32 vcc, 0, v16
	s_and_saveexec_b64 s[36:37], vcc
	s_cbranch_execz .LBB4_4718
; %bb.4711:                             ;   in Loop: Header=BB4_4388 Depth=3
	v_bfe_u32 v50, v16, 23, 8
	v_cmp_gt_u32_e64 s[28:29], s80, v50
	v_sub_u32_e32 v2, 0x79, v50
	v_and_b32_e32 v1, 0x7fffff, v16
	v_cmp_eq_u32_e32 vcc, 0, v50
	v_cndmask_b32_e64 v2, 0, v2, s[28:29]
	v_mov_b32_e32 v7, 0x78
	v_or_b32_e32 v6, 0x800000, v1
	v_cndmask_b32_e32 v51, v2, v7, vcc
	v_cndmask_b32_e32 v2, v6, v1, vcc
	v_add_u32_e32 v1, 20, v51
	v_lshlrev_b64 v[16:17], v1, -1
	v_add_u32_e32 v1, 19, v51
	v_lshlrev_b64 v[20:21], v1, 1
	v_bfi_b32 v17, v17, 0, 0
	v_bfi_b32 v16, v16, 0, v2
	v_cmp_eq_u64_e64 s[28:29], v[16:17], v[20:21]
	v_lshrrev_b64 v[16:17], v51, v[2:3]
	v_mov_b32_e32 v21, v17
	v_mov_b32_e32 v20, v16
	s_and_saveexec_b64 s[38:39], s[28:29]
; %bb.4712:                             ;   in Loop: Header=BB4_4388 Depth=3
	v_bfe_u32 v1, v16, 20, 1
	v_add_co_u32_e64 v1, s[28:29], v16, v1
	v_add_co_u32_e64 v20, s[28:29], -1, v1
; %bb.4713:                             ;   in Loop: Header=BB4_4388 Depth=3
	s_or_b64 exec, exec, s[38:39]
	v_add_u32_e32 v1, 0xffffff81, v50
	v_mov_b32_e32 v2, 0xffffff82
	v_cndmask_b32_e32 v1, v1, v2, vcc
	v_lshrrev_b32_e32 v2, 23, v16
	v_add3_u32 v6, v51, v1, v2
	v_add_u32_e32 v1, 6, v6
	v_and_b32_e32 v2, 0xfffff, v20
	v_add_u32_e32 v2, v2, v16
	v_cmp_ne_u32_e32 vcc, 0, v1
                                        ; implicit-def: $vgpr16_vgpr17
                                        ; implicit-def: $vgpr20
	s_and_saveexec_b64 s[28:29], vcc
	s_xor_b64 s[28:29], exec, s[28:29]
; %bb.4714:                             ;   in Loop: Header=BB4_4388 Depth=3
	v_cmp_lt_u64_e32 vcc, s[88:89], v[2:3]
	v_add_u32_e32 v6, 7, v6
	v_cndmask_b32_e32 v20, v1, v6, vcc
	v_cndmask_b32_e64 v1, 0, 1, vcc
	v_lshrrev_b64 v[16:17], v1, v[2:3]
; %bb.4715:                             ;   in Loop: Header=BB4_4388 Depth=3
	s_andn2_saveexec_b64 s[28:29], s[28:29]
; %bb.4716:                             ;   in Loop: Header=BB4_4388 Depth=3
	v_mov_b32_e32 v17, v3
	v_bfe_u32 v20, v2, 23, 1
	v_mov_b32_e32 v16, v2
; %bb.4717:                             ;   in Loop: Header=BB4_4388 Depth=3
	s_or_b64 exec, exec, s[28:29]
	v_lshrrev_b64 v[1:2], 20, v[16:17]
	v_cmp_gt_i32_e32 vcc, 16, v20
	v_cndmask_b32_e32 v2, 0, v2, vcc
	v_cndmask_b32_e32 v1, 7, v1, vcc
	v_cmp_eq_u64_e64 s[28:29], 0, v[1:2]
	v_min_i32_e32 v2, 15, v20
	v_lshlrev_b32_e32 v2, 3, v2
	v_cmp_eq_u32_e32 vcc, 0, v20
	v_and_b32_e32 v2, 0xf8, v2
	v_and_or_b32 v1, v1, 7, v2
	s_and_b64 s[28:29], vcc, s[28:29]
	v_cndmask_b32_e64 v1, v1, 0, s[28:29]
	v_or_b32_e32 v59, v1, v36
.LBB4_4718:                             ;   in Loop: Header=BB4_4388 Depth=3
	s_or_b64 exec, exec, s[36:37]
                                        ; implicit-def: $vgpr36
.LBB4_4719:                             ;   in Loop: Header=BB4_4388 Depth=3
	s_andn2_saveexec_b64 s[28:29], s[34:35]
; %bb.4720:                             ;   in Loop: Header=BB4_4388 Depth=3
	v_or_b32_e32 v59, 0x7e, v36
; %bb.4721:                             ;   in Loop: Header=BB4_4388 Depth=3
	s_or_b64 exec, exec, s[28:29]
                                        ; implicit-def: $vgpr16
.LBB4_4722:                             ;   in Loop: Header=BB4_4388 Depth=3
	s_andn2_saveexec_b64 s[28:29], s[30:31]
; %bb.4723:                             ;   in Loop: Header=BB4_4388 Depth=3
	v_or_b32_sdwa v59, v16, s71 dst_sel:DWORD dst_unused:UNUSED_PAD src0_sel:BYTE_3 src1_sel:DWORD
; %bb.4724:                             ;   in Loop: Header=BB4_4388 Depth=3
	s_or_b64 exec, exec, s[28:29]
	v_mov_b32_e32 v2, v23
	v_cmp_ne_u16_sdwa s[44:45], v23, v3 src0_sel:BYTE_0 src1_sel:DWORD
	v_mov_b32_e32 v17, 0
	v_mov_b32_e32 v16, 0
	s_and_saveexec_b64 s[28:29], s[44:45]
	s_cbranch_execz .LBB4_4730
; %bb.4725:                             ;   in Loop: Header=BB4_4388 Depth=3
	v_cmp_ne_u16_sdwa s[44:45], v23, s70 src0_sel:BYTE_0 src1_sel:DWORD
	v_bfrev_b32_e32 v16, 1
	s_and_saveexec_b64 s[30:31], s[44:45]
	s_cbranch_execz .LBB4_4729
; %bb.4726:                             ;   in Loop: Header=BB4_4388 Depth=3
	v_and_b32_e32 v1, 0x7f, v23
	v_cmp_ne_u32_e32 vcc, s71, v1
	v_mov_b32_e32 v16, 0x7f800001
	s_and_saveexec_b64 s[34:35], vcc
	s_cbranch_execz .LBB4_4728
; %bb.4727:                             ;   in Loop: Header=BB4_4388 Depth=3
	v_and_b32_e32 v6, 7, v23
	v_lshrrev_b32_e32 v7, 3, v1
	v_cmp_gt_u32_e32 vcc, 8, v1
	v_ffbh_u32_e32 v1, v6
	v_min_u32_e32 v1, 32, v1
	v_subrev_u32_e32 v6, 28, v1
	v_cndmask_b32_e32 v6, 0, v6, vcc
	v_lshlrev_b64 v[20:21], v6, v[2:3]
	v_sub_u32_e32 v1, 29, v1
	v_cndmask_b32_e32 v1, v7, v1, vcc
	v_lshlrev_b32_e32 v6, 20, v20
	v_lshlrev_b32_e32 v7, 24, v2
	v_and_b32_e32 v6, 0x700000, v6
	v_and_b32_e32 v7, 0x80000000, v7
	v_lshl_add_u32 v1, v1, 23, v0
	v_or3_b32 v16, v7, v1, v6
.LBB4_4728:                             ;   in Loop: Header=BB4_4388 Depth=3
	s_or_b64 exec, exec, s[34:35]
.LBB4_4729:                             ;   in Loop: Header=BB4_4388 Depth=3
	s_or_b64 exec, exec, s[30:31]
.LBB4_4730:                             ;   in Loop: Header=BB4_4388 Depth=3
	s_or_b64 exec, exec, s[28:29]
	v_cmp_ne_u16_sdwa s[44:45], v19, v3 src0_sel:BYTE_0 src1_sel:DWORD
	s_and_saveexec_b64 s[28:29], s[44:45]
	s_cbranch_execz .LBB4_4736
; %bb.4731:                             ;   in Loop: Header=BB4_4388 Depth=3
	v_cmp_ne_u16_sdwa s[44:45], v19, s70 src0_sel:BYTE_0 src1_sel:DWORD
	v_bfrev_b32_e32 v17, 1
	s_and_saveexec_b64 s[30:31], s[44:45]
	s_cbranch_execz .LBB4_4735
; %bb.4732:                             ;   in Loop: Header=BB4_4388 Depth=3
	v_and_b32_e32 v1, 0x7f, v19
	v_cmp_ne_u32_e32 vcc, s71, v1
	v_mov_b32_e32 v17, 0x7f800001
	s_and_saveexec_b64 s[34:35], vcc
	s_cbranch_execz .LBB4_4734
; %bb.4733:                             ;   in Loop: Header=BB4_4388 Depth=3
	v_and_b32_e32 v6, 7, v19
	v_lshrrev_b32_e32 v7, 3, v1
	v_cmp_gt_u32_e32 vcc, 8, v1
	v_ffbh_u32_e32 v1, v6
	v_min_u32_e32 v1, 32, v1
	v_subrev_u32_e32 v6, 28, v1
	v_mov_b32_e32 v20, v19
	v_mov_b32_e32 v21, v3
	v_cndmask_b32_e32 v6, 0, v6, vcc
	v_lshlrev_b64 v[50:51], v6, v[20:21]
	v_sub_u32_e32 v1, 29, v1
	v_cndmask_b32_e32 v1, v7, v1, vcc
	v_lshlrev_b32_e32 v6, 20, v50
	v_lshlrev_b32_e32 v7, 24, v20
	v_and_b32_e32 v6, 0x700000, v6
	v_and_b32_e32 v7, 0x80000000, v7
	v_lshl_add_u32 v1, v1, 23, v0
	v_or3_b32 v17, v7, v1, v6
.LBB4_4734:                             ;   in Loop: Header=BB4_4388 Depth=3
	s_or_b64 exec, exec, s[34:35]
.LBB4_4735:                             ;   in Loop: Header=BB4_4388 Depth=3
	s_or_b64 exec, exec, s[30:31]
.LBB4_4736:                             ;   in Loop: Header=BB4_4388 Depth=3
	s_or_b64 exec, exec, s[28:29]
	v_mul_f32_e32 v16, v16, v17
	v_and_b32_e32 v20, 0x7f800000, v16
	v_mov_b32_e32 v21, v3
	v_cmp_ne_u64_e32 vcc, s[62:63], v[20:21]
                                        ; implicit-def: $vgpr56
	s_and_saveexec_b64 s[28:29], vcc
	s_xor_b64 s[30:31], exec, s[28:29]
	s_cbranch_execz .LBB4_4750
; %bb.4737:                             ;   in Loop: Header=BB4_4388 Depth=3
	v_and_b32_e32 v20, 0x7fffffff, v16
	v_mov_b32_e32 v21, v3
	v_cmp_gt_u64_e32 vcc, s[72:73], v[20:21]
	v_and_b32_sdwa v36, v16, s70 dst_sel:DWORD dst_unused:UNUSED_PAD src0_sel:BYTE_3 src1_sel:DWORD
                                        ; implicit-def: $vgpr56
	s_and_saveexec_b64 s[28:29], vcc
	s_xor_b64 s[34:35], exec, s[28:29]
	s_cbranch_execz .LBB4_4747
; %bb.4738:                             ;   in Loop: Header=BB4_4388 Depth=3
	v_mov_b32_e32 v56, 0
	v_cmp_ne_u32_e32 vcc, 0, v16
	s_and_saveexec_b64 s[36:37], vcc
	s_cbranch_execz .LBB4_4746
; %bb.4739:                             ;   in Loop: Header=BB4_4388 Depth=3
	v_bfe_u32 v50, v16, 23, 8
	v_cmp_gt_u32_e64 s[28:29], s80, v50
	v_sub_u32_e32 v6, 0x79, v50
	v_and_b32_e32 v1, 0x7fffff, v16
	v_cmp_eq_u32_e32 vcc, 0, v50
	v_cndmask_b32_e64 v6, 0, v6, s[28:29]
	v_mov_b32_e32 v16, 0x78
	v_or_b32_e32 v7, 0x800000, v1
	v_cndmask_b32_e32 v51, v6, v16, vcc
	v_cndmask_b32_e32 v16, v7, v1, vcc
	v_add_u32_e32 v1, 20, v51
	v_lshlrev_b64 v[20:21], v1, -1
	v_mov_b32_e32 v17, v3
	v_add_u32_e32 v1, 19, v51
	v_bfi_b32 v20, v20, 0, v16
	v_lshlrev_b64 v[42:43], v1, 1
	v_lshrrev_b64 v[16:17], v51, v[16:17]
	v_bfi_b32 v21, v21, 0, 0
	v_cmp_eq_u64_e64 s[28:29], v[20:21], v[42:43]
	v_mov_b32_e32 v21, v17
	v_mov_b32_e32 v20, v16
	s_and_saveexec_b64 s[38:39], s[28:29]
; %bb.4740:                             ;   in Loop: Header=BB4_4388 Depth=3
	v_bfe_u32 v1, v16, 20, 1
	v_add_co_u32_e64 v1, s[28:29], v16, v1
	v_add_co_u32_e64 v20, s[28:29], -1, v1
; %bb.4741:                             ;   in Loop: Header=BB4_4388 Depth=3
	s_or_b64 exec, exec, s[38:39]
	v_add_u32_e32 v1, 0xffffff81, v50
	v_mov_b32_e32 v6, 0xffffff82
	v_cndmask_b32_e32 v1, v1, v6, vcc
	v_lshrrev_b32_e32 v6, 23, v16
	v_add3_u32 v6, v51, v1, v6
	v_add_u32_e32 v1, 6, v6
	v_and_b32_e32 v7, 0xfffff, v20
	v_add_u32_e32 v16, v7, v16
	v_mov_b32_e32 v17, v3
	v_cmp_ne_u32_e32 vcc, 0, v1
                                        ; implicit-def: $vgpr20
	s_and_saveexec_b64 s[28:29], vcc
	s_xor_b64 s[28:29], exec, s[28:29]
; %bb.4742:                             ;   in Loop: Header=BB4_4388 Depth=3
	v_cmp_lt_u64_e32 vcc, s[88:89], v[16:17]
	v_add_u32_e32 v6, 7, v6
	v_cndmask_b32_e32 v20, v1, v6, vcc
	v_cndmask_b32_e64 v1, 0, 1, vcc
	v_lshrrev_b64 v[16:17], v1, v[16:17]
; %bb.4743:                             ;   in Loop: Header=BB4_4388 Depth=3
	s_andn2_saveexec_b64 s[28:29], s[28:29]
; %bb.4744:                             ;   in Loop: Header=BB4_4388 Depth=3
	v_bfe_u32 v20, v16, 23, 1
; %bb.4745:                             ;   in Loop: Header=BB4_4388 Depth=3
	s_or_b64 exec, exec, s[28:29]
	v_lshrrev_b64 v[16:17], 20, v[16:17]
	v_cmp_gt_i32_e32 vcc, 16, v20
	v_cndmask_b32_e32 v17, 0, v17, vcc
	v_cndmask_b32_e32 v16, 7, v16, vcc
	v_min_i32_e32 v1, 15, v20
	v_cmp_eq_u64_e64 s[28:29], 0, v[16:17]
	v_lshlrev_b32_e32 v1, 3, v1
	v_cmp_eq_u32_e32 vcc, 0, v20
	v_and_b32_e32 v1, 0xf8, v1
	v_and_or_b32 v1, v16, 7, v1
	s_and_b64 s[28:29], vcc, s[28:29]
	v_cndmask_b32_e64 v1, v1, 0, s[28:29]
	v_or_b32_e32 v56, v1, v36
.LBB4_4746:                             ;   in Loop: Header=BB4_4388 Depth=3
	s_or_b64 exec, exec, s[36:37]
                                        ; implicit-def: $vgpr36
.LBB4_4747:                             ;   in Loop: Header=BB4_4388 Depth=3
	s_andn2_saveexec_b64 s[28:29], s[34:35]
; %bb.4748:                             ;   in Loop: Header=BB4_4388 Depth=3
	v_or_b32_e32 v56, 0x7e, v36
; %bb.4749:                             ;   in Loop: Header=BB4_4388 Depth=3
	s_or_b64 exec, exec, s[28:29]
                                        ; implicit-def: $vgpr16
.LBB4_4750:                             ;   in Loop: Header=BB4_4388 Depth=3
	s_andn2_saveexec_b64 s[28:29], s[30:31]
; %bb.4751:                             ;   in Loop: Header=BB4_4388 Depth=3
	v_or_b32_sdwa v56, v16, s71 dst_sel:DWORD dst_unused:UNUSED_PAD src0_sel:BYTE_3 src1_sel:DWORD
; %bb.4752:                             ;   in Loop: Header=BB4_4388 Depth=3
	s_or_b64 exec, exec, s[28:29]
	v_lshrrev_b16_e32 v16, 8, v2
	v_cmp_ne_u16_e32 vcc, 0, v16
	v_mov_b32_e32 v17, 0
	v_mov_b32_e32 v20, 0
	s_and_saveexec_b64 s[28:29], vcc
	s_cbranch_execz .LBB4_4758
; %bb.4753:                             ;   in Loop: Header=BB4_4388 Depth=3
	v_cmp_ne_u16_e32 vcc, s70, v16
	v_bfrev_b32_e32 v20, 1
	s_and_saveexec_b64 s[30:31], vcc
	s_cbranch_execz .LBB4_4757
; %bb.4754:                             ;   in Loop: Header=BB4_4388 Depth=3
	v_and_b32_e32 v1, 0x7f, v16
	v_cmp_ne_u32_e32 vcc, s71, v1
	v_mov_b32_e32 v20, 0x7f800001
	s_and_saveexec_b64 s[34:35], vcc
	s_cbranch_execz .LBB4_4756
; %bb.4755:                             ;   in Loop: Header=BB4_4388 Depth=3
	v_and_b32_e32 v6, 7, v16
	v_lshrrev_b32_e32 v7, 3, v1
	v_cmp_gt_u32_e32 vcc, 8, v1
	v_ffbh_u32_e32 v1, v6
	v_min_u32_e32 v1, 32, v1
	v_subrev_u32_e32 v20, 28, v1
	v_lshlrev_b64 v[20:21], v20, v[16:17]
	v_sub_u32_e32 v1, 29, v1
	v_and_b32_e32 v16, 7, v20
	v_cndmask_b32_e32 v1, v7, v1, vcc
	v_cndmask_b32_e32 v6, v6, v16, vcc
	v_lshlrev_b32_e32 v2, 16, v2
	v_lshlrev_b32_e32 v6, 20, v6
	v_and_b32_e32 v2, 0x80000000, v2
	v_lshl_add_u32 v1, v1, 23, v0
	v_or3_b32 v20, v2, v1, v6
.LBB4_4756:                             ;   in Loop: Header=BB4_4388 Depth=3
	s_or_b64 exec, exec, s[34:35]
.LBB4_4757:                             ;   in Loop: Header=BB4_4388 Depth=3
	s_or_b64 exec, exec, s[30:31]
.LBB4_4758:                             ;   in Loop: Header=BB4_4388 Depth=3
	s_or_b64 exec, exec, s[28:29]
	v_lshrrev_b16_e32 v2, 8, v19
	v_cmp_ne_u16_e32 vcc, 0, v2
	s_and_saveexec_b64 s[28:29], vcc
	s_cbranch_execz .LBB4_4764
; %bb.4759:                             ;   in Loop: Header=BB4_4388 Depth=3
	v_cmp_ne_u16_e32 vcc, s70, v2
	v_bfrev_b32_e32 v17, 1
	s_and_saveexec_b64 s[30:31], vcc
	s_cbranch_execz .LBB4_4763
; %bb.4760:                             ;   in Loop: Header=BB4_4388 Depth=3
	v_and_b32_e32 v1, 0x7f, v2
	v_cmp_ne_u32_e32 vcc, s71, v1
	v_mov_b32_e32 v17, 0x7f800001
	s_and_saveexec_b64 s[34:35], vcc
	s_cbranch_execz .LBB4_4762
; %bb.4761:                             ;   in Loop: Header=BB4_4388 Depth=3
	v_and_b32_e32 v6, 7, v2
	v_lshrrev_b32_e32 v7, 3, v1
	v_cmp_gt_u32_e32 vcc, 8, v1
	v_ffbh_u32_e32 v1, v6
	v_min_u32_e32 v16, 32, v1
	v_subrev_u32_e32 v1, 28, v16
	v_lshlrev_b64 v[1:2], v1, v[2:3]
	v_sub_u32_e32 v2, 29, v16
	v_and_b32_e32 v1, 7, v1
	v_cndmask_b32_e32 v2, v7, v2, vcc
	v_cndmask_b32_e32 v1, v6, v1, vcc
	v_lshlrev_b32_e32 v6, 16, v19
	v_lshlrev_b32_e32 v1, 20, v1
	v_and_b32_e32 v6, 0x80000000, v6
	v_lshl_add_u32 v2, v2, 23, v0
	v_or3_b32 v17, v6, v2, v1
.LBB4_4762:                             ;   in Loop: Header=BB4_4388 Depth=3
	s_or_b64 exec, exec, s[34:35]
.LBB4_4763:                             ;   in Loop: Header=BB4_4388 Depth=3
	s_or_b64 exec, exec, s[30:31]
.LBB4_4764:                             ;   in Loop: Header=BB4_4388 Depth=3
	s_or_b64 exec, exec, s[28:29]
	v_mul_f32_e32 v16, v20, v17
	v_and_b32_e32 v2, 0x7f800000, v16
	v_cmp_ne_u64_e32 vcc, s[62:63], v[2:3]
                                        ; implicit-def: $vgpr42
	s_and_saveexec_b64 s[28:29], vcc
	s_xor_b64 s[30:31], exec, s[28:29]
	s_cbranch_execz .LBB4_4778
; %bb.4765:                             ;   in Loop: Header=BB4_4388 Depth=3
	v_and_b32_e32 v2, 0x7fffffff, v16
	v_cmp_gt_u64_e32 vcc, s[72:73], v[2:3]
	v_and_b32_sdwa v36, v16, s70 dst_sel:DWORD dst_unused:UNUSED_PAD src0_sel:BYTE_3 src1_sel:DWORD
                                        ; implicit-def: $vgpr42
	s_and_saveexec_b64 s[28:29], vcc
	s_xor_b64 s[34:35], exec, s[28:29]
	s_cbranch_execz .LBB4_4775
; %bb.4766:                             ;   in Loop: Header=BB4_4388 Depth=3
	v_mov_b32_e32 v42, 0
	v_cmp_ne_u32_e32 vcc, 0, v16
	s_and_saveexec_b64 s[36:37], vcc
	s_cbranch_execz .LBB4_4774
; %bb.4767:                             ;   in Loop: Header=BB4_4388 Depth=3
	v_bfe_u32 v50, v16, 23, 8
	v_cmp_gt_u32_e64 s[28:29], s80, v50
	v_sub_u32_e32 v2, 0x79, v50
	v_and_b32_e32 v1, 0x7fffff, v16
	v_cmp_eq_u32_e32 vcc, 0, v50
	v_cndmask_b32_e64 v2, 0, v2, s[28:29]
	v_mov_b32_e32 v7, 0x78
	v_or_b32_e32 v6, 0x800000, v1
	v_cndmask_b32_e32 v51, v2, v7, vcc
	v_cndmask_b32_e32 v2, v6, v1, vcc
	v_add_u32_e32 v1, 20, v51
	v_lshlrev_b64 v[16:17], v1, -1
	v_add_u32_e32 v1, 19, v51
	v_lshlrev_b64 v[20:21], v1, 1
	v_bfi_b32 v17, v17, 0, 0
	v_bfi_b32 v16, v16, 0, v2
	v_cmp_eq_u64_e64 s[28:29], v[16:17], v[20:21]
	v_lshrrev_b64 v[16:17], v51, v[2:3]
	v_mov_b32_e32 v21, v17
	v_mov_b32_e32 v20, v16
	s_and_saveexec_b64 s[38:39], s[28:29]
; %bb.4768:                             ;   in Loop: Header=BB4_4388 Depth=3
	v_bfe_u32 v1, v16, 20, 1
	v_add_co_u32_e64 v1, s[28:29], v16, v1
	v_add_co_u32_e64 v20, s[28:29], -1, v1
; %bb.4769:                             ;   in Loop: Header=BB4_4388 Depth=3
	s_or_b64 exec, exec, s[38:39]
	v_add_u32_e32 v1, 0xffffff81, v50
	v_mov_b32_e32 v2, 0xffffff82
	v_cndmask_b32_e32 v1, v1, v2, vcc
	v_lshrrev_b32_e32 v2, 23, v16
	v_add3_u32 v6, v51, v1, v2
	v_add_u32_e32 v1, 6, v6
	v_and_b32_e32 v2, 0xfffff, v20
	v_add_u32_e32 v2, v2, v16
	v_cmp_ne_u32_e32 vcc, 0, v1
                                        ; implicit-def: $vgpr16_vgpr17
                                        ; implicit-def: $vgpr20
	s_and_saveexec_b64 s[28:29], vcc
	s_xor_b64 s[28:29], exec, s[28:29]
; %bb.4770:                             ;   in Loop: Header=BB4_4388 Depth=3
	v_cmp_lt_u64_e32 vcc, s[88:89], v[2:3]
	v_add_u32_e32 v6, 7, v6
	v_cndmask_b32_e32 v20, v1, v6, vcc
	v_cndmask_b32_e64 v1, 0, 1, vcc
	v_lshrrev_b64 v[16:17], v1, v[2:3]
; %bb.4771:                             ;   in Loop: Header=BB4_4388 Depth=3
	s_andn2_saveexec_b64 s[28:29], s[28:29]
; %bb.4772:                             ;   in Loop: Header=BB4_4388 Depth=3
	v_mov_b32_e32 v17, v3
	v_bfe_u32 v20, v2, 23, 1
	v_mov_b32_e32 v16, v2
; %bb.4773:                             ;   in Loop: Header=BB4_4388 Depth=3
	s_or_b64 exec, exec, s[28:29]
	v_lshrrev_b64 v[1:2], 20, v[16:17]
	v_cmp_gt_i32_e32 vcc, 16, v20
	v_cndmask_b32_e32 v2, 0, v2, vcc
	v_cndmask_b32_e32 v1, 7, v1, vcc
	v_cmp_eq_u64_e64 s[28:29], 0, v[1:2]
	v_min_i32_e32 v2, 15, v20
	v_lshlrev_b32_e32 v2, 3, v2
	v_cmp_eq_u32_e32 vcc, 0, v20
	v_and_b32_e32 v2, 0xf8, v2
	v_and_or_b32 v1, v1, 7, v2
	s_and_b64 s[28:29], vcc, s[28:29]
	v_cndmask_b32_e64 v1, v1, 0, s[28:29]
	v_or_b32_e32 v42, v1, v36
.LBB4_4774:                             ;   in Loop: Header=BB4_4388 Depth=3
	s_or_b64 exec, exec, s[36:37]
                                        ; implicit-def: $vgpr36
.LBB4_4775:                             ;   in Loop: Header=BB4_4388 Depth=3
	s_andn2_saveexec_b64 s[28:29], s[34:35]
; %bb.4776:                             ;   in Loop: Header=BB4_4388 Depth=3
	v_or_b32_e32 v42, 0x7e, v36
; %bb.4777:                             ;   in Loop: Header=BB4_4388 Depth=3
	s_or_b64 exec, exec, s[28:29]
                                        ; implicit-def: $vgpr16
.LBB4_4778:                             ;   in Loop: Header=BB4_4388 Depth=3
	s_andn2_saveexec_b64 s[28:29], s[30:31]
; %bb.4779:                             ;   in Loop: Header=BB4_4388 Depth=3
	v_or_b32_sdwa v42, v16, s71 dst_sel:DWORD dst_unused:UNUSED_PAD src0_sel:BYTE_3 src1_sel:DWORD
; %bb.4780:                             ;   in Loop: Header=BB4_4388 Depth=3
	s_or_b64 exec, exec, s[28:29]
	v_lshrrev_b32_e32 v2, 16, v23
	v_cmp_ne_u16_sdwa s[44:45], v2, v3 src0_sel:BYTE_0 src1_sel:DWORD
	v_mov_b32_e32 v16, 0
	v_mov_b32_e32 v17, 0
	s_and_saveexec_b64 s[28:29], s[44:45]
	s_cbranch_execz .LBB4_4786
; %bb.4781:                             ;   in Loop: Header=BB4_4388 Depth=3
	v_cmp_ne_u16_sdwa s[44:45], v2, s70 src0_sel:BYTE_0 src1_sel:DWORD
	v_bfrev_b32_e32 v17, 1
	s_and_saveexec_b64 s[30:31], s[44:45]
	s_cbranch_execz .LBB4_4785
; %bb.4782:                             ;   in Loop: Header=BB4_4388 Depth=3
	v_bfe_u32 v1, v23, 16, 7
	v_cmp_ne_u32_e32 vcc, s71, v1
	v_mov_b32_e32 v17, 0x7f800001
	s_and_saveexec_b64 s[34:35], vcc
	s_cbranch_execz .LBB4_4784
; %bb.4783:                             ;   in Loop: Header=BB4_4388 Depth=3
	v_and_b32_e32 v6, 7, v2
	v_lshrrev_b32_e32 v7, 3, v1
	v_cmp_gt_u32_e32 vcc, 8, v1
	v_ffbh_u32_e32 v1, v6
	v_min_u32_e32 v1, 32, v1
	v_subrev_u32_e32 v17, 28, v1
	v_lshlrev_b64 v[20:21], v17, v[2:3]
	v_sub_u32_e32 v1, 29, v1
	v_and_b32_e32 v17, 7, v20
	v_cndmask_b32_e32 v1, v7, v1, vcc
	v_cndmask_b32_e32 v6, v6, v17, vcc
	v_lshlrev_b32_e32 v2, 24, v2
	v_lshlrev_b32_e32 v6, 20, v6
	v_and_b32_e32 v2, 0x80000000, v2
	v_lshl_add_u32 v1, v1, 23, v0
	v_or3_b32 v17, v2, v1, v6
.LBB4_4784:                             ;   in Loop: Header=BB4_4388 Depth=3
	s_or_b64 exec, exec, s[34:35]
.LBB4_4785:                             ;   in Loop: Header=BB4_4388 Depth=3
	s_or_b64 exec, exec, s[30:31]
.LBB4_4786:                             ;   in Loop: Header=BB4_4388 Depth=3
	s_or_b64 exec, exec, s[28:29]
	v_lshrrev_b32_e32 v2, 16, v19
	v_cmp_ne_u16_sdwa s[44:45], v2, v3 src0_sel:BYTE_0 src1_sel:DWORD
	s_and_saveexec_b64 s[28:29], s[44:45]
	s_cbranch_execz .LBB4_4792
; %bb.4787:                             ;   in Loop: Header=BB4_4388 Depth=3
	v_cmp_ne_u16_sdwa s[44:45], v2, s70 src0_sel:BYTE_0 src1_sel:DWORD
	v_bfrev_b32_e32 v16, 1
	s_and_saveexec_b64 s[30:31], s[44:45]
	s_cbranch_execz .LBB4_4791
; %bb.4788:                             ;   in Loop: Header=BB4_4388 Depth=3
	v_bfe_u32 v1, v19, 16, 7
	v_cmp_ne_u32_e32 vcc, s71, v1
	v_mov_b32_e32 v16, 0x7f800001
	s_and_saveexec_b64 s[34:35], vcc
	s_cbranch_execz .LBB4_4790
; %bb.4789:                             ;   in Loop: Header=BB4_4388 Depth=3
	v_and_b32_e32 v6, 7, v2
	v_lshrrev_b32_e32 v7, 3, v1
	v_cmp_gt_u32_e32 vcc, 8, v1
	v_ffbh_u32_e32 v1, v6
	v_min_u32_e32 v16, 32, v1
	v_subrev_u32_e32 v1, 28, v16
	v_lshlrev_b64 v[1:2], v1, v[2:3]
	v_sub_u32_e32 v2, 29, v16
	v_and_b32_e32 v1, 7, v1
	v_cndmask_b32_e32 v2, v7, v2, vcc
	v_cndmask_b32_e32 v1, v6, v1, vcc
	v_lshlrev_b32_e32 v6, 8, v19
	v_lshlrev_b32_e32 v1, 20, v1
	v_and_b32_e32 v6, 0x80000000, v6
	v_lshl_add_u32 v2, v2, 23, v0
	v_or3_b32 v16, v6, v2, v1
.LBB4_4790:                             ;   in Loop: Header=BB4_4388 Depth=3
	s_or_b64 exec, exec, s[34:35]
.LBB4_4791:                             ;   in Loop: Header=BB4_4388 Depth=3
	s_or_b64 exec, exec, s[30:31]
.LBB4_4792:                             ;   in Loop: Header=BB4_4388 Depth=3
	s_or_b64 exec, exec, s[28:29]
	v_mul_f32_e32 v16, v17, v16
	v_and_b32_e32 v2, 0x7f800000, v16
	v_cmp_ne_u64_e32 vcc, s[62:63], v[2:3]
                                        ; implicit-def: $vgpr20
	s_and_saveexec_b64 s[28:29], vcc
	s_xor_b64 s[30:31], exec, s[28:29]
	s_cbranch_execz .LBB4_4806
; %bb.4793:                             ;   in Loop: Header=BB4_4388 Depth=3
	v_and_b32_e32 v2, 0x7fffffff, v16
	v_cmp_gt_u64_e32 vcc, s[72:73], v[2:3]
	v_and_b32_sdwa v36, v16, s70 dst_sel:DWORD dst_unused:UNUSED_PAD src0_sel:BYTE_3 src1_sel:DWORD
                                        ; implicit-def: $vgpr20
	s_and_saveexec_b64 s[28:29], vcc
	s_xor_b64 s[34:35], exec, s[28:29]
	s_cbranch_execz .LBB4_4803
; %bb.4794:                             ;   in Loop: Header=BB4_4388 Depth=3
	v_mov_b32_e32 v20, 0
	v_cmp_ne_u32_e32 vcc, 0, v16
	s_and_saveexec_b64 s[36:37], vcc
	s_cbranch_execz .LBB4_4802
; %bb.4795:                             ;   in Loop: Header=BB4_4388 Depth=3
	v_bfe_u32 v50, v16, 23, 8
	v_cmp_gt_u32_e64 s[28:29], s80, v50
	v_sub_u32_e32 v2, 0x79, v50
	v_and_b32_e32 v1, 0x7fffff, v16
	v_cmp_eq_u32_e32 vcc, 0, v50
	v_cndmask_b32_e64 v2, 0, v2, s[28:29]
	v_mov_b32_e32 v7, 0x78
	v_or_b32_e32 v6, 0x800000, v1
	v_cndmask_b32_e32 v51, v2, v7, vcc
	v_cndmask_b32_e32 v2, v6, v1, vcc
	v_add_u32_e32 v1, 20, v51
	v_lshlrev_b64 v[16:17], v1, -1
	v_add_u32_e32 v1, 19, v51
	v_lshlrev_b64 v[20:21], v1, 1
	v_bfi_b32 v17, v17, 0, 0
	v_bfi_b32 v16, v16, 0, v2
	v_cmp_eq_u64_e64 s[28:29], v[16:17], v[20:21]
	v_lshrrev_b64 v[16:17], v51, v[2:3]
	v_mov_b32_e32 v21, v17
	v_mov_b32_e32 v20, v16
	s_and_saveexec_b64 s[38:39], s[28:29]
; %bb.4796:                             ;   in Loop: Header=BB4_4388 Depth=3
	v_bfe_u32 v1, v16, 20, 1
	v_add_co_u32_e64 v1, s[28:29], v16, v1
	v_add_co_u32_e64 v20, s[28:29], -1, v1
; %bb.4797:                             ;   in Loop: Header=BB4_4388 Depth=3
	s_or_b64 exec, exec, s[38:39]
	v_add_u32_e32 v1, 0xffffff81, v50
	v_mov_b32_e32 v2, 0xffffff82
	v_cndmask_b32_e32 v1, v1, v2, vcc
	v_lshrrev_b32_e32 v2, 23, v16
	v_add3_u32 v6, v51, v1, v2
	v_add_u32_e32 v1, 6, v6
	v_and_b32_e32 v2, 0xfffff, v20
	v_add_u32_e32 v2, v2, v16
	v_cmp_ne_u32_e32 vcc, 0, v1
                                        ; implicit-def: $vgpr16_vgpr17
                                        ; implicit-def: $vgpr20
	s_and_saveexec_b64 s[28:29], vcc
	s_xor_b64 s[28:29], exec, s[28:29]
; %bb.4798:                             ;   in Loop: Header=BB4_4388 Depth=3
	v_cmp_lt_u64_e32 vcc, s[88:89], v[2:3]
	v_add_u32_e32 v6, 7, v6
	v_cndmask_b32_e32 v20, v1, v6, vcc
	v_cndmask_b32_e64 v1, 0, 1, vcc
	v_lshrrev_b64 v[16:17], v1, v[2:3]
; %bb.4799:                             ;   in Loop: Header=BB4_4388 Depth=3
	s_andn2_saveexec_b64 s[28:29], s[28:29]
; %bb.4800:                             ;   in Loop: Header=BB4_4388 Depth=3
	v_mov_b32_e32 v17, v3
	v_bfe_u32 v20, v2, 23, 1
	v_mov_b32_e32 v16, v2
; %bb.4801:                             ;   in Loop: Header=BB4_4388 Depth=3
	s_or_b64 exec, exec, s[28:29]
	v_lshrrev_b64 v[1:2], 20, v[16:17]
	v_cmp_gt_i32_e32 vcc, 16, v20
	v_cndmask_b32_e32 v2, 0, v2, vcc
	v_cndmask_b32_e32 v1, 7, v1, vcc
	v_cmp_eq_u64_e64 s[28:29], 0, v[1:2]
	v_min_i32_e32 v2, 15, v20
	v_lshlrev_b32_e32 v2, 3, v2
	v_cmp_eq_u32_e32 vcc, 0, v20
	v_and_b32_e32 v2, 0xf8, v2
	v_and_or_b32 v1, v1, 7, v2
	s_and_b64 s[28:29], vcc, s[28:29]
	v_cndmask_b32_e64 v1, v1, 0, s[28:29]
	v_or_b32_e32 v20, v1, v36
.LBB4_4802:                             ;   in Loop: Header=BB4_4388 Depth=3
	s_or_b64 exec, exec, s[36:37]
                                        ; implicit-def: $vgpr36
.LBB4_4803:                             ;   in Loop: Header=BB4_4388 Depth=3
	s_andn2_saveexec_b64 s[28:29], s[34:35]
; %bb.4804:                             ;   in Loop: Header=BB4_4388 Depth=3
	v_or_b32_e32 v20, 0x7e, v36
; %bb.4805:                             ;   in Loop: Header=BB4_4388 Depth=3
	s_or_b64 exec, exec, s[28:29]
                                        ; implicit-def: $vgpr16
.LBB4_4806:                             ;   in Loop: Header=BB4_4388 Depth=3
	s_andn2_saveexec_b64 s[28:29], s[30:31]
; %bb.4807:                             ;   in Loop: Header=BB4_4388 Depth=3
	v_or_b32_sdwa v20, v16, s71 dst_sel:DWORD dst_unused:UNUSED_PAD src0_sel:BYTE_3 src1_sel:DWORD
; %bb.4808:                             ;   in Loop: Header=BB4_4388 Depth=3
	s_or_b64 exec, exec, s[28:29]
	v_cmp_lt_u64_e32 vcc, s[56:57], v[22:23]
	v_mov_b32_e32 v16, 0
	v_mov_b32_e32 v17, 0
	s_and_saveexec_b64 s[28:29], vcc
	s_cbranch_execz .LBB4_4814
; %bb.4809:                             ;   in Loop: Header=BB4_4388 Depth=3
	v_lshrrev_b32_e32 v2, 24, v23
	v_cmp_ne_u32_e32 vcc, s70, v2
	v_bfrev_b32_e32 v17, 1
	s_and_saveexec_b64 s[30:31], vcc
	s_cbranch_execz .LBB4_4813
; %bb.4810:                             ;   in Loop: Header=BB4_4388 Depth=3
	v_bfe_u32 v1, v23, 24, 7
	v_cmp_ne_u32_e32 vcc, s71, v1
	v_mov_b32_e32 v17, 0x7f800001
	s_and_saveexec_b64 s[34:35], vcc
	s_cbranch_execz .LBB4_4812
; %bb.4811:                             ;   in Loop: Header=BB4_4388 Depth=3
	v_and_b32_e32 v6, 7, v2
	v_lshrrev_b32_e32 v7, 3, v1
	v_cmp_gt_u32_e32 vcc, 8, v1
	v_ffbh_u32_e32 v1, v6
	v_min_u32_e32 v1, 32, v1
	v_subrev_u32_e32 v17, 28, v1
	v_lshlrev_b64 v[21:22], v17, v[2:3]
	v_sub_u32_e32 v1, 29, v1
	v_and_b32_e32 v17, 7, v21
	v_cndmask_b32_e32 v1, v7, v1, vcc
	v_cndmask_b32_e32 v6, v6, v17, vcc
	v_lshlrev_b32_e32 v2, 24, v2
	v_lshlrev_b32_e32 v6, 20, v6
	v_and_b32_e32 v2, 0x80000000, v2
	v_lshl_add_u32 v1, v1, 23, v0
	v_or3_b32 v17, v2, v1, v6
.LBB4_4812:                             ;   in Loop: Header=BB4_4388 Depth=3
	s_or_b64 exec, exec, s[34:35]
.LBB4_4813:                             ;   in Loop: Header=BB4_4388 Depth=3
	s_or_b64 exec, exec, s[30:31]
.LBB4_4814:                             ;   in Loop: Header=BB4_4388 Depth=3
	s_or_b64 exec, exec, s[28:29]
	v_cmp_lt_u64_e32 vcc, s[56:57], v[18:19]
	s_and_saveexec_b64 s[28:29], vcc
	s_cbranch_execz .LBB4_4820
; %bb.4815:                             ;   in Loop: Header=BB4_4388 Depth=3
	v_lshrrev_b32_e32 v2, 24, v19
	v_cmp_ne_u32_e32 vcc, s70, v2
	v_bfrev_b32_e32 v16, 1
	s_and_saveexec_b64 s[30:31], vcc
	s_cbranch_execz .LBB4_4819
; %bb.4816:                             ;   in Loop: Header=BB4_4388 Depth=3
	v_bfe_u32 v1, v19, 24, 7
	v_cmp_ne_u32_e32 vcc, s71, v1
	v_mov_b32_e32 v16, 0x7f800001
	s_and_saveexec_b64 s[34:35], vcc
	s_cbranch_execz .LBB4_4818
; %bb.4817:                             ;   in Loop: Header=BB4_4388 Depth=3
	v_and_b32_e32 v6, 7, v2
	v_lshrrev_b32_e32 v7, 3, v1
	v_cmp_gt_u32_e32 vcc, 8, v1
	v_ffbh_u32_e32 v1, v6
	v_min_u32_e32 v1, 32, v1
	v_subrev_u32_e32 v16, 28, v1
	v_lshlrev_b64 v[18:19], v16, v[2:3]
	v_sub_u32_e32 v1, 29, v1
	v_and_b32_e32 v16, 7, v18
	v_cndmask_b32_e32 v1, v7, v1, vcc
	v_cndmask_b32_e32 v6, v6, v16, vcc
	v_lshlrev_b32_e32 v2, 24, v2
	v_lshlrev_b32_e32 v6, 20, v6
	v_and_b32_e32 v2, 0x80000000, v2
	v_lshl_add_u32 v1, v1, 23, v0
	v_or3_b32 v16, v2, v1, v6
.LBB4_4818:                             ;   in Loop: Header=BB4_4388 Depth=3
	s_or_b64 exec, exec, s[34:35]
.LBB4_4819:                             ;   in Loop: Header=BB4_4388 Depth=3
	s_or_b64 exec, exec, s[30:31]
.LBB4_4820:                             ;   in Loop: Header=BB4_4388 Depth=3
	s_or_b64 exec, exec, s[28:29]
	v_mul_f32_e32 v16, v17, v16
	v_and_b32_e32 v2, 0x7f800000, v16
	v_cmp_ne_u64_e32 vcc, s[62:63], v[2:3]
                                        ; implicit-def: $vgpr19
	s_and_saveexec_b64 s[28:29], vcc
	s_xor_b64 s[30:31], exec, s[28:29]
	s_cbranch_execz .LBB4_4834
; %bb.4821:                             ;   in Loop: Header=BB4_4388 Depth=3
	v_and_b32_e32 v2, 0x7fffffff, v16
	v_cmp_gt_u64_e32 vcc, s[72:73], v[2:3]
	v_and_b32_sdwa v21, v16, s70 dst_sel:DWORD dst_unused:UNUSED_PAD src0_sel:BYTE_3 src1_sel:DWORD
                                        ; implicit-def: $vgpr19
	s_and_saveexec_b64 s[28:29], vcc
	s_xor_b64 s[34:35], exec, s[28:29]
	s_cbranch_execz .LBB4_4831
; %bb.4822:                             ;   in Loop: Header=BB4_4388 Depth=3
	v_mov_b32_e32 v19, 0
	v_cmp_ne_u32_e32 vcc, 0, v16
	s_and_saveexec_b64 s[36:37], vcc
	s_cbranch_execz .LBB4_4830
; %bb.4823:                             ;   in Loop: Header=BB4_4388 Depth=3
	v_bfe_u32 v19, v16, 23, 8
	v_cmp_gt_u32_e64 s[28:29], s80, v19
	v_sub_u32_e32 v2, 0x79, v19
	v_and_b32_e32 v1, 0x7fffff, v16
	v_cmp_eq_u32_e32 vcc, 0, v19
	v_cndmask_b32_e64 v2, 0, v2, s[28:29]
	v_mov_b32_e32 v7, 0x78
	v_or_b32_e32 v6, 0x800000, v1
	v_cndmask_b32_e32 v22, v2, v7, vcc
	v_cndmask_b32_e32 v2, v6, v1, vcc
	v_add_u32_e32 v1, 20, v22
	v_lshlrev_b64 v[16:17], v1, -1
	v_add_u32_e32 v1, 19, v22
	v_lshlrev_b64 v[50:51], v1, 1
	v_bfi_b32 v17, v17, 0, 0
	v_bfi_b32 v16, v16, 0, v2
	v_cmp_eq_u64_e64 s[28:29], v[16:17], v[50:51]
	v_lshrrev_b64 v[16:17], v22, v[2:3]
	v_mov_b32_e32 v18, v17
	v_mov_b32_e32 v17, v16
	s_and_saveexec_b64 s[38:39], s[28:29]
; %bb.4824:                             ;   in Loop: Header=BB4_4388 Depth=3
	v_bfe_u32 v1, v16, 20, 1
	v_add_co_u32_e64 v1, s[28:29], v16, v1
	v_add_co_u32_e64 v17, s[28:29], -1, v1
; %bb.4825:                             ;   in Loop: Header=BB4_4388 Depth=3
	s_or_b64 exec, exec, s[38:39]
	v_add_u32_e32 v1, 0xffffff81, v19
	v_mov_b32_e32 v2, 0xffffff82
	v_cndmask_b32_e32 v1, v1, v2, vcc
	v_lshrrev_b32_e32 v2, 23, v16
	v_add3_u32 v6, v22, v1, v2
	v_add_u32_e32 v1, 6, v6
	v_and_b32_e32 v2, 0xfffff, v17
	v_add_u32_e32 v2, v2, v16
	v_cmp_ne_u32_e32 vcc, 0, v1
                                        ; implicit-def: $vgpr16_vgpr17
                                        ; implicit-def: $vgpr18
	s_and_saveexec_b64 s[28:29], vcc
	s_xor_b64 s[28:29], exec, s[28:29]
; %bb.4826:                             ;   in Loop: Header=BB4_4388 Depth=3
	v_cmp_lt_u64_e32 vcc, s[88:89], v[2:3]
	v_add_u32_e32 v6, 7, v6
	v_cndmask_b32_e32 v18, v1, v6, vcc
	v_cndmask_b32_e64 v1, 0, 1, vcc
	v_lshrrev_b64 v[16:17], v1, v[2:3]
; %bb.4827:                             ;   in Loop: Header=BB4_4388 Depth=3
	s_andn2_saveexec_b64 s[28:29], s[28:29]
; %bb.4828:                             ;   in Loop: Header=BB4_4388 Depth=3
	v_mov_b32_e32 v17, v3
	v_bfe_u32 v18, v2, 23, 1
	v_mov_b32_e32 v16, v2
; %bb.4829:                             ;   in Loop: Header=BB4_4388 Depth=3
	s_or_b64 exec, exec, s[28:29]
	v_lshrrev_b64 v[1:2], 20, v[16:17]
	v_cmp_gt_i32_e32 vcc, 16, v18
	v_cndmask_b32_e32 v2, 0, v2, vcc
	v_cndmask_b32_e32 v1, 7, v1, vcc
	v_cmp_eq_u64_e64 s[28:29], 0, v[1:2]
	v_min_i32_e32 v2, 15, v18
	v_lshlrev_b32_e32 v2, 3, v2
	v_cmp_eq_u32_e32 vcc, 0, v18
	v_and_b32_e32 v2, 0xf8, v2
	v_and_or_b32 v1, v1, 7, v2
	s_and_b64 s[28:29], vcc, s[28:29]
	v_cndmask_b32_e64 v1, v1, 0, s[28:29]
	v_or_b32_e32 v19, v1, v21
.LBB4_4830:                             ;   in Loop: Header=BB4_4388 Depth=3
	s_or_b64 exec, exec, s[36:37]
                                        ; implicit-def: $vgpr21
.LBB4_4831:                             ;   in Loop: Header=BB4_4388 Depth=3
	s_andn2_saveexec_b64 s[28:29], s[34:35]
; %bb.4832:                             ;   in Loop: Header=BB4_4388 Depth=3
	v_or_b32_e32 v19, 0x7e, v21
; %bb.4833:                             ;   in Loop: Header=BB4_4388 Depth=3
	s_or_b64 exec, exec, s[28:29]
                                        ; implicit-def: $vgpr16
.LBB4_4834:                             ;   in Loop: Header=BB4_4388 Depth=3
	s_andn2_saveexec_b64 s[28:29], s[30:31]
; %bb.4835:                             ;   in Loop: Header=BB4_4388 Depth=3
	v_or_b32_sdwa v19, v16, s71 dst_sel:DWORD dst_unused:UNUSED_PAD src0_sel:BYTE_3 src1_sel:DWORD
; %bb.4836:                             ;   in Loop: Header=BB4_4388 Depth=3
	s_or_b64 exec, exec, s[28:29]
	v_cmp_ne_u16_sdwa s[44:45], v12, v3 src0_sel:BYTE_0 src1_sel:DWORD
	v_mov_b32_e32 v2, 0
	v_mov_b32_e32 v16, 0
	s_and_saveexec_b64 s[28:29], s[44:45]
	s_cbranch_execz .LBB4_4842
; %bb.4837:                             ;   in Loop: Header=BB4_4388 Depth=3
	v_cmp_ne_u16_sdwa s[44:45], v12, s70 src0_sel:BYTE_0 src1_sel:DWORD
	v_bfrev_b32_e32 v16, 1
	s_and_saveexec_b64 s[30:31], s[44:45]
	s_cbranch_execz .LBB4_4841
; %bb.4838:                             ;   in Loop: Header=BB4_4388 Depth=3
	v_and_b32_e32 v1, 0x7f, v12
	v_cmp_ne_u32_e32 vcc, s71, v1
	v_mov_b32_e32 v16, 0x7f800001
	s_and_saveexec_b64 s[34:35], vcc
	s_cbranch_execz .LBB4_4840
; %bb.4839:                             ;   in Loop: Header=BB4_4388 Depth=3
	v_and_b32_e32 v6, 7, v12
	v_lshrrev_b32_e32 v7, 3, v1
	v_cmp_gt_u32_e32 vcc, 8, v1
	v_ffbh_u32_e32 v1, v6
	v_min_u32_e32 v1, 32, v1
	v_subrev_u32_e32 v6, 28, v1
	v_cndmask_b32_e32 v6, 0, v6, vcc
	v_lshlrev_b64 v[16:17], v6, v[12:13]
	v_sub_u32_e32 v1, 29, v1
	v_cndmask_b32_e32 v1, v7, v1, vcc
	v_lshlrev_b32_e32 v6, 20, v16
	v_lshlrev_b32_e32 v7, 24, v12
	v_and_b32_e32 v6, 0x700000, v6
	v_and_b32_e32 v7, 0x80000000, v7
	v_lshl_add_u32 v1, v1, 23, v0
	v_or3_b32 v16, v7, v1, v6
.LBB4_4840:                             ;   in Loop: Header=BB4_4388 Depth=3
	s_or_b64 exec, exec, s[34:35]
.LBB4_4841:                             ;   in Loop: Header=BB4_4388 Depth=3
	s_or_b64 exec, exec, s[30:31]
.LBB4_4842:                             ;   in Loop: Header=BB4_4388 Depth=3
	s_or_b64 exec, exec, s[28:29]
	s_waitcnt vmcnt(0)
	v_cmp_ne_u16_sdwa s[44:45], v8, v3 src0_sel:BYTE_0 src1_sel:DWORD
	s_and_saveexec_b64 s[28:29], s[44:45]
	s_cbranch_execz .LBB4_4848
; %bb.4843:                             ;   in Loop: Header=BB4_4388 Depth=3
	v_cmp_ne_u16_sdwa s[44:45], v8, s70 src0_sel:BYTE_0 src1_sel:DWORD
	v_bfrev_b32_e32 v2, 1
	s_and_saveexec_b64 s[30:31], s[44:45]
	s_cbranch_execz .LBB4_4847
; %bb.4844:                             ;   in Loop: Header=BB4_4388 Depth=3
	v_and_b32_e32 v1, 0x7f, v8
	v_cmp_ne_u32_e32 vcc, s71, v1
	v_mov_b32_e32 v2, 0x7f800001
	s_and_saveexec_b64 s[34:35], vcc
	s_cbranch_execz .LBB4_4846
; %bb.4845:                             ;   in Loop: Header=BB4_4388 Depth=3
	v_and_b32_e32 v2, 7, v8
	v_lshrrev_b32_e32 v6, 3, v1
	v_cmp_gt_u32_e32 vcc, 8, v1
	v_ffbh_u32_e32 v1, v2
	v_min_u32_e32 v1, 32, v1
	v_subrev_u32_e32 v2, 28, v1
	v_sub_u32_e32 v1, 29, v1
	v_cndmask_b32_e32 v6, v6, v1, vcc
	v_cndmask_b32_e32 v1, 0, v2, vcc
	v_lshlrev_b64 v[1:2], v1, v[8:9]
	v_lshlrev_b32_e32 v2, 24, v8
	v_lshlrev_b32_e32 v1, 20, v1
	v_and_b32_e32 v1, 0x700000, v1
	v_and_b32_e32 v2, 0x80000000, v2
	v_lshl_add_u32 v6, v6, 23, v0
	v_or3_b32 v2, v2, v6, v1
.LBB4_4846:                             ;   in Loop: Header=BB4_4388 Depth=3
	s_or_b64 exec, exec, s[34:35]
.LBB4_4847:                             ;   in Loop: Header=BB4_4388 Depth=3
	s_or_b64 exec, exec, s[30:31]
.LBB4_4848:                             ;   in Loop: Header=BB4_4388 Depth=3
	s_or_b64 exec, exec, s[28:29]
	v_mul_f32_e32 v16, v16, v2
	v_and_b32_e32 v2, 0x7f800000, v16
	v_cmp_ne_u64_e32 vcc, s[62:63], v[2:3]
                                        ; implicit-def: $vgpr21
	s_and_saveexec_b64 s[28:29], vcc
	s_xor_b64 s[30:31], exec, s[28:29]
	s_cbranch_execz .LBB4_4862
; %bb.4849:                             ;   in Loop: Header=BB4_4388 Depth=3
	v_and_b32_e32 v2, 0x7fffffff, v16
	v_cmp_gt_u64_e32 vcc, s[72:73], v[2:3]
	v_and_b32_sdwa v22, v16, s70 dst_sel:DWORD dst_unused:UNUSED_PAD src0_sel:BYTE_3 src1_sel:DWORD
                                        ; implicit-def: $vgpr21
	s_and_saveexec_b64 s[28:29], vcc
	s_xor_b64 s[34:35], exec, s[28:29]
	s_cbranch_execz .LBB4_4859
; %bb.4850:                             ;   in Loop: Header=BB4_4388 Depth=3
	v_mov_b32_e32 v21, 0
	v_cmp_ne_u32_e32 vcc, 0, v16
	s_and_saveexec_b64 s[36:37], vcc
	s_cbranch_execz .LBB4_4858
; %bb.4851:                             ;   in Loop: Header=BB4_4388 Depth=3
	v_bfe_u32 v21, v16, 23, 8
	v_cmp_gt_u32_e64 s[28:29], s80, v21
	v_sub_u32_e32 v2, 0x79, v21
	v_and_b32_e32 v1, 0x7fffff, v16
	v_cmp_eq_u32_e32 vcc, 0, v21
	v_cndmask_b32_e64 v2, 0, v2, s[28:29]
	v_mov_b32_e32 v7, 0x78
	v_or_b32_e32 v6, 0x800000, v1
	v_cndmask_b32_e32 v23, v2, v7, vcc
	v_cndmask_b32_e32 v2, v6, v1, vcc
	v_add_u32_e32 v1, 20, v23
	v_lshlrev_b64 v[16:17], v1, -1
	v_add_u32_e32 v1, 19, v23
	v_lshlrev_b64 v[50:51], v1, 1
	v_bfi_b32 v17, v17, 0, 0
	v_bfi_b32 v16, v16, 0, v2
	v_cmp_eq_u64_e64 s[28:29], v[16:17], v[50:51]
	v_lshrrev_b64 v[16:17], v23, v[2:3]
	v_mov_b32_e32 v18, v17
	v_mov_b32_e32 v17, v16
	s_and_saveexec_b64 s[38:39], s[28:29]
; %bb.4852:                             ;   in Loop: Header=BB4_4388 Depth=3
	v_bfe_u32 v1, v16, 20, 1
	v_add_co_u32_e64 v1, s[28:29], v16, v1
	v_add_co_u32_e64 v17, s[28:29], -1, v1
; %bb.4853:                             ;   in Loop: Header=BB4_4388 Depth=3
	s_or_b64 exec, exec, s[38:39]
	v_add_u32_e32 v1, 0xffffff81, v21
	v_mov_b32_e32 v2, 0xffffff82
	v_cndmask_b32_e32 v1, v1, v2, vcc
	v_lshrrev_b32_e32 v2, 23, v16
	v_add3_u32 v18, v23, v1, v2
	v_add_u32_e32 v6, 6, v18
	v_and_b32_e32 v1, 0xfffff, v17
	v_add_u32_e32 v2, v1, v16
	v_cmp_ne_u32_e32 vcc, 0, v6
                                        ; implicit-def: $vgpr16_vgpr17
                                        ; implicit-def: $vgpr1
	s_and_saveexec_b64 s[28:29], vcc
	s_xor_b64 s[28:29], exec, s[28:29]
; %bb.4854:                             ;   in Loop: Header=BB4_4388 Depth=3
	v_cmp_lt_u64_e32 vcc, s[88:89], v[2:3]
	v_add_u32_e32 v1, 7, v18
	v_cndmask_b32_e32 v1, v6, v1, vcc
	v_cndmask_b32_e64 v6, 0, 1, vcc
	v_lshrrev_b64 v[16:17], v6, v[2:3]
; %bb.4855:                             ;   in Loop: Header=BB4_4388 Depth=3
	s_andn2_saveexec_b64 s[28:29], s[28:29]
; %bb.4856:                             ;   in Loop: Header=BB4_4388 Depth=3
	v_mov_b32_e32 v17, v3
	v_bfe_u32 v1, v2, 23, 1
	v_mov_b32_e32 v16, v2
; %bb.4857:                             ;   in Loop: Header=BB4_4388 Depth=3
	s_or_b64 exec, exec, s[28:29]
	v_lshrrev_b64 v[16:17], 20, v[16:17]
	v_cmp_gt_i32_e32 vcc, 16, v1
	v_cndmask_b32_e32 v17, 0, v17, vcc
	v_cndmask_b32_e32 v16, 7, v16, vcc
	v_cmp_eq_u32_e32 vcc, 0, v1
	v_min_i32_e32 v1, 15, v1
	v_cmp_eq_u64_e64 s[28:29], 0, v[16:17]
	v_lshlrev_b32_e32 v1, 3, v1
	v_and_b32_e32 v1, 0xf8, v1
	v_and_or_b32 v1, v16, 7, v1
	s_and_b64 s[28:29], vcc, s[28:29]
	v_cndmask_b32_e64 v1, v1, 0, s[28:29]
	v_or_b32_e32 v21, v1, v22
.LBB4_4858:                             ;   in Loop: Header=BB4_4388 Depth=3
	s_or_b64 exec, exec, s[36:37]
                                        ; implicit-def: $vgpr22
.LBB4_4859:                             ;   in Loop: Header=BB4_4388 Depth=3
	s_andn2_saveexec_b64 s[28:29], s[34:35]
; %bb.4860:                             ;   in Loop: Header=BB4_4388 Depth=3
	v_or_b32_e32 v21, 0x7e, v22
; %bb.4861:                             ;   in Loop: Header=BB4_4388 Depth=3
	s_or_b64 exec, exec, s[28:29]
                                        ; implicit-def: $vgpr16
.LBB4_4862:                             ;   in Loop: Header=BB4_4388 Depth=3
	s_andn2_saveexec_b64 s[28:29], s[30:31]
; %bb.4863:                             ;   in Loop: Header=BB4_4388 Depth=3
	v_or_b32_sdwa v21, v16, s71 dst_sel:DWORD dst_unused:UNUSED_PAD src0_sel:BYTE_3 src1_sel:DWORD
; %bb.4864:                             ;   in Loop: Header=BB4_4388 Depth=3
	s_or_b64 exec, exec, s[28:29]
	v_lshrrev_b16_e32 v2, 8, v12
	v_cmp_ne_u16_e32 vcc, 0, v2
	v_mov_b32_e32 v16, 0
	v_mov_b32_e32 v17, 0
	s_and_saveexec_b64 s[28:29], vcc
	s_cbranch_execz .LBB4_4870
; %bb.4865:                             ;   in Loop: Header=BB4_4388 Depth=3
	v_cmp_ne_u16_e32 vcc, s70, v2
	v_bfrev_b32_e32 v17, 1
	s_and_saveexec_b64 s[30:31], vcc
	s_cbranch_execz .LBB4_4869
; %bb.4866:                             ;   in Loop: Header=BB4_4388 Depth=3
	v_and_b32_e32 v1, 0x7f, v2
	v_cmp_ne_u32_e32 vcc, s71, v1
	v_mov_b32_e32 v17, 0x7f800001
	s_and_saveexec_b64 s[34:35], vcc
	s_cbranch_execz .LBB4_4868
; %bb.4867:                             ;   in Loop: Header=BB4_4388 Depth=3
	v_and_b32_e32 v6, 7, v2
	v_lshrrev_b32_e32 v7, 3, v1
	v_cmp_gt_u32_e32 vcc, 8, v1
	v_ffbh_u32_e32 v1, v6
	v_min_u32_e32 v17, 32, v1
	v_subrev_u32_e32 v1, 28, v17
	v_lshlrev_b64 v[1:2], v1, v[2:3]
	v_sub_u32_e32 v2, 29, v17
	v_and_b32_e32 v1, 7, v1
	v_cndmask_b32_e32 v2, v7, v2, vcc
	v_cndmask_b32_e32 v1, v6, v1, vcc
	v_lshlrev_b32_e32 v6, 16, v12
	v_lshlrev_b32_e32 v1, 20, v1
	v_and_b32_e32 v6, 0x80000000, v6
	v_lshl_add_u32 v2, v2, 23, v0
	v_or3_b32 v17, v6, v2, v1
.LBB4_4868:                             ;   in Loop: Header=BB4_4388 Depth=3
	s_or_b64 exec, exec, s[34:35]
.LBB4_4869:                             ;   in Loop: Header=BB4_4388 Depth=3
	s_or_b64 exec, exec, s[30:31]
.LBB4_4870:                             ;   in Loop: Header=BB4_4388 Depth=3
	s_or_b64 exec, exec, s[28:29]
	v_lshrrev_b16_e32 v2, 8, v8
	v_cmp_ne_u16_e32 vcc, 0, v2
	s_and_saveexec_b64 s[28:29], vcc
	s_cbranch_execz .LBB4_4876
; %bb.4871:                             ;   in Loop: Header=BB4_4388 Depth=3
	v_cmp_ne_u16_e32 vcc, s70, v2
	v_bfrev_b32_e32 v16, 1
	s_and_saveexec_b64 s[30:31], vcc
	s_cbranch_execz .LBB4_4875
; %bb.4872:                             ;   in Loop: Header=BB4_4388 Depth=3
	v_and_b32_e32 v1, 0x7f, v2
	v_cmp_ne_u32_e32 vcc, s71, v1
	v_mov_b32_e32 v16, 0x7f800001
	s_and_saveexec_b64 s[34:35], vcc
	s_cbranch_execz .LBB4_4874
; %bb.4873:                             ;   in Loop: Header=BB4_4388 Depth=3
	v_and_b32_e32 v6, 7, v2
	v_lshrrev_b32_e32 v7, 3, v1
	v_cmp_gt_u32_e32 vcc, 8, v1
	v_ffbh_u32_e32 v1, v6
	v_min_u32_e32 v16, 32, v1
	v_subrev_u32_e32 v1, 28, v16
	v_lshlrev_b64 v[1:2], v1, v[2:3]
	v_sub_u32_e32 v2, 29, v16
	v_and_b32_e32 v1, 7, v1
	v_cndmask_b32_e32 v2, v7, v2, vcc
	v_cndmask_b32_e32 v1, v6, v1, vcc
	v_lshlrev_b32_e32 v6, 16, v8
	v_lshlrev_b32_e32 v1, 20, v1
	v_and_b32_e32 v6, 0x80000000, v6
	v_lshl_add_u32 v2, v2, 23, v0
	v_or3_b32 v16, v6, v2, v1
.LBB4_4874:                             ;   in Loop: Header=BB4_4388 Depth=3
	s_or_b64 exec, exec, s[34:35]
.LBB4_4875:                             ;   in Loop: Header=BB4_4388 Depth=3
	s_or_b64 exec, exec, s[30:31]
.LBB4_4876:                             ;   in Loop: Header=BB4_4388 Depth=3
	s_or_b64 exec, exec, s[28:29]
	v_mul_f32_e32 v16, v17, v16
	v_and_b32_e32 v2, 0x7f800000, v16
	v_cmp_ne_u64_e32 vcc, s[62:63], v[2:3]
                                        ; implicit-def: $vgpr22
	s_and_saveexec_b64 s[28:29], vcc
	s_xor_b64 s[30:31], exec, s[28:29]
	s_cbranch_execz .LBB4_4890
; %bb.4877:                             ;   in Loop: Header=BB4_4388 Depth=3
	v_and_b32_e32 v2, 0x7fffffff, v16
	v_cmp_gt_u64_e32 vcc, s[72:73], v[2:3]
	v_and_b32_sdwa v23, v16, s70 dst_sel:DWORD dst_unused:UNUSED_PAD src0_sel:BYTE_3 src1_sel:DWORD
                                        ; implicit-def: $vgpr22
	s_and_saveexec_b64 s[28:29], vcc
	s_xor_b64 s[34:35], exec, s[28:29]
	s_cbranch_execz .LBB4_4887
; %bb.4878:                             ;   in Loop: Header=BB4_4388 Depth=3
	v_mov_b32_e32 v22, 0
	v_cmp_ne_u32_e32 vcc, 0, v16
	s_and_saveexec_b64 s[36:37], vcc
	s_cbranch_execz .LBB4_4886
; %bb.4879:                             ;   in Loop: Header=BB4_4388 Depth=3
	v_bfe_u32 v22, v16, 23, 8
	v_cmp_gt_u32_e64 s[28:29], s80, v22
	v_sub_u32_e32 v2, 0x79, v22
	v_and_b32_e32 v1, 0x7fffff, v16
	v_cmp_eq_u32_e32 vcc, 0, v22
	v_cndmask_b32_e64 v2, 0, v2, s[28:29]
	v_mov_b32_e32 v7, 0x78
	v_or_b32_e32 v6, 0x800000, v1
	v_cndmask_b32_e32 v36, v2, v7, vcc
	v_cndmask_b32_e32 v2, v6, v1, vcc
	v_add_u32_e32 v1, 20, v36
	v_lshlrev_b64 v[16:17], v1, -1
	v_add_u32_e32 v1, 19, v36
	v_lshlrev_b64 v[50:51], v1, 1
	v_bfi_b32 v17, v17, 0, 0
	v_bfi_b32 v16, v16, 0, v2
	v_cmp_eq_u64_e64 s[28:29], v[16:17], v[50:51]
	v_lshrrev_b64 v[16:17], v36, v[2:3]
	v_mov_b32_e32 v18, v17
	v_mov_b32_e32 v17, v16
	s_and_saveexec_b64 s[38:39], s[28:29]
; %bb.4880:                             ;   in Loop: Header=BB4_4388 Depth=3
	v_bfe_u32 v1, v16, 20, 1
	v_add_co_u32_e64 v1, s[28:29], v16, v1
	v_add_co_u32_e64 v17, s[28:29], -1, v1
; %bb.4881:                             ;   in Loop: Header=BB4_4388 Depth=3
	s_or_b64 exec, exec, s[38:39]
	v_add_u32_e32 v1, 0xffffff81, v22
	v_mov_b32_e32 v2, 0xffffff82
	v_cndmask_b32_e32 v1, v1, v2, vcc
	v_lshrrev_b32_e32 v2, 23, v16
	v_add3_u32 v18, v36, v1, v2
	v_add_u32_e32 v6, 6, v18
	v_and_b32_e32 v1, 0xfffff, v17
	v_add_u32_e32 v2, v1, v16
	v_cmp_ne_u32_e32 vcc, 0, v6
                                        ; implicit-def: $vgpr16_vgpr17
                                        ; implicit-def: $vgpr1
	s_and_saveexec_b64 s[28:29], vcc
	s_xor_b64 s[28:29], exec, s[28:29]
; %bb.4882:                             ;   in Loop: Header=BB4_4388 Depth=3
	v_cmp_lt_u64_e32 vcc, s[88:89], v[2:3]
	v_add_u32_e32 v1, 7, v18
	v_cndmask_b32_e32 v1, v6, v1, vcc
	v_cndmask_b32_e64 v6, 0, 1, vcc
	v_lshrrev_b64 v[16:17], v6, v[2:3]
; %bb.4883:                             ;   in Loop: Header=BB4_4388 Depth=3
	s_andn2_saveexec_b64 s[28:29], s[28:29]
; %bb.4884:                             ;   in Loop: Header=BB4_4388 Depth=3
	v_mov_b32_e32 v17, v3
	v_bfe_u32 v1, v2, 23, 1
	v_mov_b32_e32 v16, v2
; %bb.4885:                             ;   in Loop: Header=BB4_4388 Depth=3
	s_or_b64 exec, exec, s[28:29]
	v_lshrrev_b64 v[16:17], 20, v[16:17]
	v_cmp_gt_i32_e32 vcc, 16, v1
	v_cndmask_b32_e32 v17, 0, v17, vcc
	v_cndmask_b32_e32 v16, 7, v16, vcc
	v_cmp_eq_u32_e32 vcc, 0, v1
	v_min_i32_e32 v1, 15, v1
	v_cmp_eq_u64_e64 s[28:29], 0, v[16:17]
	v_lshlrev_b32_e32 v1, 3, v1
	v_and_b32_e32 v1, 0xf8, v1
	v_and_or_b32 v1, v16, 7, v1
	s_and_b64 s[28:29], vcc, s[28:29]
	v_cndmask_b32_e64 v1, v1, 0, s[28:29]
	v_or_b32_e32 v22, v1, v23
.LBB4_4886:                             ;   in Loop: Header=BB4_4388 Depth=3
	s_or_b64 exec, exec, s[36:37]
                                        ; implicit-def: $vgpr23
.LBB4_4887:                             ;   in Loop: Header=BB4_4388 Depth=3
	s_andn2_saveexec_b64 s[28:29], s[34:35]
; %bb.4888:                             ;   in Loop: Header=BB4_4388 Depth=3
	v_or_b32_e32 v22, 0x7e, v23
; %bb.4889:                             ;   in Loop: Header=BB4_4388 Depth=3
	s_or_b64 exec, exec, s[28:29]
                                        ; implicit-def: $vgpr16
.LBB4_4890:                             ;   in Loop: Header=BB4_4388 Depth=3
	s_andn2_saveexec_b64 s[28:29], s[30:31]
; %bb.4891:                             ;   in Loop: Header=BB4_4388 Depth=3
	v_or_b32_sdwa v22, v16, s71 dst_sel:DWORD dst_unused:UNUSED_PAD src0_sel:BYTE_3 src1_sel:DWORD
; %bb.4892:                             ;   in Loop: Header=BB4_4388 Depth=3
	s_or_b64 exec, exec, s[28:29]
	v_lshrrev_b32_e32 v2, 16, v12
	v_cmp_ne_u16_sdwa s[44:45], v2, v3 src0_sel:BYTE_0 src1_sel:DWORD
	v_mov_b32_e32 v16, 0
	v_mov_b32_e32 v17, 0
	s_and_saveexec_b64 s[28:29], s[44:45]
	s_cbranch_execz .LBB4_4898
; %bb.4893:                             ;   in Loop: Header=BB4_4388 Depth=3
	v_cmp_ne_u16_sdwa s[44:45], v2, s70 src0_sel:BYTE_0 src1_sel:DWORD
	v_bfrev_b32_e32 v17, 1
	s_and_saveexec_b64 s[30:31], s[44:45]
	s_cbranch_execz .LBB4_4897
; %bb.4894:                             ;   in Loop: Header=BB4_4388 Depth=3
	v_bfe_u32 v1, v12, 16, 7
	v_cmp_ne_u32_e32 vcc, s71, v1
	v_mov_b32_e32 v17, 0x7f800001
	s_and_saveexec_b64 s[34:35], vcc
	s_cbranch_execz .LBB4_4896
; %bb.4895:                             ;   in Loop: Header=BB4_4388 Depth=3
	v_and_b32_e32 v6, 7, v2
	v_lshrrev_b32_e32 v7, 3, v1
	v_cmp_gt_u32_e32 vcc, 8, v1
	v_ffbh_u32_e32 v1, v6
	v_min_u32_e32 v1, 32, v1
	v_subrev_u32_e32 v17, 28, v1
	v_lshlrev_b64 v[17:18], v17, v[2:3]
	v_sub_u32_e32 v1, 29, v1
	v_and_b32_e32 v17, 7, v17
	v_cndmask_b32_e32 v1, v7, v1, vcc
	v_cndmask_b32_e32 v6, v6, v17, vcc
	v_lshlrev_b32_e32 v2, 24, v2
	v_lshlrev_b32_e32 v6, 20, v6
	v_and_b32_e32 v2, 0x80000000, v2
	v_lshl_add_u32 v1, v1, 23, v0
	v_or3_b32 v17, v2, v1, v6
.LBB4_4896:                             ;   in Loop: Header=BB4_4388 Depth=3
	s_or_b64 exec, exec, s[34:35]
.LBB4_4897:                             ;   in Loop: Header=BB4_4388 Depth=3
	s_or_b64 exec, exec, s[30:31]
.LBB4_4898:                             ;   in Loop: Header=BB4_4388 Depth=3
	s_or_b64 exec, exec, s[28:29]
	v_lshrrev_b32_e32 v2, 16, v8
	v_cmp_ne_u16_sdwa s[44:45], v2, v3 src0_sel:BYTE_0 src1_sel:DWORD
	s_and_saveexec_b64 s[28:29], s[44:45]
	s_cbranch_execz .LBB4_4904
; %bb.4899:                             ;   in Loop: Header=BB4_4388 Depth=3
	v_cmp_ne_u16_sdwa s[44:45], v2, s70 src0_sel:BYTE_0 src1_sel:DWORD
	v_bfrev_b32_e32 v16, 1
	s_and_saveexec_b64 s[30:31], s[44:45]
	s_cbranch_execz .LBB4_4903
; %bb.4900:                             ;   in Loop: Header=BB4_4388 Depth=3
	v_bfe_u32 v1, v8, 16, 7
	v_cmp_ne_u32_e32 vcc, s71, v1
	v_mov_b32_e32 v16, 0x7f800001
	s_and_saveexec_b64 s[34:35], vcc
	s_cbranch_execz .LBB4_4902
; %bb.4901:                             ;   in Loop: Header=BB4_4388 Depth=3
	v_and_b32_e32 v6, 7, v2
	v_lshrrev_b32_e32 v7, 3, v1
	v_cmp_gt_u32_e32 vcc, 8, v1
	v_ffbh_u32_e32 v1, v6
	v_min_u32_e32 v16, 32, v1
	v_subrev_u32_e32 v1, 28, v16
	v_lshlrev_b64 v[1:2], v1, v[2:3]
	v_sub_u32_e32 v2, 29, v16
	v_and_b32_e32 v1, 7, v1
	v_cndmask_b32_e32 v2, v7, v2, vcc
	v_cndmask_b32_e32 v1, v6, v1, vcc
	v_lshlrev_b32_e32 v6, 8, v8
	v_lshlrev_b32_e32 v1, 20, v1
	v_and_b32_e32 v6, 0x80000000, v6
	v_lshl_add_u32 v2, v2, 23, v0
	v_or3_b32 v16, v6, v2, v1
.LBB4_4902:                             ;   in Loop: Header=BB4_4388 Depth=3
	s_or_b64 exec, exec, s[34:35]
.LBB4_4903:                             ;   in Loop: Header=BB4_4388 Depth=3
	s_or_b64 exec, exec, s[30:31]
.LBB4_4904:                             ;   in Loop: Header=BB4_4388 Depth=3
	s_or_b64 exec, exec, s[28:29]
	v_mul_f32_e32 v16, v17, v16
	v_and_b32_e32 v2, 0x7f800000, v16
	v_cmp_ne_u64_e32 vcc, s[62:63], v[2:3]
                                        ; implicit-def: $vgpr23
	s_and_saveexec_b64 s[28:29], vcc
	s_xor_b64 s[30:31], exec, s[28:29]
	s_cbranch_execz .LBB4_4918
; %bb.4905:                             ;   in Loop: Header=BB4_4388 Depth=3
	v_and_b32_e32 v2, 0x7fffffff, v16
	v_cmp_gt_u64_e32 vcc, s[72:73], v[2:3]
	v_and_b32_sdwa v36, v16, s70 dst_sel:DWORD dst_unused:UNUSED_PAD src0_sel:BYTE_3 src1_sel:DWORD
                                        ; implicit-def: $vgpr23
	s_and_saveexec_b64 s[28:29], vcc
	s_xor_b64 s[34:35], exec, s[28:29]
	s_cbranch_execz .LBB4_4915
; %bb.4906:                             ;   in Loop: Header=BB4_4388 Depth=3
	v_mov_b32_e32 v23, 0
	v_cmp_ne_u32_e32 vcc, 0, v16
	s_and_saveexec_b64 s[36:37], vcc
	s_cbranch_execz .LBB4_4914
; %bb.4907:                             ;   in Loop: Header=BB4_4388 Depth=3
	v_bfe_u32 v23, v16, 23, 8
	v_cmp_gt_u32_e64 s[28:29], s80, v23
	v_sub_u32_e32 v2, 0x79, v23
	v_and_b32_e32 v1, 0x7fffff, v16
	v_cmp_eq_u32_e32 vcc, 0, v23
	v_cndmask_b32_e64 v2, 0, v2, s[28:29]
	v_mov_b32_e32 v7, 0x78
	v_or_b32_e32 v6, 0x800000, v1
	v_cndmask_b32_e32 v50, v2, v7, vcc
	v_cndmask_b32_e32 v2, v6, v1, vcc
	v_add_u32_e32 v1, 20, v50
	v_lshlrev_b64 v[16:17], v1, -1
	v_add_u32_e32 v1, 19, v50
	v_lshlrev_b64 v[43:44], v1, 1
	v_bfi_b32 v17, v17, 0, 0
	v_bfi_b32 v16, v16, 0, v2
	v_cmp_eq_u64_e64 s[28:29], v[16:17], v[43:44]
	v_lshrrev_b64 v[16:17], v50, v[2:3]
	v_mov_b32_e32 v18, v17
	v_mov_b32_e32 v17, v16
	s_and_saveexec_b64 s[38:39], s[28:29]
; %bb.4908:                             ;   in Loop: Header=BB4_4388 Depth=3
	v_bfe_u32 v1, v16, 20, 1
	v_add_co_u32_e64 v1, s[28:29], v16, v1
	v_add_co_u32_e64 v17, s[28:29], -1, v1
; %bb.4909:                             ;   in Loop: Header=BB4_4388 Depth=3
	s_or_b64 exec, exec, s[38:39]
	v_add_u32_e32 v1, 0xffffff81, v23
	v_mov_b32_e32 v2, 0xffffff82
	v_cndmask_b32_e32 v1, v1, v2, vcc
	v_lshrrev_b32_e32 v2, 23, v16
	v_add3_u32 v18, v50, v1, v2
	v_add_u32_e32 v6, 6, v18
	v_and_b32_e32 v1, 0xfffff, v17
	v_add_u32_e32 v2, v1, v16
	v_cmp_ne_u32_e32 vcc, 0, v6
                                        ; implicit-def: $vgpr16_vgpr17
                                        ; implicit-def: $vgpr1
	s_and_saveexec_b64 s[28:29], vcc
	s_xor_b64 s[28:29], exec, s[28:29]
; %bb.4910:                             ;   in Loop: Header=BB4_4388 Depth=3
	v_cmp_lt_u64_e32 vcc, s[88:89], v[2:3]
	v_add_u32_e32 v1, 7, v18
	v_cndmask_b32_e32 v1, v6, v1, vcc
	v_cndmask_b32_e64 v6, 0, 1, vcc
	v_lshrrev_b64 v[16:17], v6, v[2:3]
; %bb.4911:                             ;   in Loop: Header=BB4_4388 Depth=3
	s_andn2_saveexec_b64 s[28:29], s[28:29]
; %bb.4912:                             ;   in Loop: Header=BB4_4388 Depth=3
	v_mov_b32_e32 v17, v3
	v_bfe_u32 v1, v2, 23, 1
	v_mov_b32_e32 v16, v2
; %bb.4913:                             ;   in Loop: Header=BB4_4388 Depth=3
	s_or_b64 exec, exec, s[28:29]
	v_lshrrev_b64 v[16:17], 20, v[16:17]
	v_cmp_gt_i32_e32 vcc, 16, v1
	v_cndmask_b32_e32 v17, 0, v17, vcc
	v_cndmask_b32_e32 v16, 7, v16, vcc
	v_cmp_eq_u32_e32 vcc, 0, v1
	v_min_i32_e32 v1, 15, v1
	v_cmp_eq_u64_e64 s[28:29], 0, v[16:17]
	v_lshlrev_b32_e32 v1, 3, v1
	v_and_b32_e32 v1, 0xf8, v1
	v_and_or_b32 v1, v16, 7, v1
	s_and_b64 s[28:29], vcc, s[28:29]
	v_cndmask_b32_e64 v1, v1, 0, s[28:29]
	v_or_b32_e32 v23, v1, v36
.LBB4_4914:                             ;   in Loop: Header=BB4_4388 Depth=3
	s_or_b64 exec, exec, s[36:37]
                                        ; implicit-def: $vgpr36
.LBB4_4915:                             ;   in Loop: Header=BB4_4388 Depth=3
	s_andn2_saveexec_b64 s[28:29], s[34:35]
; %bb.4916:                             ;   in Loop: Header=BB4_4388 Depth=3
	v_or_b32_e32 v23, 0x7e, v36
; %bb.4917:                             ;   in Loop: Header=BB4_4388 Depth=3
	s_or_b64 exec, exec, s[28:29]
                                        ; implicit-def: $vgpr16
.LBB4_4918:                             ;   in Loop: Header=BB4_4388 Depth=3
	s_andn2_saveexec_b64 s[28:29], s[30:31]
; %bb.4919:                             ;   in Loop: Header=BB4_4388 Depth=3
	v_or_b32_sdwa v23, v16, s71 dst_sel:DWORD dst_unused:UNUSED_PAD src0_sel:BYTE_3 src1_sel:DWORD
; %bb.4920:                             ;   in Loop: Header=BB4_4388 Depth=3
	s_or_b64 exec, exec, s[28:29]
	v_cmp_lt_u32_e32 vcc, s57, v12
	v_mov_b32_e32 v16, 0
	v_mov_b32_e32 v17, 0
	s_and_saveexec_b64 s[28:29], vcc
	s_cbranch_execz .LBB4_4926
; %bb.4921:                             ;   in Loop: Header=BB4_4388 Depth=3
	v_lshrrev_b32_e32 v2, 24, v12
	v_cmp_ne_u32_e32 vcc, s70, v2
	v_bfrev_b32_e32 v17, 1
	s_and_saveexec_b64 s[30:31], vcc
	s_cbranch_execz .LBB4_4925
; %bb.4922:                             ;   in Loop: Header=BB4_4388 Depth=3
	v_bfe_u32 v1, v12, 24, 7
	v_cmp_ne_u32_e32 vcc, s71, v1
	v_mov_b32_e32 v17, 0x7f800001
	s_and_saveexec_b64 s[34:35], vcc
	s_cbranch_execz .LBB4_4924
; %bb.4923:                             ;   in Loop: Header=BB4_4388 Depth=3
	v_and_b32_e32 v6, 7, v2
	v_lshrrev_b32_e32 v7, 3, v1
	v_cmp_gt_u32_e32 vcc, 8, v1
	v_ffbh_u32_e32 v1, v6
	v_min_u32_e32 v1, 32, v1
	v_subrev_u32_e32 v17, 28, v1
	v_lshlrev_b64 v[17:18], v17, v[2:3]
	v_sub_u32_e32 v1, 29, v1
	v_and_b32_e32 v17, 7, v17
	v_cndmask_b32_e32 v1, v7, v1, vcc
	v_cndmask_b32_e32 v6, v6, v17, vcc
	v_lshlrev_b32_e32 v2, 24, v2
	v_lshlrev_b32_e32 v6, 20, v6
	v_and_b32_e32 v2, 0x80000000, v2
	v_lshl_add_u32 v1, v1, 23, v0
	v_or3_b32 v17, v2, v1, v6
.LBB4_4924:                             ;   in Loop: Header=BB4_4388 Depth=3
	s_or_b64 exec, exec, s[34:35]
.LBB4_4925:                             ;   in Loop: Header=BB4_4388 Depth=3
	s_or_b64 exec, exec, s[30:31]
.LBB4_4926:                             ;   in Loop: Header=BB4_4388 Depth=3
	s_or_b64 exec, exec, s[28:29]
	v_cmp_lt_u32_e32 vcc, s57, v8
	s_and_saveexec_b64 s[28:29], vcc
	s_cbranch_execz .LBB4_4932
; %bb.4927:                             ;   in Loop: Header=BB4_4388 Depth=3
	v_lshrrev_b32_e32 v2, 24, v8
	v_cmp_ne_u32_e32 vcc, s70, v2
	v_bfrev_b32_e32 v16, 1
	s_and_saveexec_b64 s[30:31], vcc
	s_cbranch_execz .LBB4_4931
; %bb.4928:                             ;   in Loop: Header=BB4_4388 Depth=3
	v_bfe_u32 v1, v8, 24, 7
	v_cmp_ne_u32_e32 vcc, s71, v1
	v_mov_b32_e32 v16, 0x7f800001
	s_and_saveexec_b64 s[34:35], vcc
	s_cbranch_execz .LBB4_4930
; %bb.4929:                             ;   in Loop: Header=BB4_4388 Depth=3
	v_and_b32_e32 v6, 7, v2
	v_lshrrev_b32_e32 v7, 3, v1
	v_cmp_gt_u32_e32 vcc, 8, v1
	v_ffbh_u32_e32 v1, v6
	v_min_u32_e32 v1, 32, v1
	v_subrev_u32_e32 v16, 28, v1
	v_lshlrev_b64 v[50:51], v16, v[2:3]
	v_sub_u32_e32 v1, 29, v1
	v_and_b32_e32 v16, 7, v50
	v_cndmask_b32_e32 v1, v7, v1, vcc
	v_cndmask_b32_e32 v6, v6, v16, vcc
	v_lshlrev_b32_e32 v2, 24, v2
	v_lshlrev_b32_e32 v6, 20, v6
	v_and_b32_e32 v2, 0x80000000, v2
	v_lshl_add_u32 v1, v1, 23, v0
	v_or3_b32 v16, v2, v1, v6
.LBB4_4930:                             ;   in Loop: Header=BB4_4388 Depth=3
	s_or_b64 exec, exec, s[34:35]
.LBB4_4931:                             ;   in Loop: Header=BB4_4388 Depth=3
	s_or_b64 exec, exec, s[30:31]
.LBB4_4932:                             ;   in Loop: Header=BB4_4388 Depth=3
	s_or_b64 exec, exec, s[28:29]
	v_mul_f32_e32 v16, v17, v16
	v_and_b32_e32 v2, 0x7f800000, v16
	v_cmp_ne_u64_e32 vcc, s[62:63], v[2:3]
                                        ; implicit-def: $vgpr54
	s_and_saveexec_b64 s[28:29], vcc
	s_xor_b64 s[30:31], exec, s[28:29]
	s_cbranch_execz .LBB4_4946
; %bb.4933:                             ;   in Loop: Header=BB4_4388 Depth=3
	v_and_b32_e32 v2, 0x7fffffff, v16
	v_cmp_gt_u64_e32 vcc, s[72:73], v[2:3]
	v_and_b32_sdwa v36, v16, s70 dst_sel:DWORD dst_unused:UNUSED_PAD src0_sel:BYTE_3 src1_sel:DWORD
                                        ; implicit-def: $vgpr54
	s_and_saveexec_b64 s[28:29], vcc
	s_xor_b64 s[34:35], exec, s[28:29]
	s_cbranch_execz .LBB4_4943
; %bb.4934:                             ;   in Loop: Header=BB4_4388 Depth=3
	v_mov_b32_e32 v54, 0
	v_cmp_ne_u32_e32 vcc, 0, v16
	s_and_saveexec_b64 s[36:37], vcc
	s_cbranch_execz .LBB4_4942
; %bb.4935:                             ;   in Loop: Header=BB4_4388 Depth=3
	v_bfe_u32 v50, v16, 23, 8
	v_cmp_gt_u32_e64 s[28:29], s80, v50
	v_sub_u32_e32 v2, 0x79, v50
	v_and_b32_e32 v1, 0x7fffff, v16
	v_cmp_eq_u32_e32 vcc, 0, v50
	v_cndmask_b32_e64 v2, 0, v2, s[28:29]
	v_mov_b32_e32 v7, 0x78
	v_or_b32_e32 v6, 0x800000, v1
	v_cndmask_b32_e32 v51, v2, v7, vcc
	v_cndmask_b32_e32 v2, v6, v1, vcc
	v_add_u32_e32 v1, 20, v51
	v_lshlrev_b64 v[16:17], v1, -1
	v_add_u32_e32 v1, 19, v51
	v_lshlrev_b64 v[43:44], v1, 1
	v_bfi_b32 v17, v17, 0, 0
	v_bfi_b32 v16, v16, 0, v2
	v_cmp_eq_u64_e64 s[28:29], v[16:17], v[43:44]
	v_lshrrev_b64 v[16:17], v51, v[2:3]
	v_mov_b32_e32 v18, v17
	v_mov_b32_e32 v17, v16
	s_and_saveexec_b64 s[38:39], s[28:29]
; %bb.4936:                             ;   in Loop: Header=BB4_4388 Depth=3
	v_bfe_u32 v1, v16, 20, 1
	v_add_co_u32_e64 v1, s[28:29], v16, v1
	v_add_co_u32_e64 v17, s[28:29], -1, v1
; %bb.4937:                             ;   in Loop: Header=BB4_4388 Depth=3
	s_or_b64 exec, exec, s[38:39]
	v_add_u32_e32 v1, 0xffffff81, v50
	v_mov_b32_e32 v2, 0xffffff82
	v_cndmask_b32_e32 v1, v1, v2, vcc
	v_lshrrev_b32_e32 v2, 23, v16
	v_add3_u32 v18, v51, v1, v2
	v_add_u32_e32 v6, 6, v18
	v_and_b32_e32 v1, 0xfffff, v17
	v_add_u32_e32 v2, v1, v16
	v_cmp_ne_u32_e32 vcc, 0, v6
                                        ; implicit-def: $vgpr16_vgpr17
                                        ; implicit-def: $vgpr1
	s_and_saveexec_b64 s[28:29], vcc
	s_xor_b64 s[28:29], exec, s[28:29]
; %bb.4938:                             ;   in Loop: Header=BB4_4388 Depth=3
	v_cmp_lt_u64_e32 vcc, s[88:89], v[2:3]
	v_add_u32_e32 v1, 7, v18
	v_cndmask_b32_e32 v1, v6, v1, vcc
	v_cndmask_b32_e64 v6, 0, 1, vcc
	v_lshrrev_b64 v[16:17], v6, v[2:3]
; %bb.4939:                             ;   in Loop: Header=BB4_4388 Depth=3
	s_andn2_saveexec_b64 s[28:29], s[28:29]
; %bb.4940:                             ;   in Loop: Header=BB4_4388 Depth=3
	v_mov_b32_e32 v17, v3
	v_bfe_u32 v1, v2, 23, 1
	v_mov_b32_e32 v16, v2
; %bb.4941:                             ;   in Loop: Header=BB4_4388 Depth=3
	s_or_b64 exec, exec, s[28:29]
	v_lshrrev_b64 v[16:17], 20, v[16:17]
	v_cmp_gt_i32_e32 vcc, 16, v1
	v_cndmask_b32_e32 v17, 0, v17, vcc
	v_cndmask_b32_e32 v16, 7, v16, vcc
	v_cmp_eq_u32_e32 vcc, 0, v1
	v_min_i32_e32 v1, 15, v1
	v_cmp_eq_u64_e64 s[28:29], 0, v[16:17]
	v_lshlrev_b32_e32 v1, 3, v1
	v_and_b32_e32 v1, 0xf8, v1
	v_and_or_b32 v1, v16, 7, v1
	s_and_b64 s[28:29], vcc, s[28:29]
	v_cndmask_b32_e64 v1, v1, 0, s[28:29]
	v_or_b32_e32 v54, v1, v36
.LBB4_4942:                             ;   in Loop: Header=BB4_4388 Depth=3
	s_or_b64 exec, exec, s[36:37]
                                        ; implicit-def: $vgpr36
.LBB4_4943:                             ;   in Loop: Header=BB4_4388 Depth=3
	s_andn2_saveexec_b64 s[28:29], s[34:35]
; %bb.4944:                             ;   in Loop: Header=BB4_4388 Depth=3
	v_or_b32_e32 v54, 0x7e, v36
; %bb.4945:                             ;   in Loop: Header=BB4_4388 Depth=3
	s_or_b64 exec, exec, s[28:29]
                                        ; implicit-def: $vgpr16
.LBB4_4946:                             ;   in Loop: Header=BB4_4388 Depth=3
	s_andn2_saveexec_b64 s[28:29], s[30:31]
; %bb.4947:                             ;   in Loop: Header=BB4_4388 Depth=3
	v_or_b32_sdwa v54, v16, s71 dst_sel:DWORD dst_unused:UNUSED_PAD src0_sel:BYTE_3 src1_sel:DWORD
; %bb.4948:                             ;   in Loop: Header=BB4_4388 Depth=3
	s_or_b64 exec, exec, s[28:29]
	v_mov_b32_e32 v2, v13
	v_cmp_ne_u16_sdwa s[44:45], v13, v3 src0_sel:BYTE_0 src1_sel:DWORD
	v_mov_b32_e32 v17, 0
	v_mov_b32_e32 v16, 0
	s_and_saveexec_b64 s[28:29], s[44:45]
	s_cbranch_execz .LBB4_4954
; %bb.4949:                             ;   in Loop: Header=BB4_4388 Depth=3
	v_cmp_ne_u16_sdwa s[44:45], v13, s70 src0_sel:BYTE_0 src1_sel:DWORD
	v_bfrev_b32_e32 v16, 1
	s_and_saveexec_b64 s[30:31], s[44:45]
	s_cbranch_execz .LBB4_4953
; %bb.4950:                             ;   in Loop: Header=BB4_4388 Depth=3
	v_and_b32_e32 v1, 0x7f, v13
	v_cmp_ne_u32_e32 vcc, s71, v1
	v_mov_b32_e32 v16, 0x7f800001
	s_and_saveexec_b64 s[34:35], vcc
	s_cbranch_execz .LBB4_4952
; %bb.4951:                             ;   in Loop: Header=BB4_4388 Depth=3
	v_and_b32_e32 v6, 7, v13
	v_lshrrev_b32_e32 v7, 3, v1
	v_cmp_gt_u32_e32 vcc, 8, v1
	v_ffbh_u32_e32 v1, v6
	v_min_u32_e32 v1, 32, v1
	v_subrev_u32_e32 v6, 28, v1
	v_cndmask_b32_e32 v6, 0, v6, vcc
	v_lshlrev_b64 v[50:51], v6, v[2:3]
	v_sub_u32_e32 v1, 29, v1
	v_cndmask_b32_e32 v1, v7, v1, vcc
	v_lshlrev_b32_e32 v6, 20, v50
	v_lshlrev_b32_e32 v7, 24, v2
	v_and_b32_e32 v6, 0x700000, v6
	v_and_b32_e32 v7, 0x80000000, v7
	v_lshl_add_u32 v1, v1, 23, v0
	v_or3_b32 v16, v7, v1, v6
.LBB4_4952:                             ;   in Loop: Header=BB4_4388 Depth=3
	s_or_b64 exec, exec, s[34:35]
.LBB4_4953:                             ;   in Loop: Header=BB4_4388 Depth=3
	s_or_b64 exec, exec, s[30:31]
.LBB4_4954:                             ;   in Loop: Header=BB4_4388 Depth=3
	s_or_b64 exec, exec, s[28:29]
	v_cmp_ne_u16_sdwa s[44:45], v9, v3 src0_sel:BYTE_0 src1_sel:DWORD
	s_and_saveexec_b64 s[28:29], s[44:45]
	s_cbranch_execz .LBB4_4960
; %bb.4955:                             ;   in Loop: Header=BB4_4388 Depth=3
	v_cmp_ne_u16_sdwa s[44:45], v9, s70 src0_sel:BYTE_0 src1_sel:DWORD
	v_bfrev_b32_e32 v17, 1
	s_and_saveexec_b64 s[30:31], s[44:45]
	s_cbranch_execz .LBB4_4959
; %bb.4956:                             ;   in Loop: Header=BB4_4388 Depth=3
	v_and_b32_e32 v1, 0x7f, v9
	v_cmp_ne_u32_e32 vcc, s71, v1
	v_mov_b32_e32 v17, 0x7f800001
	s_and_saveexec_b64 s[34:35], vcc
	s_cbranch_execz .LBB4_4958
; %bb.4957:                             ;   in Loop: Header=BB4_4388 Depth=3
	v_and_b32_e32 v6, 7, v9
	v_lshrrev_b32_e32 v7, 3, v1
	v_cmp_gt_u32_e32 vcc, 8, v1
	v_ffbh_u32_e32 v1, v6
	v_min_u32_e32 v1, 32, v1
	v_subrev_u32_e32 v6, 28, v1
	v_mov_b32_e32 v17, v9
	v_mov_b32_e32 v18, v3
	v_cndmask_b32_e32 v6, 0, v6, vcc
	v_lshlrev_b64 v[50:51], v6, v[17:18]
	v_sub_u32_e32 v1, 29, v1
	v_cndmask_b32_e32 v1, v7, v1, vcc
	v_lshlrev_b32_e32 v6, 20, v50
	v_lshlrev_b32_e32 v7, 24, v17
	v_and_b32_e32 v6, 0x700000, v6
	v_and_b32_e32 v7, 0x80000000, v7
	v_lshl_add_u32 v1, v1, 23, v0
	v_or3_b32 v17, v7, v1, v6
.LBB4_4958:                             ;   in Loop: Header=BB4_4388 Depth=3
	s_or_b64 exec, exec, s[34:35]
.LBB4_4959:                             ;   in Loop: Header=BB4_4388 Depth=3
	s_or_b64 exec, exec, s[30:31]
.LBB4_4960:                             ;   in Loop: Header=BB4_4388 Depth=3
	s_or_b64 exec, exec, s[28:29]
	v_mul_f32_e32 v16, v16, v17
	v_and_b32_e32 v17, 0x7f800000, v16
	v_mov_b32_e32 v18, v3
	v_cmp_ne_u64_e32 vcc, s[62:63], v[17:18]
                                        ; implicit-def: $vgpr36
	s_and_saveexec_b64 s[28:29], vcc
	s_xor_b64 s[30:31], exec, s[28:29]
	s_cbranch_execz .LBB4_4974
; %bb.4961:                             ;   in Loop: Header=BB4_4388 Depth=3
	v_and_b32_e32 v17, 0x7fffffff, v16
	v_mov_b32_e32 v18, v3
	v_cmp_gt_u64_e32 vcc, s[72:73], v[17:18]
	v_and_b32_sdwa v50, v16, s70 dst_sel:DWORD dst_unused:UNUSED_PAD src0_sel:BYTE_3 src1_sel:DWORD
                                        ; implicit-def: $vgpr36
	s_and_saveexec_b64 s[28:29], vcc
	s_xor_b64 s[34:35], exec, s[28:29]
	s_cbranch_execz .LBB4_4971
; %bb.4962:                             ;   in Loop: Header=BB4_4388 Depth=3
	v_mov_b32_e32 v36, 0
	v_cmp_ne_u32_e32 vcc, 0, v16
	s_and_saveexec_b64 s[36:37], vcc
	s_cbranch_execz .LBB4_4970
; %bb.4963:                             ;   in Loop: Header=BB4_4388 Depth=3
	v_bfe_u32 v36, v16, 23, 8
	v_cmp_gt_u32_e64 s[28:29], s80, v36
	v_sub_u32_e32 v6, 0x79, v36
	v_and_b32_e32 v1, 0x7fffff, v16
	v_cmp_eq_u32_e32 vcc, 0, v36
	v_cndmask_b32_e64 v6, 0, v6, s[28:29]
	v_mov_b32_e32 v16, 0x78
	v_or_b32_e32 v7, 0x800000, v1
	v_cndmask_b32_e32 v51, v6, v16, vcc
	v_cndmask_b32_e32 v16, v7, v1, vcc
	v_add_u32_e32 v1, 20, v51
	v_lshlrev_b64 v[43:44], v1, -1
	v_mov_b32_e32 v17, v3
	v_add_u32_e32 v1, 19, v51
	v_bfi_b32 v43, v43, 0, v16
	v_lshlrev_b64 v[60:61], v1, 1
	v_lshrrev_b64 v[16:17], v51, v[16:17]
	v_bfi_b32 v44, v44, 0, 0
	v_cmp_eq_u64_e64 s[28:29], v[43:44], v[60:61]
	v_mov_b32_e32 v18, v17
	v_mov_b32_e32 v17, v16
	s_and_saveexec_b64 s[38:39], s[28:29]
; %bb.4964:                             ;   in Loop: Header=BB4_4388 Depth=3
	v_bfe_u32 v1, v16, 20, 1
	v_add_co_u32_e64 v1, s[28:29], v16, v1
	v_add_co_u32_e64 v17, s[28:29], -1, v1
; %bb.4965:                             ;   in Loop: Header=BB4_4388 Depth=3
	s_or_b64 exec, exec, s[38:39]
	v_add_u32_e32 v1, 0xffffff81, v36
	v_mov_b32_e32 v6, 0xffffff82
	v_cndmask_b32_e32 v1, v1, v6, vcc
	v_lshrrev_b32_e32 v6, 23, v16
	v_add3_u32 v18, v51, v1, v6
	v_add_u32_e32 v6, 6, v18
	v_and_b32_e32 v1, 0xfffff, v17
	v_add_u32_e32 v16, v1, v16
	v_mov_b32_e32 v17, v3
	v_cmp_ne_u32_e32 vcc, 0, v6
                                        ; implicit-def: $vgpr1
	s_and_saveexec_b64 s[28:29], vcc
	s_xor_b64 s[28:29], exec, s[28:29]
; %bb.4966:                             ;   in Loop: Header=BB4_4388 Depth=3
	v_cmp_lt_u64_e32 vcc, s[88:89], v[16:17]
	v_add_u32_e32 v1, 7, v18
	v_cndmask_b32_e32 v1, v6, v1, vcc
	v_cndmask_b32_e64 v6, 0, 1, vcc
	v_lshrrev_b64 v[16:17], v6, v[16:17]
; %bb.4967:                             ;   in Loop: Header=BB4_4388 Depth=3
	s_andn2_saveexec_b64 s[28:29], s[28:29]
; %bb.4968:                             ;   in Loop: Header=BB4_4388 Depth=3
	v_bfe_u32 v1, v16, 23, 1
; %bb.4969:                             ;   in Loop: Header=BB4_4388 Depth=3
	s_or_b64 exec, exec, s[28:29]
	v_lshrrev_b64 v[16:17], 20, v[16:17]
	v_cmp_gt_i32_e32 vcc, 16, v1
	v_cndmask_b32_e32 v17, 0, v17, vcc
	v_cndmask_b32_e32 v16, 7, v16, vcc
	v_cmp_eq_u32_e32 vcc, 0, v1
	v_min_i32_e32 v1, 15, v1
	v_cmp_eq_u64_e64 s[28:29], 0, v[16:17]
	v_lshlrev_b32_e32 v1, 3, v1
	v_and_b32_e32 v1, 0xf8, v1
	v_and_or_b32 v1, v16, 7, v1
	s_and_b64 s[28:29], vcc, s[28:29]
	v_cndmask_b32_e64 v1, v1, 0, s[28:29]
	v_or_b32_e32 v36, v1, v50
.LBB4_4970:                             ;   in Loop: Header=BB4_4388 Depth=3
	s_or_b64 exec, exec, s[36:37]
                                        ; implicit-def: $vgpr50
.LBB4_4971:                             ;   in Loop: Header=BB4_4388 Depth=3
	s_andn2_saveexec_b64 s[28:29], s[34:35]
; %bb.4972:                             ;   in Loop: Header=BB4_4388 Depth=3
	v_or_b32_e32 v36, 0x7e, v50
; %bb.4973:                             ;   in Loop: Header=BB4_4388 Depth=3
	s_or_b64 exec, exec, s[28:29]
                                        ; implicit-def: $vgpr16
.LBB4_4974:                             ;   in Loop: Header=BB4_4388 Depth=3
	s_andn2_saveexec_b64 s[28:29], s[30:31]
; %bb.4975:                             ;   in Loop: Header=BB4_4388 Depth=3
	v_or_b32_sdwa v36, v16, s71 dst_sel:DWORD dst_unused:UNUSED_PAD src0_sel:BYTE_3 src1_sel:DWORD
; %bb.4976:                             ;   in Loop: Header=BB4_4388 Depth=3
	s_or_b64 exec, exec, s[28:29]
	v_lshrrev_b16_e32 v16, 8, v2
	v_cmp_ne_u16_e32 vcc, 0, v16
	v_mov_b32_e32 v17, 0
	v_mov_b32_e32 v18, 0
	s_and_saveexec_b64 s[28:29], vcc
	s_cbranch_execz .LBB4_4982
; %bb.4977:                             ;   in Loop: Header=BB4_4388 Depth=3
	v_cmp_ne_u16_e32 vcc, s70, v16
	v_bfrev_b32_e32 v18, 1
	s_and_saveexec_b64 s[30:31], vcc
	s_cbranch_execz .LBB4_4981
; %bb.4978:                             ;   in Loop: Header=BB4_4388 Depth=3
	v_and_b32_e32 v1, 0x7f, v16
	v_cmp_ne_u32_e32 vcc, s71, v1
	v_mov_b32_e32 v18, 0x7f800001
	s_and_saveexec_b64 s[34:35], vcc
	s_cbranch_execz .LBB4_4980
; %bb.4979:                             ;   in Loop: Header=BB4_4388 Depth=3
	v_and_b32_e32 v6, 7, v16
	v_lshrrev_b32_e32 v7, 3, v1
	v_cmp_gt_u32_e32 vcc, 8, v1
	v_ffbh_u32_e32 v1, v6
	v_min_u32_e32 v1, 32, v1
	v_subrev_u32_e32 v18, 28, v1
	v_lshlrev_b64 v[50:51], v18, v[16:17]
	v_sub_u32_e32 v1, 29, v1
	v_and_b32_e32 v16, 7, v50
	v_cndmask_b32_e32 v1, v7, v1, vcc
	v_cndmask_b32_e32 v6, v6, v16, vcc
	v_lshlrev_b32_e32 v2, 16, v2
	v_lshlrev_b32_e32 v6, 20, v6
	v_and_b32_e32 v2, 0x80000000, v2
	v_lshl_add_u32 v1, v1, 23, v0
	v_or3_b32 v18, v2, v1, v6
.LBB4_4980:                             ;   in Loop: Header=BB4_4388 Depth=3
	s_or_b64 exec, exec, s[34:35]
.LBB4_4981:                             ;   in Loop: Header=BB4_4388 Depth=3
	s_or_b64 exec, exec, s[30:31]
.LBB4_4982:                             ;   in Loop: Header=BB4_4388 Depth=3
	s_or_b64 exec, exec, s[28:29]
	v_lshrrev_b16_e32 v2, 8, v9
	v_cmp_ne_u16_e32 vcc, 0, v2
	s_and_saveexec_b64 s[28:29], vcc
	s_cbranch_execz .LBB4_4988
; %bb.4983:                             ;   in Loop: Header=BB4_4388 Depth=3
	v_cmp_ne_u16_e32 vcc, s70, v2
	v_bfrev_b32_e32 v17, 1
	s_and_saveexec_b64 s[30:31], vcc
	s_cbranch_execz .LBB4_4987
; %bb.4984:                             ;   in Loop: Header=BB4_4388 Depth=3
	v_and_b32_e32 v1, 0x7f, v2
	v_cmp_ne_u32_e32 vcc, s71, v1
	v_mov_b32_e32 v17, 0x7f800001
	s_and_saveexec_b64 s[34:35], vcc
	s_cbranch_execz .LBB4_4986
; %bb.4985:                             ;   in Loop: Header=BB4_4388 Depth=3
	v_and_b32_e32 v6, 7, v2
	v_lshrrev_b32_e32 v7, 3, v1
	v_cmp_gt_u32_e32 vcc, 8, v1
	v_ffbh_u32_e32 v1, v6
	v_min_u32_e32 v16, 32, v1
	v_subrev_u32_e32 v1, 28, v16
	v_lshlrev_b64 v[1:2], v1, v[2:3]
	v_sub_u32_e32 v2, 29, v16
	v_and_b32_e32 v1, 7, v1
	v_cndmask_b32_e32 v2, v7, v2, vcc
	v_cndmask_b32_e32 v1, v6, v1, vcc
	v_lshlrev_b32_e32 v6, 16, v9
	v_lshlrev_b32_e32 v1, 20, v1
	v_and_b32_e32 v6, 0x80000000, v6
	v_lshl_add_u32 v2, v2, 23, v0
	v_or3_b32 v17, v6, v2, v1
.LBB4_4986:                             ;   in Loop: Header=BB4_4388 Depth=3
	s_or_b64 exec, exec, s[34:35]
.LBB4_4987:                             ;   in Loop: Header=BB4_4388 Depth=3
	s_or_b64 exec, exec, s[30:31]
.LBB4_4988:                             ;   in Loop: Header=BB4_4388 Depth=3
	s_or_b64 exec, exec, s[28:29]
	v_mul_f32_e32 v16, v18, v17
	v_and_b32_e32 v2, 0x7f800000, v16
	v_cmp_ne_u64_e32 vcc, s[62:63], v[2:3]
                                        ; implicit-def: $vgpr57
	s_and_saveexec_b64 s[28:29], vcc
	s_xor_b64 s[30:31], exec, s[28:29]
	s_cbranch_execz .LBB4_5002
; %bb.4989:                             ;   in Loop: Header=BB4_4388 Depth=3
	v_and_b32_e32 v2, 0x7fffffff, v16
	v_cmp_gt_u64_e32 vcc, s[72:73], v[2:3]
	v_and_b32_sdwa v50, v16, s70 dst_sel:DWORD dst_unused:UNUSED_PAD src0_sel:BYTE_3 src1_sel:DWORD
                                        ; implicit-def: $vgpr57
	s_and_saveexec_b64 s[28:29], vcc
	s_xor_b64 s[34:35], exec, s[28:29]
	s_cbranch_execz .LBB4_4999
; %bb.4990:                             ;   in Loop: Header=BB4_4388 Depth=3
	v_mov_b32_e32 v57, 0
	v_cmp_ne_u32_e32 vcc, 0, v16
	s_and_saveexec_b64 s[36:37], vcc
	s_cbranch_execz .LBB4_4998
; %bb.4991:                             ;   in Loop: Header=BB4_4388 Depth=3
	v_bfe_u32 v51, v16, 23, 8
	v_cmp_gt_u32_e64 s[28:29], s80, v51
	v_sub_u32_e32 v2, 0x79, v51
	v_and_b32_e32 v1, 0x7fffff, v16
	v_cmp_eq_u32_e32 vcc, 0, v51
	v_cndmask_b32_e64 v2, 0, v2, s[28:29]
	v_mov_b32_e32 v7, 0x78
	v_or_b32_e32 v6, 0x800000, v1
	v_cndmask_b32_e32 v43, v2, v7, vcc
	v_cndmask_b32_e32 v2, v6, v1, vcc
	v_add_u32_e32 v1, 20, v43
	v_lshlrev_b64 v[16:17], v1, -1
	v_add_u32_e32 v1, 19, v43
	v_lshlrev_b64 v[60:61], v1, 1
	v_bfi_b32 v17, v17, 0, 0
	v_bfi_b32 v16, v16, 0, v2
	v_cmp_eq_u64_e64 s[28:29], v[16:17], v[60:61]
	v_lshrrev_b64 v[16:17], v43, v[2:3]
	v_mov_b32_e32 v18, v17
	v_mov_b32_e32 v17, v16
	s_and_saveexec_b64 s[38:39], s[28:29]
; %bb.4992:                             ;   in Loop: Header=BB4_4388 Depth=3
	v_bfe_u32 v1, v16, 20, 1
	v_add_co_u32_e64 v1, s[28:29], v16, v1
	v_add_co_u32_e64 v17, s[28:29], -1, v1
; %bb.4993:                             ;   in Loop: Header=BB4_4388 Depth=3
	s_or_b64 exec, exec, s[38:39]
	v_add_u32_e32 v1, 0xffffff81, v51
	v_mov_b32_e32 v2, 0xffffff82
	v_cndmask_b32_e32 v1, v1, v2, vcc
	v_lshrrev_b32_e32 v2, 23, v16
	v_add3_u32 v18, v43, v1, v2
	v_add_u32_e32 v6, 6, v18
	v_and_b32_e32 v1, 0xfffff, v17
	v_add_u32_e32 v2, v1, v16
	v_cmp_ne_u32_e32 vcc, 0, v6
                                        ; implicit-def: $vgpr16_vgpr17
                                        ; implicit-def: $vgpr1
	s_and_saveexec_b64 s[28:29], vcc
	s_xor_b64 s[28:29], exec, s[28:29]
; %bb.4994:                             ;   in Loop: Header=BB4_4388 Depth=3
	v_cmp_lt_u64_e32 vcc, s[88:89], v[2:3]
	v_add_u32_e32 v1, 7, v18
	v_cndmask_b32_e32 v1, v6, v1, vcc
	v_cndmask_b32_e64 v6, 0, 1, vcc
	v_lshrrev_b64 v[16:17], v6, v[2:3]
; %bb.4995:                             ;   in Loop: Header=BB4_4388 Depth=3
	s_andn2_saveexec_b64 s[28:29], s[28:29]
; %bb.4996:                             ;   in Loop: Header=BB4_4388 Depth=3
	v_mov_b32_e32 v17, v3
	v_bfe_u32 v1, v2, 23, 1
	v_mov_b32_e32 v16, v2
; %bb.4997:                             ;   in Loop: Header=BB4_4388 Depth=3
	s_or_b64 exec, exec, s[28:29]
	v_lshrrev_b64 v[16:17], 20, v[16:17]
	v_cmp_gt_i32_e32 vcc, 16, v1
	v_cndmask_b32_e32 v17, 0, v17, vcc
	v_cndmask_b32_e32 v16, 7, v16, vcc
	v_cmp_eq_u32_e32 vcc, 0, v1
	v_min_i32_e32 v1, 15, v1
	v_cmp_eq_u64_e64 s[28:29], 0, v[16:17]
	v_lshlrev_b32_e32 v1, 3, v1
	v_and_b32_e32 v1, 0xf8, v1
	v_and_or_b32 v1, v16, 7, v1
	s_and_b64 s[28:29], vcc, s[28:29]
	v_cndmask_b32_e64 v1, v1, 0, s[28:29]
	v_or_b32_e32 v57, v1, v50
.LBB4_4998:                             ;   in Loop: Header=BB4_4388 Depth=3
	s_or_b64 exec, exec, s[36:37]
                                        ; implicit-def: $vgpr50
.LBB4_4999:                             ;   in Loop: Header=BB4_4388 Depth=3
	s_andn2_saveexec_b64 s[28:29], s[34:35]
; %bb.5000:                             ;   in Loop: Header=BB4_4388 Depth=3
	v_or_b32_e32 v57, 0x7e, v50
; %bb.5001:                             ;   in Loop: Header=BB4_4388 Depth=3
	s_or_b64 exec, exec, s[28:29]
                                        ; implicit-def: $vgpr16
.LBB4_5002:                             ;   in Loop: Header=BB4_4388 Depth=3
	s_andn2_saveexec_b64 s[28:29], s[30:31]
; %bb.5003:                             ;   in Loop: Header=BB4_4388 Depth=3
	v_or_b32_sdwa v57, v16, s71 dst_sel:DWORD dst_unused:UNUSED_PAD src0_sel:BYTE_3 src1_sel:DWORD
; %bb.5004:                             ;   in Loop: Header=BB4_4388 Depth=3
	s_or_b64 exec, exec, s[28:29]
	v_lshrrev_b32_e32 v2, 16, v13
	v_cmp_ne_u16_sdwa s[44:45], v2, v3 src0_sel:BYTE_0 src1_sel:DWORD
	v_mov_b32_e32 v16, 0
	v_mov_b32_e32 v17, 0
	s_and_saveexec_b64 s[28:29], s[44:45]
	s_cbranch_execz .LBB4_5010
; %bb.5005:                             ;   in Loop: Header=BB4_4388 Depth=3
	v_cmp_ne_u16_sdwa s[44:45], v2, s70 src0_sel:BYTE_0 src1_sel:DWORD
	v_bfrev_b32_e32 v17, 1
	s_and_saveexec_b64 s[30:31], s[44:45]
	s_cbranch_execz .LBB4_5009
; %bb.5006:                             ;   in Loop: Header=BB4_4388 Depth=3
	v_bfe_u32 v1, v13, 16, 7
	v_cmp_ne_u32_e32 vcc, s71, v1
	v_mov_b32_e32 v17, 0x7f800001
	s_and_saveexec_b64 s[34:35], vcc
	s_cbranch_execz .LBB4_5008
; %bb.5007:                             ;   in Loop: Header=BB4_4388 Depth=3
	v_and_b32_e32 v6, 7, v2
	v_lshrrev_b32_e32 v7, 3, v1
	v_cmp_gt_u32_e32 vcc, 8, v1
	v_ffbh_u32_e32 v1, v6
	v_min_u32_e32 v1, 32, v1
	v_subrev_u32_e32 v17, 28, v1
	v_lshlrev_b64 v[17:18], v17, v[2:3]
	v_sub_u32_e32 v1, 29, v1
	v_and_b32_e32 v17, 7, v17
	v_cndmask_b32_e32 v1, v7, v1, vcc
	v_cndmask_b32_e32 v6, v6, v17, vcc
	v_lshlrev_b32_e32 v2, 24, v2
	v_lshlrev_b32_e32 v6, 20, v6
	v_and_b32_e32 v2, 0x80000000, v2
	v_lshl_add_u32 v1, v1, 23, v0
	v_or3_b32 v17, v2, v1, v6
.LBB4_5008:                             ;   in Loop: Header=BB4_4388 Depth=3
	s_or_b64 exec, exec, s[34:35]
.LBB4_5009:                             ;   in Loop: Header=BB4_4388 Depth=3
	s_or_b64 exec, exec, s[30:31]
.LBB4_5010:                             ;   in Loop: Header=BB4_4388 Depth=3
	s_or_b64 exec, exec, s[28:29]
	v_lshrrev_b32_e32 v2, 16, v9
	v_cmp_ne_u16_sdwa s[44:45], v2, v3 src0_sel:BYTE_0 src1_sel:DWORD
	s_and_saveexec_b64 s[28:29], s[44:45]
	s_cbranch_execz .LBB4_5016
; %bb.5011:                             ;   in Loop: Header=BB4_4388 Depth=3
	v_cmp_ne_u16_sdwa s[44:45], v2, s70 src0_sel:BYTE_0 src1_sel:DWORD
	v_bfrev_b32_e32 v16, 1
	s_and_saveexec_b64 s[30:31], s[44:45]
	s_cbranch_execz .LBB4_5015
; %bb.5012:                             ;   in Loop: Header=BB4_4388 Depth=3
	v_bfe_u32 v1, v9, 16, 7
	v_cmp_ne_u32_e32 vcc, s71, v1
	v_mov_b32_e32 v16, 0x7f800001
	s_and_saveexec_b64 s[34:35], vcc
	s_cbranch_execz .LBB4_5014
; %bb.5013:                             ;   in Loop: Header=BB4_4388 Depth=3
	v_and_b32_e32 v6, 7, v2
	v_lshrrev_b32_e32 v7, 3, v1
	v_cmp_gt_u32_e32 vcc, 8, v1
	v_ffbh_u32_e32 v1, v6
	v_min_u32_e32 v16, 32, v1
	v_subrev_u32_e32 v1, 28, v16
	v_lshlrev_b64 v[1:2], v1, v[2:3]
	v_sub_u32_e32 v2, 29, v16
	v_and_b32_e32 v1, 7, v1
	v_cndmask_b32_e32 v2, v7, v2, vcc
	v_cndmask_b32_e32 v1, v6, v1, vcc
	v_lshlrev_b32_e32 v6, 8, v9
	v_lshlrev_b32_e32 v1, 20, v1
	v_and_b32_e32 v6, 0x80000000, v6
	v_lshl_add_u32 v2, v2, 23, v0
	v_or3_b32 v16, v6, v2, v1
.LBB4_5014:                             ;   in Loop: Header=BB4_4388 Depth=3
	s_or_b64 exec, exec, s[34:35]
.LBB4_5015:                             ;   in Loop: Header=BB4_4388 Depth=3
	s_or_b64 exec, exec, s[30:31]
.LBB4_5016:                             ;   in Loop: Header=BB4_4388 Depth=3
	s_or_b64 exec, exec, s[28:29]
	v_mul_f32_e32 v17, v17, v16
	v_and_b32_e32 v2, 0x7f800000, v17
	v_cmp_ne_u64_e32 vcc, s[62:63], v[2:3]
                                        ; implicit-def: $vgpr16
	s_and_saveexec_b64 s[28:29], vcc
	s_xor_b64 s[30:31], exec, s[28:29]
	s_cbranch_execz .LBB4_5030
; %bb.5017:                             ;   in Loop: Header=BB4_4388 Depth=3
	v_and_b32_e32 v2, 0x7fffffff, v17
	v_cmp_gt_u64_e32 vcc, s[72:73], v[2:3]
	v_and_b32_sdwa v50, v17, s70 dst_sel:DWORD dst_unused:UNUSED_PAD src0_sel:BYTE_3 src1_sel:DWORD
                                        ; implicit-def: $vgpr16
	s_and_saveexec_b64 s[28:29], vcc
	s_xor_b64 s[34:35], exec, s[28:29]
	s_cbranch_execz .LBB4_5027
; %bb.5018:                             ;   in Loop: Header=BB4_4388 Depth=3
	v_mov_b32_e32 v16, 0
	v_cmp_ne_u32_e32 vcc, 0, v17
	s_and_saveexec_b64 s[36:37], vcc
	s_cbranch_execz .LBB4_5026
; %bb.5019:                             ;   in Loop: Header=BB4_4388 Depth=3
	v_bfe_u32 v51, v17, 23, 8
	v_cmp_gt_u32_e64 s[28:29], s80, v51
	v_sub_u32_e32 v2, 0x79, v51
	v_and_b32_e32 v1, 0x7fffff, v17
	v_cmp_eq_u32_e32 vcc, 0, v51
	v_cndmask_b32_e64 v2, 0, v2, s[28:29]
	v_mov_b32_e32 v7, 0x78
	v_or_b32_e32 v6, 0x800000, v1
	v_cndmask_b32_e32 v43, v2, v7, vcc
	v_cndmask_b32_e32 v2, v6, v1, vcc
	v_add_u32_e32 v1, 20, v43
	v_lshlrev_b64 v[16:17], v1, -1
	v_add_u32_e32 v1, 19, v43
	v_lshlrev_b64 v[60:61], v1, 1
	v_bfi_b32 v17, v17, 0, 0
	v_bfi_b32 v16, v16, 0, v2
	v_cmp_eq_u64_e64 s[28:29], v[16:17], v[60:61]
	v_lshrrev_b64 v[16:17], v43, v[2:3]
	v_mov_b32_e32 v18, v17
	v_mov_b32_e32 v17, v16
	s_and_saveexec_b64 s[38:39], s[28:29]
; %bb.5020:                             ;   in Loop: Header=BB4_4388 Depth=3
	v_bfe_u32 v1, v16, 20, 1
	v_add_co_u32_e64 v1, s[28:29], v16, v1
	v_add_co_u32_e64 v17, s[28:29], -1, v1
; %bb.5021:                             ;   in Loop: Header=BB4_4388 Depth=3
	s_or_b64 exec, exec, s[38:39]
	v_add_u32_e32 v1, 0xffffff81, v51
	v_mov_b32_e32 v2, 0xffffff82
	v_cndmask_b32_e32 v1, v1, v2, vcc
	v_lshrrev_b32_e32 v2, 23, v16
	v_add3_u32 v18, v43, v1, v2
	v_add_u32_e32 v6, 6, v18
	v_and_b32_e32 v1, 0xfffff, v17
	v_add_u32_e32 v2, v1, v16
	v_cmp_ne_u32_e32 vcc, 0, v6
                                        ; implicit-def: $vgpr16_vgpr17
                                        ; implicit-def: $vgpr1
	s_and_saveexec_b64 s[28:29], vcc
	s_xor_b64 s[28:29], exec, s[28:29]
; %bb.5022:                             ;   in Loop: Header=BB4_4388 Depth=3
	v_cmp_lt_u64_e32 vcc, s[88:89], v[2:3]
	v_add_u32_e32 v1, 7, v18
	v_cndmask_b32_e32 v1, v6, v1, vcc
	v_cndmask_b32_e64 v6, 0, 1, vcc
	v_lshrrev_b64 v[16:17], v6, v[2:3]
; %bb.5023:                             ;   in Loop: Header=BB4_4388 Depth=3
	s_andn2_saveexec_b64 s[28:29], s[28:29]
; %bb.5024:                             ;   in Loop: Header=BB4_4388 Depth=3
	v_mov_b32_e32 v17, v3
	v_bfe_u32 v1, v2, 23, 1
	v_mov_b32_e32 v16, v2
; %bb.5025:                             ;   in Loop: Header=BB4_4388 Depth=3
	s_or_b64 exec, exec, s[28:29]
	v_lshrrev_b64 v[16:17], 20, v[16:17]
	v_cmp_gt_i32_e32 vcc, 16, v1
	v_cndmask_b32_e32 v17, 0, v17, vcc
	v_cndmask_b32_e32 v16, 7, v16, vcc
	v_cmp_eq_u32_e32 vcc, 0, v1
	v_min_i32_e32 v1, 15, v1
	v_cmp_eq_u64_e64 s[28:29], 0, v[16:17]
	v_lshlrev_b32_e32 v1, 3, v1
	v_and_b32_e32 v1, 0xf8, v1
	v_and_or_b32 v1, v16, 7, v1
	s_and_b64 s[28:29], vcc, s[28:29]
	v_cndmask_b32_e64 v1, v1, 0, s[28:29]
	v_or_b32_e32 v16, v1, v50
.LBB4_5026:                             ;   in Loop: Header=BB4_4388 Depth=3
	s_or_b64 exec, exec, s[36:37]
                                        ; implicit-def: $vgpr50
.LBB4_5027:                             ;   in Loop: Header=BB4_4388 Depth=3
	s_andn2_saveexec_b64 s[28:29], s[34:35]
; %bb.5028:                             ;   in Loop: Header=BB4_4388 Depth=3
	v_or_b32_e32 v16, 0x7e, v50
; %bb.5029:                             ;   in Loop: Header=BB4_4388 Depth=3
	s_or_b64 exec, exec, s[28:29]
                                        ; implicit-def: $vgpr17
.LBB4_5030:                             ;   in Loop: Header=BB4_4388 Depth=3
	s_andn2_saveexec_b64 s[28:29], s[30:31]
; %bb.5031:                             ;   in Loop: Header=BB4_4388 Depth=3
	v_or_b32_sdwa v16, v17, s71 dst_sel:DWORD dst_unused:UNUSED_PAD src0_sel:BYTE_3 src1_sel:DWORD
; %bb.5032:                             ;   in Loop: Header=BB4_4388 Depth=3
	s_or_b64 exec, exec, s[28:29]
	v_cmp_lt_u64_e32 vcc, s[56:57], v[12:13]
	v_mov_b32_e32 v12, 0
	v_mov_b32_e32 v17, 0
	s_and_saveexec_b64 s[28:29], vcc
	s_cbranch_execz .LBB4_5038
; %bb.5033:                             ;   in Loop: Header=BB4_4388 Depth=3
	v_lshrrev_b32_e32 v2, 24, v13
	v_cmp_ne_u32_e32 vcc, s70, v2
	v_bfrev_b32_e32 v17, 1
	s_and_saveexec_b64 s[30:31], vcc
	s_cbranch_execz .LBB4_5037
; %bb.5034:                             ;   in Loop: Header=BB4_4388 Depth=3
	v_bfe_u32 v1, v13, 24, 7
	v_cmp_ne_u32_e32 vcc, s71, v1
	v_mov_b32_e32 v17, 0x7f800001
	s_and_saveexec_b64 s[34:35], vcc
	s_cbranch_execz .LBB4_5036
; %bb.5035:                             ;   in Loop: Header=BB4_4388 Depth=3
	v_and_b32_e32 v6, 7, v2
	v_lshrrev_b32_e32 v7, 3, v1
	v_cmp_gt_u32_e32 vcc, 8, v1
	v_ffbh_u32_e32 v1, v6
	v_min_u32_e32 v1, 32, v1
	v_subrev_u32_e32 v13, 28, v1
	v_lshlrev_b64 v[17:18], v13, v[2:3]
	v_sub_u32_e32 v1, 29, v1
	v_and_b32_e32 v13, 7, v17
	v_cndmask_b32_e32 v1, v7, v1, vcc
	v_cndmask_b32_e32 v6, v6, v13, vcc
	v_lshlrev_b32_e32 v2, 24, v2
	v_lshlrev_b32_e32 v6, 20, v6
	v_and_b32_e32 v2, 0x80000000, v2
	v_lshl_add_u32 v1, v1, 23, v0
	v_or3_b32 v17, v2, v1, v6
.LBB4_5036:                             ;   in Loop: Header=BB4_4388 Depth=3
	s_or_b64 exec, exec, s[34:35]
.LBB4_5037:                             ;   in Loop: Header=BB4_4388 Depth=3
	s_or_b64 exec, exec, s[30:31]
.LBB4_5038:                             ;   in Loop: Header=BB4_4388 Depth=3
	s_or_b64 exec, exec, s[28:29]
	v_cmp_lt_u64_e32 vcc, s[56:57], v[8:9]
	s_and_saveexec_b64 s[28:29], vcc
	s_cbranch_execz .LBB4_5044
; %bb.5039:                             ;   in Loop: Header=BB4_4388 Depth=3
	v_lshrrev_b32_e32 v2, 24, v9
	v_cmp_ne_u32_e32 vcc, s70, v2
	v_bfrev_b32_e32 v12, 1
	s_and_saveexec_b64 s[30:31], vcc
	s_cbranch_execz .LBB4_5043
; %bb.5040:                             ;   in Loop: Header=BB4_4388 Depth=3
	v_bfe_u32 v1, v9, 24, 7
	v_cmp_ne_u32_e32 vcc, s71, v1
	v_mov_b32_e32 v12, 0x7f800001
	s_and_saveexec_b64 s[34:35], vcc
	s_cbranch_execz .LBB4_5042
; %bb.5041:                             ;   in Loop: Header=BB4_4388 Depth=3
	v_and_b32_e32 v6, 7, v2
	v_lshrrev_b32_e32 v7, 3, v1
	v_cmp_gt_u32_e32 vcc, 8, v1
	v_ffbh_u32_e32 v1, v6
	v_min_u32_e32 v1, 32, v1
	v_subrev_u32_e32 v8, 28, v1
	v_lshlrev_b64 v[8:9], v8, v[2:3]
	v_sub_u32_e32 v1, 29, v1
	v_and_b32_e32 v8, 7, v8
	v_cndmask_b32_e32 v1, v7, v1, vcc
	v_cndmask_b32_e32 v6, v6, v8, vcc
	v_lshlrev_b32_e32 v2, 24, v2
	v_lshlrev_b32_e32 v6, 20, v6
	v_and_b32_e32 v2, 0x80000000, v2
	v_lshl_add_u32 v1, v1, 23, v0
	v_or3_b32 v12, v2, v1, v6
.LBB4_5042:                             ;   in Loop: Header=BB4_4388 Depth=3
	s_or_b64 exec, exec, s[34:35]
.LBB4_5043:                             ;   in Loop: Header=BB4_4388 Depth=3
	s_or_b64 exec, exec, s[30:31]
.LBB4_5044:                             ;   in Loop: Header=BB4_4388 Depth=3
	s_or_b64 exec, exec, s[28:29]
	v_mul_f32_e32 v8, v17, v12
	v_and_b32_e32 v2, 0x7f800000, v8
	v_cmp_ne_u64_e32 vcc, s[62:63], v[2:3]
                                        ; implicit-def: $vgpr17
	s_and_saveexec_b64 s[28:29], vcc
	s_xor_b64 s[30:31], exec, s[28:29]
	s_cbranch_execz .LBB4_5058
; %bb.5045:                             ;   in Loop: Header=BB4_4388 Depth=3
	v_and_b32_e32 v2, 0x7fffffff, v8
	v_cmp_gt_u64_e32 vcc, s[72:73], v[2:3]
	v_and_b32_sdwa v18, v8, s70 dst_sel:DWORD dst_unused:UNUSED_PAD src0_sel:BYTE_3 src1_sel:DWORD
                                        ; implicit-def: $vgpr17
	s_and_saveexec_b64 s[28:29], vcc
	s_xor_b64 s[34:35], exec, s[28:29]
	s_cbranch_execz .LBB4_5055
; %bb.5046:                             ;   in Loop: Header=BB4_4388 Depth=3
	v_mov_b32_e32 v17, 0
	v_cmp_ne_u32_e32 vcc, 0, v8
	s_and_saveexec_b64 s[36:37], vcc
	s_cbranch_execz .LBB4_5054
; %bb.5047:                             ;   in Loop: Header=BB4_4388 Depth=3
	v_bfe_u32 v17, v8, 23, 8
	v_cmp_gt_u32_e64 s[28:29], s80, v17
	v_sub_u32_e32 v2, 0x79, v17
	v_and_b32_e32 v1, 0x7fffff, v8
	v_cmp_eq_u32_e32 vcc, 0, v17
	v_cndmask_b32_e64 v2, 0, v2, s[28:29]
	v_mov_b32_e32 v7, 0x78
	v_or_b32_e32 v6, 0x800000, v1
	v_cndmask_b32_e32 v50, v2, v7, vcc
	v_cndmask_b32_e32 v2, v6, v1, vcc
	v_add_u32_e32 v1, 20, v50
	v_lshlrev_b64 v[8:9], v1, -1
	v_add_u32_e32 v1, 19, v50
	v_lshlrev_b64 v[12:13], v1, 1
	v_bfi_b32 v9, v9, 0, 0
	v_bfi_b32 v8, v8, 0, v2
	v_cmp_eq_u64_e64 s[28:29], v[8:9], v[12:13]
	v_lshrrev_b64 v[8:9], v50, v[2:3]
	v_mov_b32_e32 v13, v9
	v_mov_b32_e32 v12, v8
	s_and_saveexec_b64 s[38:39], s[28:29]
; %bb.5048:                             ;   in Loop: Header=BB4_4388 Depth=3
	v_bfe_u32 v1, v8, 20, 1
	v_add_co_u32_e64 v1, s[28:29], v8, v1
	v_add_co_u32_e64 v12, s[28:29], -1, v1
; %bb.5049:                             ;   in Loop: Header=BB4_4388 Depth=3
	s_or_b64 exec, exec, s[38:39]
	v_add_u32_e32 v1, 0xffffff81, v17
	v_mov_b32_e32 v2, 0xffffff82
	v_cndmask_b32_e32 v1, v1, v2, vcc
	v_lshrrev_b32_e32 v2, 23, v8
	v_add3_u32 v13, v50, v1, v2
	v_add_u32_e32 v6, 6, v13
	v_and_b32_e32 v1, 0xfffff, v12
	v_add_u32_e32 v2, v1, v8
	v_cmp_ne_u32_e32 vcc, 0, v6
                                        ; implicit-def: $vgpr8_vgpr9
                                        ; implicit-def: $vgpr1
	s_and_saveexec_b64 s[28:29], vcc
	s_xor_b64 s[28:29], exec, s[28:29]
; %bb.5050:                             ;   in Loop: Header=BB4_4388 Depth=3
	v_cmp_lt_u64_e32 vcc, s[88:89], v[2:3]
	v_add_u32_e32 v1, 7, v13
	v_cndmask_b32_e32 v1, v6, v1, vcc
	v_cndmask_b32_e64 v6, 0, 1, vcc
	v_lshrrev_b64 v[8:9], v6, v[2:3]
; %bb.5051:                             ;   in Loop: Header=BB4_4388 Depth=3
	s_andn2_saveexec_b64 s[28:29], s[28:29]
; %bb.5052:                             ;   in Loop: Header=BB4_4388 Depth=3
	v_mov_b32_e32 v9, v3
	v_bfe_u32 v1, v2, 23, 1
	v_mov_b32_e32 v8, v2
; %bb.5053:                             ;   in Loop: Header=BB4_4388 Depth=3
	s_or_b64 exec, exec, s[28:29]
	v_lshrrev_b64 v[8:9], 20, v[8:9]
	v_cmp_gt_i32_e32 vcc, 16, v1
	v_cndmask_b32_e32 v9, 0, v9, vcc
	v_cndmask_b32_e32 v8, 7, v8, vcc
	v_cmp_eq_u32_e32 vcc, 0, v1
	v_min_i32_e32 v1, 15, v1
	v_cmp_eq_u64_e64 s[28:29], 0, v[8:9]
	v_lshlrev_b32_e32 v1, 3, v1
	v_and_b32_e32 v1, 0xf8, v1
	v_and_or_b32 v1, v8, 7, v1
	s_and_b64 s[28:29], vcc, s[28:29]
	v_cndmask_b32_e64 v1, v1, 0, s[28:29]
	v_or_b32_e32 v17, v1, v18
.LBB4_5054:                             ;   in Loop: Header=BB4_4388 Depth=3
	s_or_b64 exec, exec, s[36:37]
                                        ; implicit-def: $vgpr18
.LBB4_5055:                             ;   in Loop: Header=BB4_4388 Depth=3
	s_andn2_saveexec_b64 s[28:29], s[34:35]
; %bb.5056:                             ;   in Loop: Header=BB4_4388 Depth=3
	v_or_b32_e32 v17, 0x7e, v18
; %bb.5057:                             ;   in Loop: Header=BB4_4388 Depth=3
	s_or_b64 exec, exec, s[28:29]
                                        ; implicit-def: $vgpr8
.LBB4_5058:                             ;   in Loop: Header=BB4_4388 Depth=3
	s_andn2_saveexec_b64 s[28:29], s[30:31]
; %bb.5059:                             ;   in Loop: Header=BB4_4388 Depth=3
	v_or_b32_sdwa v17, v8, s71 dst_sel:DWORD dst_unused:UNUSED_PAD src0_sel:BYTE_3 src1_sel:DWORD
; %bb.5060:                             ;   in Loop: Header=BB4_4388 Depth=3
	s_or_b64 exec, exec, s[28:29]
	v_cmp_ne_u16_sdwa s[44:45], v14, v3 src0_sel:BYTE_0 src1_sel:DWORD
	v_mov_b32_e32 v2, 0
	v_mov_b32_e32 v8, 0
	s_and_saveexec_b64 s[28:29], s[44:45]
	s_cbranch_execz .LBB4_5066
; %bb.5061:                             ;   in Loop: Header=BB4_4388 Depth=3
	v_cmp_ne_u16_sdwa s[44:45], v14, s70 src0_sel:BYTE_0 src1_sel:DWORD
	v_bfrev_b32_e32 v8, 1
	s_and_saveexec_b64 s[30:31], s[44:45]
	s_cbranch_execz .LBB4_5065
; %bb.5062:                             ;   in Loop: Header=BB4_4388 Depth=3
	v_and_b32_e32 v1, 0x7f, v14
	v_cmp_ne_u32_e32 vcc, s71, v1
	v_mov_b32_e32 v8, 0x7f800001
	s_and_saveexec_b64 s[34:35], vcc
	s_cbranch_execz .LBB4_5064
; %bb.5063:                             ;   in Loop: Header=BB4_4388 Depth=3
	v_and_b32_e32 v6, 7, v14
	v_lshrrev_b32_e32 v7, 3, v1
	v_cmp_gt_u32_e32 vcc, 8, v1
	v_ffbh_u32_e32 v1, v6
	v_min_u32_e32 v1, 32, v1
	v_subrev_u32_e32 v6, 28, v1
	v_cndmask_b32_e32 v6, 0, v6, vcc
	v_lshlrev_b64 v[8:9], v6, v[14:15]
	v_sub_u32_e32 v1, 29, v1
	v_cndmask_b32_e32 v1, v7, v1, vcc
	v_lshlrev_b32_e32 v6, 20, v8
	v_lshlrev_b32_e32 v7, 24, v14
	v_and_b32_e32 v6, 0x700000, v6
	v_and_b32_e32 v7, 0x80000000, v7
	v_lshl_add_u32 v1, v1, 23, v0
	v_or3_b32 v8, v7, v1, v6
.LBB4_5064:                             ;   in Loop: Header=BB4_4388 Depth=3
	s_or_b64 exec, exec, s[34:35]
.LBB4_5065:                             ;   in Loop: Header=BB4_4388 Depth=3
	s_or_b64 exec, exec, s[30:31]
.LBB4_5066:                             ;   in Loop: Header=BB4_4388 Depth=3
	s_or_b64 exec, exec, s[28:29]
	v_cmp_ne_u16_sdwa s[44:45], v10, v3 src0_sel:BYTE_0 src1_sel:DWORD
	s_and_saveexec_b64 s[28:29], s[44:45]
	s_cbranch_execz .LBB4_5072
; %bb.5067:                             ;   in Loop: Header=BB4_4388 Depth=3
	v_cmp_ne_u16_sdwa s[44:45], v10, s70 src0_sel:BYTE_0 src1_sel:DWORD
	v_bfrev_b32_e32 v2, 1
	s_and_saveexec_b64 s[30:31], s[44:45]
	s_cbranch_execz .LBB4_5071
; %bb.5068:                             ;   in Loop: Header=BB4_4388 Depth=3
	v_and_b32_e32 v1, 0x7f, v10
	v_cmp_ne_u32_e32 vcc, s71, v1
	v_mov_b32_e32 v2, 0x7f800001
	s_and_saveexec_b64 s[34:35], vcc
	s_cbranch_execz .LBB4_5070
; %bb.5069:                             ;   in Loop: Header=BB4_4388 Depth=3
	v_and_b32_e32 v2, 7, v10
	v_lshrrev_b32_e32 v6, 3, v1
	v_cmp_gt_u32_e32 vcc, 8, v1
	v_ffbh_u32_e32 v1, v2
	v_min_u32_e32 v1, 32, v1
	v_subrev_u32_e32 v2, 28, v1
	v_sub_u32_e32 v1, 29, v1
	v_cndmask_b32_e32 v6, v6, v1, vcc
	v_cndmask_b32_e32 v1, 0, v2, vcc
	v_lshlrev_b64 v[1:2], v1, v[10:11]
	v_lshlrev_b32_e32 v2, 24, v10
	v_lshlrev_b32_e32 v1, 20, v1
	v_and_b32_e32 v1, 0x700000, v1
	v_and_b32_e32 v2, 0x80000000, v2
	v_lshl_add_u32 v6, v6, 23, v0
	v_or3_b32 v2, v2, v6, v1
.LBB4_5070:                             ;   in Loop: Header=BB4_4388 Depth=3
	s_or_b64 exec, exec, s[34:35]
.LBB4_5071:                             ;   in Loop: Header=BB4_4388 Depth=3
	s_or_b64 exec, exec, s[30:31]
.LBB4_5072:                             ;   in Loop: Header=BB4_4388 Depth=3
	s_or_b64 exec, exec, s[28:29]
	v_mul_f32_e32 v8, v8, v2
	v_and_b32_e32 v2, 0x7f800000, v8
	v_cmp_ne_u64_e32 vcc, s[62:63], v[2:3]
                                        ; implicit-def: $vgpr18
	s_and_saveexec_b64 s[28:29], vcc
	s_xor_b64 s[30:31], exec, s[28:29]
	s_cbranch_execz .LBB4_5086
; %bb.5073:                             ;   in Loop: Header=BB4_4388 Depth=3
	v_and_b32_e32 v2, 0x7fffffff, v8
	v_cmp_gt_u64_e32 vcc, s[72:73], v[2:3]
	v_and_b32_sdwa v50, v8, s70 dst_sel:DWORD dst_unused:UNUSED_PAD src0_sel:BYTE_3 src1_sel:DWORD
                                        ; implicit-def: $vgpr18
	s_and_saveexec_b64 s[28:29], vcc
	s_xor_b64 s[34:35], exec, s[28:29]
	s_cbranch_execz .LBB4_5083
; %bb.5074:                             ;   in Loop: Header=BB4_4388 Depth=3
	v_mov_b32_e32 v18, 0
	v_cmp_ne_u32_e32 vcc, 0, v8
	s_and_saveexec_b64 s[36:37], vcc
	s_cbranch_execz .LBB4_5082
; %bb.5075:                             ;   in Loop: Header=BB4_4388 Depth=3
	v_bfe_u32 v18, v8, 23, 8
	v_cmp_gt_u32_e64 s[28:29], s80, v18
	v_sub_u32_e32 v2, 0x79, v18
	v_and_b32_e32 v1, 0x7fffff, v8
	v_cmp_eq_u32_e32 vcc, 0, v18
	v_cndmask_b32_e64 v2, 0, v2, s[28:29]
	v_mov_b32_e32 v7, 0x78
	v_or_b32_e32 v6, 0x800000, v1
	v_cndmask_b32_e32 v51, v2, v7, vcc
	v_cndmask_b32_e32 v2, v6, v1, vcc
	v_add_u32_e32 v1, 20, v51
	v_lshlrev_b64 v[8:9], v1, -1
	v_add_u32_e32 v1, 19, v51
	v_lshlrev_b64 v[12:13], v1, 1
	v_bfi_b32 v9, v9, 0, 0
	v_bfi_b32 v8, v8, 0, v2
	v_cmp_eq_u64_e64 s[28:29], v[8:9], v[12:13]
	v_lshrrev_b64 v[8:9], v51, v[2:3]
	v_mov_b32_e32 v13, v9
	v_mov_b32_e32 v12, v8
	s_and_saveexec_b64 s[38:39], s[28:29]
; %bb.5076:                             ;   in Loop: Header=BB4_4388 Depth=3
	v_bfe_u32 v1, v8, 20, 1
	v_add_co_u32_e64 v1, s[28:29], v8, v1
	v_add_co_u32_e64 v12, s[28:29], -1, v1
; %bb.5077:                             ;   in Loop: Header=BB4_4388 Depth=3
	s_or_b64 exec, exec, s[38:39]
	v_add_u32_e32 v1, 0xffffff81, v18
	v_mov_b32_e32 v2, 0xffffff82
	v_cndmask_b32_e32 v1, v1, v2, vcc
	v_lshrrev_b32_e32 v2, 23, v8
	v_add3_u32 v13, v51, v1, v2
	v_add_u32_e32 v6, 6, v13
	v_and_b32_e32 v1, 0xfffff, v12
	v_add_u32_e32 v2, v1, v8
	v_cmp_ne_u32_e32 vcc, 0, v6
                                        ; implicit-def: $vgpr8_vgpr9
                                        ; implicit-def: $vgpr1
	s_and_saveexec_b64 s[28:29], vcc
	s_xor_b64 s[28:29], exec, s[28:29]
; %bb.5078:                             ;   in Loop: Header=BB4_4388 Depth=3
	v_cmp_lt_u64_e32 vcc, s[88:89], v[2:3]
	v_add_u32_e32 v1, 7, v13
	v_cndmask_b32_e32 v1, v6, v1, vcc
	v_cndmask_b32_e64 v6, 0, 1, vcc
	v_lshrrev_b64 v[8:9], v6, v[2:3]
; %bb.5079:                             ;   in Loop: Header=BB4_4388 Depth=3
	s_andn2_saveexec_b64 s[28:29], s[28:29]
; %bb.5080:                             ;   in Loop: Header=BB4_4388 Depth=3
	v_mov_b32_e32 v9, v3
	v_bfe_u32 v1, v2, 23, 1
	v_mov_b32_e32 v8, v2
; %bb.5081:                             ;   in Loop: Header=BB4_4388 Depth=3
	s_or_b64 exec, exec, s[28:29]
	v_lshrrev_b64 v[8:9], 20, v[8:9]
	v_cmp_gt_i32_e32 vcc, 16, v1
	v_cndmask_b32_e32 v9, 0, v9, vcc
	v_cndmask_b32_e32 v8, 7, v8, vcc
	v_cmp_eq_u32_e32 vcc, 0, v1
	v_min_i32_e32 v1, 15, v1
	v_cmp_eq_u64_e64 s[28:29], 0, v[8:9]
	v_lshlrev_b32_e32 v1, 3, v1
	v_and_b32_e32 v1, 0xf8, v1
	v_and_or_b32 v1, v8, 7, v1
	s_and_b64 s[28:29], vcc, s[28:29]
	v_cndmask_b32_e64 v1, v1, 0, s[28:29]
	v_or_b32_e32 v18, v1, v50
.LBB4_5082:                             ;   in Loop: Header=BB4_4388 Depth=3
	s_or_b64 exec, exec, s[36:37]
                                        ; implicit-def: $vgpr50
.LBB4_5083:                             ;   in Loop: Header=BB4_4388 Depth=3
	s_andn2_saveexec_b64 s[28:29], s[34:35]
; %bb.5084:                             ;   in Loop: Header=BB4_4388 Depth=3
	v_or_b32_e32 v18, 0x7e, v50
; %bb.5085:                             ;   in Loop: Header=BB4_4388 Depth=3
	s_or_b64 exec, exec, s[28:29]
                                        ; implicit-def: $vgpr8
.LBB4_5086:                             ;   in Loop: Header=BB4_4388 Depth=3
	s_andn2_saveexec_b64 s[28:29], s[30:31]
; %bb.5087:                             ;   in Loop: Header=BB4_4388 Depth=3
	v_or_b32_sdwa v18, v8, s71 dst_sel:DWORD dst_unused:UNUSED_PAD src0_sel:BYTE_3 src1_sel:DWORD
; %bb.5088:                             ;   in Loop: Header=BB4_4388 Depth=3
	s_or_b64 exec, exec, s[28:29]
	v_lshrrev_b16_e32 v2, 8, v14
	v_cmp_ne_u16_e32 vcc, 0, v2
	v_mov_b32_e32 v8, 0
	v_mov_b32_e32 v9, 0
	s_and_saveexec_b64 s[28:29], vcc
	s_cbranch_execz .LBB4_5094
; %bb.5089:                             ;   in Loop: Header=BB4_4388 Depth=3
	v_cmp_ne_u16_e32 vcc, s70, v2
	v_bfrev_b32_e32 v9, 1
	s_and_saveexec_b64 s[30:31], vcc
	s_cbranch_execz .LBB4_5093
; %bb.5090:                             ;   in Loop: Header=BB4_4388 Depth=3
	v_and_b32_e32 v1, 0x7f, v2
	v_cmp_ne_u32_e32 vcc, s71, v1
	v_mov_b32_e32 v9, 0x7f800001
	s_and_saveexec_b64 s[34:35], vcc
	s_cbranch_execz .LBB4_5092
; %bb.5091:                             ;   in Loop: Header=BB4_4388 Depth=3
	v_and_b32_e32 v6, 7, v2
	v_lshrrev_b32_e32 v7, 3, v1
	v_cmp_gt_u32_e32 vcc, 8, v1
	v_ffbh_u32_e32 v1, v6
	v_min_u32_e32 v9, 32, v1
	v_subrev_u32_e32 v1, 28, v9
	v_lshlrev_b64 v[1:2], v1, v[2:3]
	v_sub_u32_e32 v2, 29, v9
	v_and_b32_e32 v1, 7, v1
	v_cndmask_b32_e32 v2, v7, v2, vcc
	v_cndmask_b32_e32 v1, v6, v1, vcc
	v_lshlrev_b32_e32 v6, 16, v14
	v_lshlrev_b32_e32 v1, 20, v1
	v_and_b32_e32 v6, 0x80000000, v6
	v_lshl_add_u32 v2, v2, 23, v0
	v_or3_b32 v9, v6, v2, v1
.LBB4_5092:                             ;   in Loop: Header=BB4_4388 Depth=3
	s_or_b64 exec, exec, s[34:35]
.LBB4_5093:                             ;   in Loop: Header=BB4_4388 Depth=3
	s_or_b64 exec, exec, s[30:31]
.LBB4_5094:                             ;   in Loop: Header=BB4_4388 Depth=3
	s_or_b64 exec, exec, s[28:29]
	v_lshrrev_b16_e32 v2, 8, v10
	v_cmp_ne_u16_e32 vcc, 0, v2
	s_and_saveexec_b64 s[28:29], vcc
	s_cbranch_execz .LBB4_5100
; %bb.5095:                             ;   in Loop: Header=BB4_4388 Depth=3
	v_cmp_ne_u16_e32 vcc, s70, v2
	v_bfrev_b32_e32 v8, 1
	s_and_saveexec_b64 s[30:31], vcc
	s_cbranch_execz .LBB4_5099
; %bb.5096:                             ;   in Loop: Header=BB4_4388 Depth=3
	v_and_b32_e32 v1, 0x7f, v2
	v_cmp_ne_u32_e32 vcc, s71, v1
	v_mov_b32_e32 v8, 0x7f800001
	s_and_saveexec_b64 s[34:35], vcc
	s_cbranch_execz .LBB4_5098
; %bb.5097:                             ;   in Loop: Header=BB4_4388 Depth=3
	v_and_b32_e32 v6, 7, v2
	v_lshrrev_b32_e32 v7, 3, v1
	v_cmp_gt_u32_e32 vcc, 8, v1
	v_ffbh_u32_e32 v1, v6
	v_min_u32_e32 v8, 32, v1
	v_subrev_u32_e32 v1, 28, v8
	v_lshlrev_b64 v[1:2], v1, v[2:3]
	v_sub_u32_e32 v2, 29, v8
	v_and_b32_e32 v1, 7, v1
	v_cndmask_b32_e32 v2, v7, v2, vcc
	v_cndmask_b32_e32 v1, v6, v1, vcc
	v_lshlrev_b32_e32 v6, 16, v10
	v_lshlrev_b32_e32 v1, 20, v1
	v_and_b32_e32 v6, 0x80000000, v6
	v_lshl_add_u32 v2, v2, 23, v0
	v_or3_b32 v8, v6, v2, v1
.LBB4_5098:                             ;   in Loop: Header=BB4_4388 Depth=3
	s_or_b64 exec, exec, s[34:35]
.LBB4_5099:                             ;   in Loop: Header=BB4_4388 Depth=3
	s_or_b64 exec, exec, s[30:31]
.LBB4_5100:                             ;   in Loop: Header=BB4_4388 Depth=3
	s_or_b64 exec, exec, s[28:29]
	v_mul_f32_e32 v8, v9, v8
	v_and_b32_e32 v2, 0x7f800000, v8
	v_cmp_ne_u64_e32 vcc, s[62:63], v[2:3]
                                        ; implicit-def: $vgpr60
	s_and_saveexec_b64 s[28:29], vcc
	s_xor_b64 s[30:31], exec, s[28:29]
	s_cbranch_execz .LBB4_5114
; %bb.5101:                             ;   in Loop: Header=BB4_4388 Depth=3
	v_and_b32_e32 v2, 0x7fffffff, v8
	v_cmp_gt_u64_e32 vcc, s[72:73], v[2:3]
	v_and_b32_sdwa v50, v8, s70 dst_sel:DWORD dst_unused:UNUSED_PAD src0_sel:BYTE_3 src1_sel:DWORD
                                        ; implicit-def: $vgpr60
	s_and_saveexec_b64 s[28:29], vcc
	s_xor_b64 s[34:35], exec, s[28:29]
	s_cbranch_execz .LBB4_5111
; %bb.5102:                             ;   in Loop: Header=BB4_4388 Depth=3
	v_mov_b32_e32 v60, 0
	v_cmp_ne_u32_e32 vcc, 0, v8
	s_and_saveexec_b64 s[36:37], vcc
	s_cbranch_execz .LBB4_5110
; %bb.5103:                             ;   in Loop: Header=BB4_4388 Depth=3
	v_bfe_u32 v51, v8, 23, 8
	v_cmp_gt_u32_e64 s[28:29], s80, v51
	v_sub_u32_e32 v2, 0x79, v51
	v_and_b32_e32 v1, 0x7fffff, v8
	v_cmp_eq_u32_e32 vcc, 0, v51
	v_cndmask_b32_e64 v2, 0, v2, s[28:29]
	v_mov_b32_e32 v7, 0x78
	v_or_b32_e32 v6, 0x800000, v1
	v_cndmask_b32_e32 v43, v2, v7, vcc
	v_cndmask_b32_e32 v2, v6, v1, vcc
	v_add_u32_e32 v1, 20, v43
	v_lshlrev_b64 v[8:9], v1, -1
	v_add_u32_e32 v1, 19, v43
	v_lshlrev_b64 v[12:13], v1, 1
	v_bfi_b32 v9, v9, 0, 0
	v_bfi_b32 v8, v8, 0, v2
	v_cmp_eq_u64_e64 s[28:29], v[8:9], v[12:13]
	v_lshrrev_b64 v[8:9], v43, v[2:3]
	v_mov_b32_e32 v13, v9
	v_mov_b32_e32 v12, v8
	s_and_saveexec_b64 s[38:39], s[28:29]
; %bb.5104:                             ;   in Loop: Header=BB4_4388 Depth=3
	v_bfe_u32 v1, v8, 20, 1
	v_add_co_u32_e64 v1, s[28:29], v8, v1
	v_add_co_u32_e64 v12, s[28:29], -1, v1
; %bb.5105:                             ;   in Loop: Header=BB4_4388 Depth=3
	s_or_b64 exec, exec, s[38:39]
	v_add_u32_e32 v1, 0xffffff81, v51
	v_mov_b32_e32 v2, 0xffffff82
	v_cndmask_b32_e32 v1, v1, v2, vcc
	v_lshrrev_b32_e32 v2, 23, v8
	v_add3_u32 v13, v43, v1, v2
	v_add_u32_e32 v6, 6, v13
	v_and_b32_e32 v1, 0xfffff, v12
	v_add_u32_e32 v2, v1, v8
	v_cmp_ne_u32_e32 vcc, 0, v6
                                        ; implicit-def: $vgpr8_vgpr9
                                        ; implicit-def: $vgpr1
	s_and_saveexec_b64 s[28:29], vcc
	s_xor_b64 s[28:29], exec, s[28:29]
; %bb.5106:                             ;   in Loop: Header=BB4_4388 Depth=3
	v_cmp_lt_u64_e32 vcc, s[88:89], v[2:3]
	v_add_u32_e32 v1, 7, v13
	v_cndmask_b32_e32 v1, v6, v1, vcc
	v_cndmask_b32_e64 v6, 0, 1, vcc
	v_lshrrev_b64 v[8:9], v6, v[2:3]
; %bb.5107:                             ;   in Loop: Header=BB4_4388 Depth=3
	s_andn2_saveexec_b64 s[28:29], s[28:29]
; %bb.5108:                             ;   in Loop: Header=BB4_4388 Depth=3
	v_mov_b32_e32 v9, v3
	v_bfe_u32 v1, v2, 23, 1
	v_mov_b32_e32 v8, v2
; %bb.5109:                             ;   in Loop: Header=BB4_4388 Depth=3
	s_or_b64 exec, exec, s[28:29]
	v_lshrrev_b64 v[8:9], 20, v[8:9]
	v_cmp_gt_i32_e32 vcc, 16, v1
	v_cndmask_b32_e32 v9, 0, v9, vcc
	v_cndmask_b32_e32 v8, 7, v8, vcc
	v_cmp_eq_u32_e32 vcc, 0, v1
	v_min_i32_e32 v1, 15, v1
	v_cmp_eq_u64_e64 s[28:29], 0, v[8:9]
	v_lshlrev_b32_e32 v1, 3, v1
	v_and_b32_e32 v1, 0xf8, v1
	v_and_or_b32 v1, v8, 7, v1
	s_and_b64 s[28:29], vcc, s[28:29]
	v_cndmask_b32_e64 v1, v1, 0, s[28:29]
	v_or_b32_e32 v60, v1, v50
.LBB4_5110:                             ;   in Loop: Header=BB4_4388 Depth=3
	s_or_b64 exec, exec, s[36:37]
                                        ; implicit-def: $vgpr50
.LBB4_5111:                             ;   in Loop: Header=BB4_4388 Depth=3
	s_andn2_saveexec_b64 s[28:29], s[34:35]
; %bb.5112:                             ;   in Loop: Header=BB4_4388 Depth=3
	v_or_b32_e32 v60, 0x7e, v50
; %bb.5113:                             ;   in Loop: Header=BB4_4388 Depth=3
	s_or_b64 exec, exec, s[28:29]
                                        ; implicit-def: $vgpr8
.LBB4_5114:                             ;   in Loop: Header=BB4_4388 Depth=3
	s_andn2_saveexec_b64 s[28:29], s[30:31]
; %bb.5115:                             ;   in Loop: Header=BB4_4388 Depth=3
	v_or_b32_sdwa v60, v8, s71 dst_sel:DWORD dst_unused:UNUSED_PAD src0_sel:BYTE_3 src1_sel:DWORD
; %bb.5116:                             ;   in Loop: Header=BB4_4388 Depth=3
	s_or_b64 exec, exec, s[28:29]
	v_lshrrev_b32_e32 v2, 16, v14
	v_cmp_ne_u16_sdwa s[44:45], v2, v3 src0_sel:BYTE_0 src1_sel:DWORD
	v_mov_b32_e32 v8, 0
	v_mov_b32_e32 v9, 0
	s_and_saveexec_b64 s[28:29], s[44:45]
	s_cbranch_execz .LBB4_5122
; %bb.5117:                             ;   in Loop: Header=BB4_4388 Depth=3
	v_cmp_ne_u16_sdwa s[44:45], v2, s70 src0_sel:BYTE_0 src1_sel:DWORD
	v_bfrev_b32_e32 v9, 1
	s_and_saveexec_b64 s[30:31], s[44:45]
	s_cbranch_execz .LBB4_5121
; %bb.5118:                             ;   in Loop: Header=BB4_4388 Depth=3
	v_bfe_u32 v1, v14, 16, 7
	v_cmp_ne_u32_e32 vcc, s71, v1
	v_mov_b32_e32 v9, 0x7f800001
	s_and_saveexec_b64 s[34:35], vcc
	s_cbranch_execz .LBB4_5120
; %bb.5119:                             ;   in Loop: Header=BB4_4388 Depth=3
	v_and_b32_e32 v6, 7, v2
	v_lshrrev_b32_e32 v7, 3, v1
	v_cmp_gt_u32_e32 vcc, 8, v1
	v_ffbh_u32_e32 v1, v6
	v_min_u32_e32 v1, 32, v1
	v_subrev_u32_e32 v9, 28, v1
	v_lshlrev_b64 v[12:13], v9, v[2:3]
	v_sub_u32_e32 v1, 29, v1
	v_and_b32_e32 v9, 7, v12
	v_cndmask_b32_e32 v1, v7, v1, vcc
	v_cndmask_b32_e32 v6, v6, v9, vcc
	v_lshlrev_b32_e32 v2, 24, v2
	v_lshlrev_b32_e32 v6, 20, v6
	v_and_b32_e32 v2, 0x80000000, v2
	v_lshl_add_u32 v1, v1, 23, v0
	v_or3_b32 v9, v2, v1, v6
.LBB4_5120:                             ;   in Loop: Header=BB4_4388 Depth=3
	s_or_b64 exec, exec, s[34:35]
.LBB4_5121:                             ;   in Loop: Header=BB4_4388 Depth=3
	s_or_b64 exec, exec, s[30:31]
.LBB4_5122:                             ;   in Loop: Header=BB4_4388 Depth=3
	s_or_b64 exec, exec, s[28:29]
	v_lshrrev_b32_e32 v2, 16, v10
	v_cmp_ne_u16_sdwa s[44:45], v2, v3 src0_sel:BYTE_0 src1_sel:DWORD
	s_and_saveexec_b64 s[28:29], s[44:45]
	s_cbranch_execz .LBB4_5128
; %bb.5123:                             ;   in Loop: Header=BB4_4388 Depth=3
	v_cmp_ne_u16_sdwa s[44:45], v2, s70 src0_sel:BYTE_0 src1_sel:DWORD
	v_bfrev_b32_e32 v8, 1
	s_and_saveexec_b64 s[30:31], s[44:45]
	s_cbranch_execz .LBB4_5127
; %bb.5124:                             ;   in Loop: Header=BB4_4388 Depth=3
	v_bfe_u32 v1, v10, 16, 7
	v_cmp_ne_u32_e32 vcc, s71, v1
	v_mov_b32_e32 v8, 0x7f800001
	s_and_saveexec_b64 s[34:35], vcc
	s_cbranch_execz .LBB4_5126
; %bb.5125:                             ;   in Loop: Header=BB4_4388 Depth=3
	v_and_b32_e32 v6, 7, v2
	v_lshrrev_b32_e32 v7, 3, v1
	v_cmp_gt_u32_e32 vcc, 8, v1
	v_ffbh_u32_e32 v1, v6
	v_min_u32_e32 v8, 32, v1
	v_subrev_u32_e32 v1, 28, v8
	v_lshlrev_b64 v[1:2], v1, v[2:3]
	v_sub_u32_e32 v2, 29, v8
	v_and_b32_e32 v1, 7, v1
	v_cndmask_b32_e32 v2, v7, v2, vcc
	v_cndmask_b32_e32 v1, v6, v1, vcc
	v_lshlrev_b32_e32 v6, 8, v10
	v_lshlrev_b32_e32 v1, 20, v1
	v_and_b32_e32 v6, 0x80000000, v6
	v_lshl_add_u32 v2, v2, 23, v0
	v_or3_b32 v8, v6, v2, v1
.LBB4_5126:                             ;   in Loop: Header=BB4_4388 Depth=3
	s_or_b64 exec, exec, s[34:35]
.LBB4_5127:                             ;   in Loop: Header=BB4_4388 Depth=3
	s_or_b64 exec, exec, s[30:31]
.LBB4_5128:                             ;   in Loop: Header=BB4_4388 Depth=3
	s_or_b64 exec, exec, s[28:29]
	v_mul_f32_e32 v8, v9, v8
	v_and_b32_e32 v2, 0x7f800000, v8
	v_cmp_ne_u64_e32 vcc, s[62:63], v[2:3]
                                        ; implicit-def: $vgpr61
	s_and_saveexec_b64 s[28:29], vcc
	s_xor_b64 s[30:31], exec, s[28:29]
	s_cbranch_execz .LBB4_5142
; %bb.5129:                             ;   in Loop: Header=BB4_4388 Depth=3
	v_and_b32_e32 v2, 0x7fffffff, v8
	v_cmp_gt_u64_e32 vcc, s[72:73], v[2:3]
	v_and_b32_sdwa v50, v8, s70 dst_sel:DWORD dst_unused:UNUSED_PAD src0_sel:BYTE_3 src1_sel:DWORD
                                        ; implicit-def: $vgpr61
	s_and_saveexec_b64 s[28:29], vcc
	s_xor_b64 s[34:35], exec, s[28:29]
	s_cbranch_execz .LBB4_5139
; %bb.5130:                             ;   in Loop: Header=BB4_4388 Depth=3
	v_mov_b32_e32 v61, 0
	v_cmp_ne_u32_e32 vcc, 0, v8
	s_and_saveexec_b64 s[36:37], vcc
	s_cbranch_execz .LBB4_5138
; %bb.5131:                             ;   in Loop: Header=BB4_4388 Depth=3
	v_bfe_u32 v51, v8, 23, 8
	v_cmp_gt_u32_e64 s[28:29], s80, v51
	v_sub_u32_e32 v2, 0x79, v51
	v_and_b32_e32 v1, 0x7fffff, v8
	v_cmp_eq_u32_e32 vcc, 0, v51
	v_cndmask_b32_e64 v2, 0, v2, s[28:29]
	v_mov_b32_e32 v7, 0x78
	v_or_b32_e32 v6, 0x800000, v1
	v_cndmask_b32_e32 v43, v2, v7, vcc
	v_cndmask_b32_e32 v2, v6, v1, vcc
	v_add_u32_e32 v1, 20, v43
	v_lshlrev_b64 v[8:9], v1, -1
	v_add_u32_e32 v1, 19, v43
	v_lshlrev_b64 v[12:13], v1, 1
	v_bfi_b32 v9, v9, 0, 0
	v_bfi_b32 v8, v8, 0, v2
	v_cmp_eq_u64_e64 s[28:29], v[8:9], v[12:13]
	v_lshrrev_b64 v[8:9], v43, v[2:3]
	v_mov_b32_e32 v13, v9
	v_mov_b32_e32 v12, v8
	s_and_saveexec_b64 s[38:39], s[28:29]
; %bb.5132:                             ;   in Loop: Header=BB4_4388 Depth=3
	v_bfe_u32 v1, v8, 20, 1
	v_add_co_u32_e64 v1, s[28:29], v8, v1
	v_add_co_u32_e64 v12, s[28:29], -1, v1
; %bb.5133:                             ;   in Loop: Header=BB4_4388 Depth=3
	s_or_b64 exec, exec, s[38:39]
	v_add_u32_e32 v1, 0xffffff81, v51
	v_mov_b32_e32 v2, 0xffffff82
	v_cndmask_b32_e32 v1, v1, v2, vcc
	v_lshrrev_b32_e32 v2, 23, v8
	v_add3_u32 v13, v43, v1, v2
	v_add_u32_e32 v6, 6, v13
	v_and_b32_e32 v1, 0xfffff, v12
	v_add_u32_e32 v2, v1, v8
	v_cmp_ne_u32_e32 vcc, 0, v6
                                        ; implicit-def: $vgpr8_vgpr9
                                        ; implicit-def: $vgpr1
	s_and_saveexec_b64 s[28:29], vcc
	s_xor_b64 s[28:29], exec, s[28:29]
; %bb.5134:                             ;   in Loop: Header=BB4_4388 Depth=3
	v_cmp_lt_u64_e32 vcc, s[88:89], v[2:3]
	v_add_u32_e32 v1, 7, v13
	v_cndmask_b32_e32 v1, v6, v1, vcc
	v_cndmask_b32_e64 v6, 0, 1, vcc
	v_lshrrev_b64 v[8:9], v6, v[2:3]
; %bb.5135:                             ;   in Loop: Header=BB4_4388 Depth=3
	s_andn2_saveexec_b64 s[28:29], s[28:29]
; %bb.5136:                             ;   in Loop: Header=BB4_4388 Depth=3
	v_mov_b32_e32 v9, v3
	v_bfe_u32 v1, v2, 23, 1
	v_mov_b32_e32 v8, v2
; %bb.5137:                             ;   in Loop: Header=BB4_4388 Depth=3
	s_or_b64 exec, exec, s[28:29]
	v_lshrrev_b64 v[8:9], 20, v[8:9]
	v_cmp_gt_i32_e32 vcc, 16, v1
	v_cndmask_b32_e32 v9, 0, v9, vcc
	v_cndmask_b32_e32 v8, 7, v8, vcc
	v_cmp_eq_u32_e32 vcc, 0, v1
	v_min_i32_e32 v1, 15, v1
	v_cmp_eq_u64_e64 s[28:29], 0, v[8:9]
	v_lshlrev_b32_e32 v1, 3, v1
	v_and_b32_e32 v1, 0xf8, v1
	v_and_or_b32 v1, v8, 7, v1
	s_and_b64 s[28:29], vcc, s[28:29]
	v_cndmask_b32_e64 v1, v1, 0, s[28:29]
	v_or_b32_e32 v61, v1, v50
.LBB4_5138:                             ;   in Loop: Header=BB4_4388 Depth=3
	s_or_b64 exec, exec, s[36:37]
                                        ; implicit-def: $vgpr50
.LBB4_5139:                             ;   in Loop: Header=BB4_4388 Depth=3
	s_andn2_saveexec_b64 s[28:29], s[34:35]
; %bb.5140:                             ;   in Loop: Header=BB4_4388 Depth=3
	v_or_b32_e32 v61, 0x7e, v50
; %bb.5141:                             ;   in Loop: Header=BB4_4388 Depth=3
	s_or_b64 exec, exec, s[28:29]
                                        ; implicit-def: $vgpr8
.LBB4_5142:                             ;   in Loop: Header=BB4_4388 Depth=3
	s_andn2_saveexec_b64 s[28:29], s[30:31]
; %bb.5143:                             ;   in Loop: Header=BB4_4388 Depth=3
	v_or_b32_sdwa v61, v8, s71 dst_sel:DWORD dst_unused:UNUSED_PAD src0_sel:BYTE_3 src1_sel:DWORD
; %bb.5144:                             ;   in Loop: Header=BB4_4388 Depth=3
	s_or_b64 exec, exec, s[28:29]
	v_cmp_lt_u32_e32 vcc, s57, v14
	v_mov_b32_e32 v8, 0
	v_mov_b32_e32 v9, 0
	s_and_saveexec_b64 s[28:29], vcc
	s_cbranch_execz .LBB4_5150
; %bb.5145:                             ;   in Loop: Header=BB4_4388 Depth=3
	v_lshrrev_b32_e32 v2, 24, v14
	v_cmp_ne_u32_e32 vcc, s70, v2
	v_bfrev_b32_e32 v9, 1
	s_and_saveexec_b64 s[30:31], vcc
	s_cbranch_execz .LBB4_5149
; %bb.5146:                             ;   in Loop: Header=BB4_4388 Depth=3
	v_bfe_u32 v1, v14, 24, 7
	v_cmp_ne_u32_e32 vcc, s71, v1
	v_mov_b32_e32 v9, 0x7f800001
	s_and_saveexec_b64 s[34:35], vcc
	s_cbranch_execz .LBB4_5148
; %bb.5147:                             ;   in Loop: Header=BB4_4388 Depth=3
	v_and_b32_e32 v6, 7, v2
	v_lshrrev_b32_e32 v7, 3, v1
	v_cmp_gt_u32_e32 vcc, 8, v1
	v_ffbh_u32_e32 v1, v6
	v_min_u32_e32 v1, 32, v1
	v_subrev_u32_e32 v9, 28, v1
	v_lshlrev_b64 v[12:13], v9, v[2:3]
	v_sub_u32_e32 v1, 29, v1
	v_and_b32_e32 v9, 7, v12
	v_cndmask_b32_e32 v1, v7, v1, vcc
	v_cndmask_b32_e32 v6, v6, v9, vcc
	v_lshlrev_b32_e32 v2, 24, v2
	v_lshlrev_b32_e32 v6, 20, v6
	v_and_b32_e32 v2, 0x80000000, v2
	v_lshl_add_u32 v1, v1, 23, v0
	v_or3_b32 v9, v2, v1, v6
.LBB4_5148:                             ;   in Loop: Header=BB4_4388 Depth=3
	s_or_b64 exec, exec, s[34:35]
.LBB4_5149:                             ;   in Loop: Header=BB4_4388 Depth=3
	s_or_b64 exec, exec, s[30:31]
.LBB4_5150:                             ;   in Loop: Header=BB4_4388 Depth=3
	s_or_b64 exec, exec, s[28:29]
	v_cmp_lt_u32_e32 vcc, s57, v10
	s_and_saveexec_b64 s[28:29], vcc
	s_cbranch_execz .LBB4_5156
; %bb.5151:                             ;   in Loop: Header=BB4_4388 Depth=3
	v_lshrrev_b32_e32 v2, 24, v10
	v_cmp_ne_u32_e32 vcc, s70, v2
	v_bfrev_b32_e32 v8, 1
	s_and_saveexec_b64 s[30:31], vcc
	s_cbranch_execz .LBB4_5155
; %bb.5152:                             ;   in Loop: Header=BB4_4388 Depth=3
	v_bfe_u32 v1, v10, 24, 7
	v_cmp_ne_u32_e32 vcc, s71, v1
	v_mov_b32_e32 v8, 0x7f800001
	s_and_saveexec_b64 s[34:35], vcc
	s_cbranch_execz .LBB4_5154
; %bb.5153:                             ;   in Loop: Header=BB4_4388 Depth=3
	v_and_b32_e32 v6, 7, v2
	v_lshrrev_b32_e32 v7, 3, v1
	v_cmp_gt_u32_e32 vcc, 8, v1
	v_ffbh_u32_e32 v1, v6
	v_min_u32_e32 v1, 32, v1
	v_subrev_u32_e32 v8, 28, v1
	v_lshlrev_b64 v[12:13], v8, v[2:3]
	v_sub_u32_e32 v1, 29, v1
	v_and_b32_e32 v8, 7, v12
	v_cndmask_b32_e32 v1, v7, v1, vcc
	v_cndmask_b32_e32 v6, v6, v8, vcc
	v_lshlrev_b32_e32 v2, 24, v2
	v_lshlrev_b32_e32 v6, 20, v6
	v_and_b32_e32 v2, 0x80000000, v2
	v_lshl_add_u32 v1, v1, 23, v0
	v_or3_b32 v8, v2, v1, v6
.LBB4_5154:                             ;   in Loop: Header=BB4_4388 Depth=3
	s_or_b64 exec, exec, s[34:35]
.LBB4_5155:                             ;   in Loop: Header=BB4_4388 Depth=3
	s_or_b64 exec, exec, s[30:31]
.LBB4_5156:                             ;   in Loop: Header=BB4_4388 Depth=3
	s_or_b64 exec, exec, s[28:29]
	v_mul_f32_e32 v8, v9, v8
	v_and_b32_e32 v2, 0x7f800000, v8
	v_cmp_ne_u64_e32 vcc, s[62:63], v[2:3]
                                        ; implicit-def: $vgpr51
	s_and_saveexec_b64 s[28:29], vcc
	s_xor_b64 s[30:31], exec, s[28:29]
	s_cbranch_execz .LBB4_5170
; %bb.5157:                             ;   in Loop: Header=BB4_4388 Depth=3
	v_and_b32_e32 v2, 0x7fffffff, v8
	v_cmp_gt_u64_e32 vcc, s[72:73], v[2:3]
	v_and_b32_sdwa v50, v8, s70 dst_sel:DWORD dst_unused:UNUSED_PAD src0_sel:BYTE_3 src1_sel:DWORD
                                        ; implicit-def: $vgpr51
	s_and_saveexec_b64 s[28:29], vcc
	s_xor_b64 s[34:35], exec, s[28:29]
	s_cbranch_execz .LBB4_5167
; %bb.5158:                             ;   in Loop: Header=BB4_4388 Depth=3
	v_mov_b32_e32 v51, 0
	v_cmp_ne_u32_e32 vcc, 0, v8
	s_and_saveexec_b64 s[36:37], vcc
	s_cbranch_execz .LBB4_5166
; %bb.5159:                             ;   in Loop: Header=BB4_4388 Depth=3
	v_bfe_u32 v51, v8, 23, 8
	v_cmp_gt_u32_e64 s[28:29], s80, v51
	v_sub_u32_e32 v2, 0x79, v51
	v_and_b32_e32 v1, 0x7fffff, v8
	v_cmp_eq_u32_e32 vcc, 0, v51
	v_cndmask_b32_e64 v2, 0, v2, s[28:29]
	v_mov_b32_e32 v7, 0x78
	v_or_b32_e32 v6, 0x800000, v1
	v_cndmask_b32_e32 v43, v2, v7, vcc
	v_cndmask_b32_e32 v2, v6, v1, vcc
	v_add_u32_e32 v1, 20, v43
	v_lshlrev_b64 v[8:9], v1, -1
	v_add_u32_e32 v1, 19, v43
	v_lshlrev_b64 v[12:13], v1, 1
	v_bfi_b32 v9, v9, 0, 0
	v_bfi_b32 v8, v8, 0, v2
	v_cmp_eq_u64_e64 s[28:29], v[8:9], v[12:13]
	v_lshrrev_b64 v[8:9], v43, v[2:3]
	v_mov_b32_e32 v13, v9
	v_mov_b32_e32 v12, v8
	s_and_saveexec_b64 s[38:39], s[28:29]
; %bb.5160:                             ;   in Loop: Header=BB4_4388 Depth=3
	v_bfe_u32 v1, v8, 20, 1
	v_add_co_u32_e64 v1, s[28:29], v8, v1
	v_add_co_u32_e64 v12, s[28:29], -1, v1
; %bb.5161:                             ;   in Loop: Header=BB4_4388 Depth=3
	s_or_b64 exec, exec, s[38:39]
	v_add_u32_e32 v1, 0xffffff81, v51
	v_mov_b32_e32 v2, 0xffffff82
	v_cndmask_b32_e32 v1, v1, v2, vcc
	v_lshrrev_b32_e32 v2, 23, v8
	v_add3_u32 v13, v43, v1, v2
	v_add_u32_e32 v6, 6, v13
	v_and_b32_e32 v1, 0xfffff, v12
	v_add_u32_e32 v2, v1, v8
	v_cmp_ne_u32_e32 vcc, 0, v6
                                        ; implicit-def: $vgpr8_vgpr9
                                        ; implicit-def: $vgpr1
	s_and_saveexec_b64 s[28:29], vcc
	s_xor_b64 s[28:29], exec, s[28:29]
; %bb.5162:                             ;   in Loop: Header=BB4_4388 Depth=3
	v_cmp_lt_u64_e32 vcc, s[88:89], v[2:3]
	v_add_u32_e32 v1, 7, v13
	v_cndmask_b32_e32 v1, v6, v1, vcc
	v_cndmask_b32_e64 v6, 0, 1, vcc
	v_lshrrev_b64 v[8:9], v6, v[2:3]
; %bb.5163:                             ;   in Loop: Header=BB4_4388 Depth=3
	s_andn2_saveexec_b64 s[28:29], s[28:29]
; %bb.5164:                             ;   in Loop: Header=BB4_4388 Depth=3
	v_mov_b32_e32 v9, v3
	v_bfe_u32 v1, v2, 23, 1
	v_mov_b32_e32 v8, v2
; %bb.5165:                             ;   in Loop: Header=BB4_4388 Depth=3
	s_or_b64 exec, exec, s[28:29]
	v_lshrrev_b64 v[8:9], 20, v[8:9]
	v_cmp_gt_i32_e32 vcc, 16, v1
	v_cndmask_b32_e32 v9, 0, v9, vcc
	v_cndmask_b32_e32 v8, 7, v8, vcc
	v_cmp_eq_u32_e32 vcc, 0, v1
	v_min_i32_e32 v1, 15, v1
	v_cmp_eq_u64_e64 s[28:29], 0, v[8:9]
	v_lshlrev_b32_e32 v1, 3, v1
	v_and_b32_e32 v1, 0xf8, v1
	v_and_or_b32 v1, v8, 7, v1
	s_and_b64 s[28:29], vcc, s[28:29]
	v_cndmask_b32_e64 v1, v1, 0, s[28:29]
	v_or_b32_e32 v51, v1, v50
.LBB4_5166:                             ;   in Loop: Header=BB4_4388 Depth=3
	s_or_b64 exec, exec, s[36:37]
                                        ; implicit-def: $vgpr50
.LBB4_5167:                             ;   in Loop: Header=BB4_4388 Depth=3
	s_andn2_saveexec_b64 s[28:29], s[34:35]
; %bb.5168:                             ;   in Loop: Header=BB4_4388 Depth=3
	v_or_b32_e32 v51, 0x7e, v50
; %bb.5169:                             ;   in Loop: Header=BB4_4388 Depth=3
	s_or_b64 exec, exec, s[28:29]
                                        ; implicit-def: $vgpr8
.LBB4_5170:                             ;   in Loop: Header=BB4_4388 Depth=3
	s_andn2_saveexec_b64 s[28:29], s[30:31]
; %bb.5171:                             ;   in Loop: Header=BB4_4388 Depth=3
	v_or_b32_sdwa v51, v8, s71 dst_sel:DWORD dst_unused:UNUSED_PAD src0_sel:BYTE_3 src1_sel:DWORD
; %bb.5172:                             ;   in Loop: Header=BB4_4388 Depth=3
	s_or_b64 exec, exec, s[28:29]
	v_mov_b32_e32 v2, v15
	v_cmp_ne_u16_sdwa s[44:45], v15, v3 src0_sel:BYTE_0 src1_sel:DWORD
	v_mov_b32_e32 v9, 0
	v_mov_b32_e32 v8, 0
	s_and_saveexec_b64 s[28:29], s[44:45]
	s_cbranch_execz .LBB4_5178
; %bb.5173:                             ;   in Loop: Header=BB4_4388 Depth=3
	v_cmp_ne_u16_sdwa s[44:45], v15, s70 src0_sel:BYTE_0 src1_sel:DWORD
	v_bfrev_b32_e32 v8, 1
	s_and_saveexec_b64 s[30:31], s[44:45]
	s_cbranch_execz .LBB4_5177
; %bb.5174:                             ;   in Loop: Header=BB4_4388 Depth=3
	v_and_b32_e32 v1, 0x7f, v15
	v_cmp_ne_u32_e32 vcc, s71, v1
	v_mov_b32_e32 v8, 0x7f800001
	s_and_saveexec_b64 s[34:35], vcc
	s_cbranch_execz .LBB4_5176
; %bb.5175:                             ;   in Loop: Header=BB4_4388 Depth=3
	v_and_b32_e32 v6, 7, v15
	v_lshrrev_b32_e32 v7, 3, v1
	v_cmp_gt_u32_e32 vcc, 8, v1
	v_ffbh_u32_e32 v1, v6
	v_min_u32_e32 v1, 32, v1
	v_subrev_u32_e32 v6, 28, v1
	v_cndmask_b32_e32 v6, 0, v6, vcc
	v_lshlrev_b64 v[12:13], v6, v[2:3]
	v_sub_u32_e32 v1, 29, v1
	v_cndmask_b32_e32 v1, v7, v1, vcc
	v_lshlrev_b32_e32 v6, 20, v12
	v_lshlrev_b32_e32 v7, 24, v2
	v_and_b32_e32 v6, 0x700000, v6
	v_and_b32_e32 v7, 0x80000000, v7
	v_lshl_add_u32 v1, v1, 23, v0
	v_or3_b32 v8, v7, v1, v6
.LBB4_5176:                             ;   in Loop: Header=BB4_4388 Depth=3
	s_or_b64 exec, exec, s[34:35]
.LBB4_5177:                             ;   in Loop: Header=BB4_4388 Depth=3
	s_or_b64 exec, exec, s[30:31]
.LBB4_5178:                             ;   in Loop: Header=BB4_4388 Depth=3
	s_or_b64 exec, exec, s[28:29]
	v_cmp_ne_u16_sdwa s[44:45], v11, v3 src0_sel:BYTE_0 src1_sel:DWORD
	s_and_saveexec_b64 s[28:29], s[44:45]
	s_cbranch_execz .LBB4_5184
; %bb.5179:                             ;   in Loop: Header=BB4_4388 Depth=3
	v_cmp_ne_u16_sdwa s[44:45], v11, s70 src0_sel:BYTE_0 src1_sel:DWORD
	v_bfrev_b32_e32 v9, 1
	s_and_saveexec_b64 s[30:31], s[44:45]
	s_cbranch_execz .LBB4_5183
; %bb.5180:                             ;   in Loop: Header=BB4_4388 Depth=3
	v_and_b32_e32 v1, 0x7f, v11
	v_cmp_ne_u32_e32 vcc, s71, v1
	v_mov_b32_e32 v9, 0x7f800001
	s_and_saveexec_b64 s[34:35], vcc
	s_cbranch_execz .LBB4_5182
; %bb.5181:                             ;   in Loop: Header=BB4_4388 Depth=3
	v_and_b32_e32 v6, 7, v11
	v_lshrrev_b32_e32 v7, 3, v1
	v_cmp_gt_u32_e32 vcc, 8, v1
	v_ffbh_u32_e32 v1, v6
	v_min_u32_e32 v1, 32, v1
	v_subrev_u32_e32 v6, 28, v1
	v_mov_b32_e32 v12, v11
	v_mov_b32_e32 v13, v3
	v_cndmask_b32_e32 v6, 0, v6, vcc
	v_lshlrev_b64 v[43:44], v6, v[12:13]
	v_sub_u32_e32 v1, 29, v1
	v_cndmask_b32_e32 v1, v7, v1, vcc
	v_lshlrev_b32_e32 v6, 20, v43
	v_lshlrev_b32_e32 v7, 24, v12
	v_and_b32_e32 v6, 0x700000, v6
	v_and_b32_e32 v7, 0x80000000, v7
	v_lshl_add_u32 v1, v1, 23, v0
	v_or3_b32 v9, v7, v1, v6
.LBB4_5182:                             ;   in Loop: Header=BB4_4388 Depth=3
	s_or_b64 exec, exec, s[34:35]
.LBB4_5183:                             ;   in Loop: Header=BB4_4388 Depth=3
	s_or_b64 exec, exec, s[30:31]
.LBB4_5184:                             ;   in Loop: Header=BB4_4388 Depth=3
	s_or_b64 exec, exec, s[28:29]
	v_mul_f32_e32 v8, v8, v9
	v_and_b32_e32 v12, 0x7f800000, v8
	v_mov_b32_e32 v13, v3
	v_cmp_ne_u64_e32 vcc, s[62:63], v[12:13]
                                        ; implicit-def: $vgpr50
	s_and_saveexec_b64 s[28:29], vcc
	s_xor_b64 s[30:31], exec, s[28:29]
	s_cbranch_execz .LBB4_5198
; %bb.5185:                             ;   in Loop: Header=BB4_4388 Depth=3
	v_and_b32_e32 v12, 0x7fffffff, v8
	v_mov_b32_e32 v13, v3
	v_cmp_gt_u64_e32 vcc, s[72:73], v[12:13]
	v_and_b32_sdwa v43, v8, s70 dst_sel:DWORD dst_unused:UNUSED_PAD src0_sel:BYTE_3 src1_sel:DWORD
                                        ; implicit-def: $vgpr50
	s_and_saveexec_b64 s[28:29], vcc
	s_xor_b64 s[34:35], exec, s[28:29]
	s_cbranch_execz .LBB4_5195
; %bb.5186:                             ;   in Loop: Header=BB4_4388 Depth=3
	v_mov_b32_e32 v50, 0
	v_cmp_ne_u32_e32 vcc, 0, v8
	s_and_saveexec_b64 s[36:37], vcc
	s_cbranch_execz .LBB4_5194
; %bb.5187:                             ;   in Loop: Header=BB4_4388 Depth=3
	v_bfe_u32 v50, v8, 23, 8
	v_cmp_gt_u32_e64 s[28:29], s80, v50
	v_sub_u32_e32 v6, 0x79, v50
	v_and_b32_e32 v1, 0x7fffff, v8
	v_cmp_eq_u32_e32 vcc, 0, v50
	v_cndmask_b32_e64 v6, 0, v6, s[28:29]
	v_mov_b32_e32 v8, 0x78
	v_or_b32_e32 v7, 0x800000, v1
	v_cndmask_b32_e32 v44, v6, v8, vcc
	v_cndmask_b32_e32 v8, v7, v1, vcc
	v_add_u32_e32 v1, 20, v44
	v_lshlrev_b64 v[12:13], v1, -1
	v_mov_b32_e32 v9, v3
	v_add_u32_e32 v1, 19, v44
	v_bfi_b32 v12, v12, 0, v8
	v_lshlrev_b64 v[6:7], v1, 1
	v_lshrrev_b64 v[8:9], v44, v[8:9]
	v_bfi_b32 v13, v13, 0, 0
	v_cmp_eq_u64_e64 s[28:29], v[12:13], v[6:7]
	v_mov_b32_e32 v13, v9
	v_mov_b32_e32 v12, v8
	s_and_saveexec_b64 s[38:39], s[28:29]
; %bb.5188:                             ;   in Loop: Header=BB4_4388 Depth=3
	v_bfe_u32 v1, v8, 20, 1
	v_add_co_u32_e64 v1, s[28:29], v8, v1
	v_add_co_u32_e64 v12, s[28:29], -1, v1
; %bb.5189:                             ;   in Loop: Header=BB4_4388 Depth=3
	s_or_b64 exec, exec, s[38:39]
	v_add_u32_e32 v1, 0xffffff81, v50
	v_mov_b32_e32 v6, 0xffffff82
	v_cndmask_b32_e32 v1, v1, v6, vcc
	v_lshrrev_b32_e32 v6, 23, v8
	v_add3_u32 v13, v44, v1, v6
	v_add_u32_e32 v6, 6, v13
	v_and_b32_e32 v1, 0xfffff, v12
	v_add_u32_e32 v8, v1, v8
	v_mov_b32_e32 v9, v3
	v_cmp_ne_u32_e32 vcc, 0, v6
                                        ; implicit-def: $vgpr1
	s_and_saveexec_b64 s[28:29], vcc
	s_xor_b64 s[28:29], exec, s[28:29]
; %bb.5190:                             ;   in Loop: Header=BB4_4388 Depth=3
	v_cmp_lt_u64_e32 vcc, s[88:89], v[8:9]
	v_add_u32_e32 v1, 7, v13
	v_cndmask_b32_e32 v1, v6, v1, vcc
	v_cndmask_b32_e64 v6, 0, 1, vcc
	v_lshrrev_b64 v[8:9], v6, v[8:9]
; %bb.5191:                             ;   in Loop: Header=BB4_4388 Depth=3
	s_andn2_saveexec_b64 s[28:29], s[28:29]
; %bb.5192:                             ;   in Loop: Header=BB4_4388 Depth=3
	v_bfe_u32 v1, v8, 23, 1
; %bb.5193:                             ;   in Loop: Header=BB4_4388 Depth=3
	s_or_b64 exec, exec, s[28:29]
	v_lshrrev_b64 v[6:7], 20, v[8:9]
	v_cmp_gt_i32_e32 vcc, 16, v1
	v_cndmask_b32_e32 v7, 0, v7, vcc
	v_cndmask_b32_e32 v6, 7, v6, vcc
	v_cmp_eq_u32_e32 vcc, 0, v1
	v_min_i32_e32 v1, 15, v1
	v_cmp_eq_u64_e64 s[28:29], 0, v[6:7]
	v_lshlrev_b32_e32 v1, 3, v1
	v_and_b32_e32 v1, 0xf8, v1
	v_and_or_b32 v1, v6, 7, v1
	s_and_b64 s[28:29], vcc, s[28:29]
	v_cndmask_b32_e64 v1, v1, 0, s[28:29]
	v_or_b32_e32 v50, v1, v43
.LBB4_5194:                             ;   in Loop: Header=BB4_4388 Depth=3
	s_or_b64 exec, exec, s[36:37]
                                        ; implicit-def: $vgpr43
.LBB4_5195:                             ;   in Loop: Header=BB4_4388 Depth=3
	s_andn2_saveexec_b64 s[28:29], s[34:35]
; %bb.5196:                             ;   in Loop: Header=BB4_4388 Depth=3
	v_or_b32_e32 v50, 0x7e, v43
; %bb.5197:                             ;   in Loop: Header=BB4_4388 Depth=3
	s_or_b64 exec, exec, s[28:29]
                                        ; implicit-def: $vgpr8
.LBB4_5198:                             ;   in Loop: Header=BB4_4388 Depth=3
	s_andn2_saveexec_b64 s[28:29], s[30:31]
; %bb.5199:                             ;   in Loop: Header=BB4_4388 Depth=3
	v_or_b32_sdwa v50, v8, s71 dst_sel:DWORD dst_unused:UNUSED_PAD src0_sel:BYTE_3 src1_sel:DWORD
; %bb.5200:                             ;   in Loop: Header=BB4_4388 Depth=3
	s_or_b64 exec, exec, s[28:29]
	v_lshrrev_b16_e32 v8, 8, v2
	v_cmp_ne_u16_e32 vcc, 0, v8
	v_mov_b32_e32 v9, 0
	v_mov_b32_e32 v12, 0
	s_and_saveexec_b64 s[28:29], vcc
	s_cbranch_execz .LBB4_5206
; %bb.5201:                             ;   in Loop: Header=BB4_4388 Depth=3
	v_cmp_ne_u16_e32 vcc, s70, v8
	v_bfrev_b32_e32 v12, 1
	s_and_saveexec_b64 s[30:31], vcc
	s_cbranch_execz .LBB4_5205
; %bb.5202:                             ;   in Loop: Header=BB4_4388 Depth=3
	v_and_b32_e32 v1, 0x7f, v8
	v_cmp_ne_u32_e32 vcc, s71, v1
	v_mov_b32_e32 v12, 0x7f800001
	s_and_saveexec_b64 s[34:35], vcc
	s_cbranch_execz .LBB4_5204
; %bb.5203:                             ;   in Loop: Header=BB4_4388 Depth=3
	v_and_b32_e32 v12, 7, v8
	v_lshrrev_b32_e32 v13, 3, v1
	v_cmp_gt_u32_e32 vcc, 8, v1
	v_ffbh_u32_e32 v1, v12
	v_min_u32_e32 v1, 32, v1
	v_subrev_u32_e32 v6, 28, v1
	v_lshlrev_b64 v[6:7], v6, v[8:9]
	v_sub_u32_e32 v1, 29, v1
	v_and_b32_e32 v6, 7, v6
	v_cndmask_b32_e32 v1, v13, v1, vcc
	v_cndmask_b32_e32 v6, v12, v6, vcc
	v_lshlrev_b32_e32 v2, 16, v2
	v_lshlrev_b32_e32 v6, 20, v6
	v_and_b32_e32 v2, 0x80000000, v2
	v_lshl_add_u32 v1, v1, 23, v0
	v_or3_b32 v12, v2, v1, v6
.LBB4_5204:                             ;   in Loop: Header=BB4_4388 Depth=3
	s_or_b64 exec, exec, s[34:35]
.LBB4_5205:                             ;   in Loop: Header=BB4_4388 Depth=3
	s_or_b64 exec, exec, s[30:31]
.LBB4_5206:                             ;   in Loop: Header=BB4_4388 Depth=3
	s_or_b64 exec, exec, s[28:29]
	v_lshrrev_b16_e32 v2, 8, v11
	v_cmp_ne_u16_e32 vcc, 0, v2
	s_and_saveexec_b64 s[28:29], vcc
	s_cbranch_execz .LBB4_5212
; %bb.5207:                             ;   in Loop: Header=BB4_4388 Depth=3
	v_cmp_ne_u16_e32 vcc, s70, v2
	v_bfrev_b32_e32 v9, 1
	s_and_saveexec_b64 s[30:31], vcc
	s_cbranch_execz .LBB4_5211
; %bb.5208:                             ;   in Loop: Header=BB4_4388 Depth=3
	v_and_b32_e32 v1, 0x7f, v2
	v_cmp_ne_u32_e32 vcc, s71, v1
	v_mov_b32_e32 v9, 0x7f800001
	s_and_saveexec_b64 s[34:35], vcc
	s_cbranch_execz .LBB4_5210
; %bb.5209:                             ;   in Loop: Header=BB4_4388 Depth=3
	v_and_b32_e32 v6, 7, v2
	v_lshrrev_b32_e32 v7, 3, v1
	v_cmp_gt_u32_e32 vcc, 8, v1
	v_ffbh_u32_e32 v1, v6
	v_min_u32_e32 v8, 32, v1
	v_subrev_u32_e32 v1, 28, v8
	v_lshlrev_b64 v[1:2], v1, v[2:3]
	v_sub_u32_e32 v2, 29, v8
	v_and_b32_e32 v1, 7, v1
	v_cndmask_b32_e32 v2, v7, v2, vcc
	v_cndmask_b32_e32 v1, v6, v1, vcc
	v_lshlrev_b32_e32 v6, 16, v11
	v_lshlrev_b32_e32 v1, 20, v1
	v_and_b32_e32 v6, 0x80000000, v6
	v_lshl_add_u32 v2, v2, 23, v0
	v_or3_b32 v9, v6, v2, v1
.LBB4_5210:                             ;   in Loop: Header=BB4_4388 Depth=3
	s_or_b64 exec, exec, s[34:35]
.LBB4_5211:                             ;   in Loop: Header=BB4_4388 Depth=3
	s_or_b64 exec, exec, s[30:31]
.LBB4_5212:                             ;   in Loop: Header=BB4_4388 Depth=3
	s_or_b64 exec, exec, s[28:29]
	v_mul_f32_e32 v8, v12, v9
	v_and_b32_e32 v2, 0x7f800000, v8
	v_cmp_ne_u64_e32 vcc, s[62:63], v[2:3]
                                        ; implicit-def: $vgpr43
	s_and_saveexec_b64 s[28:29], vcc
	s_xor_b64 s[30:31], exec, s[28:29]
	s_cbranch_execz .LBB4_5226
; %bb.5213:                             ;   in Loop: Header=BB4_4388 Depth=3
	v_and_b32_e32 v2, 0x7fffffff, v8
	v_cmp_gt_u64_e32 vcc, s[72:73], v[2:3]
	v_and_b32_sdwa v47, v8, s70 dst_sel:DWORD dst_unused:UNUSED_PAD src0_sel:BYTE_3 src1_sel:DWORD
                                        ; implicit-def: $vgpr43
	s_and_saveexec_b64 s[28:29], vcc
	s_xor_b64 s[34:35], exec, s[28:29]
	s_cbranch_execz .LBB4_5223
; %bb.5214:                             ;   in Loop: Header=BB4_4388 Depth=3
	v_mov_b32_e32 v43, 0
	v_cmp_ne_u32_e32 vcc, 0, v8
	s_and_saveexec_b64 s[36:37], vcc
	s_cbranch_execz .LBB4_5222
; %bb.5215:                             ;   in Loop: Header=BB4_4388 Depth=3
	v_bfe_u32 v43, v8, 23, 8
	v_cmp_gt_u32_e64 s[28:29], s80, v43
	v_sub_u32_e32 v2, 0x79, v43
	v_and_b32_e32 v1, 0x7fffff, v8
	v_cmp_eq_u32_e32 vcc, 0, v43
	v_cndmask_b32_e64 v2, 0, v2, s[28:29]
	v_mov_b32_e32 v7, 0x78
	v_or_b32_e32 v6, 0x800000, v1
	v_cndmask_b32_e32 v44, v2, v7, vcc
	v_cndmask_b32_e32 v2, v6, v1, vcc
	v_add_u32_e32 v1, 20, v44
	v_lshlrev_b64 v[6:7], v1, -1
	v_add_u32_e32 v1, 19, v44
	v_lshlrev_b64 v[8:9], v1, 1
	v_bfi_b32 v7, v7, 0, 0
	v_bfi_b32 v6, v6, 0, v2
	v_cmp_eq_u64_e64 s[28:29], v[6:7], v[8:9]
	v_lshrrev_b64 v[8:9], v44, v[2:3]
	v_mov_b32_e32 v13, v9
	v_mov_b32_e32 v12, v8
	s_and_saveexec_b64 s[38:39], s[28:29]
; %bb.5216:                             ;   in Loop: Header=BB4_4388 Depth=3
	v_bfe_u32 v1, v8, 20, 1
	v_add_co_u32_e64 v1, s[28:29], v8, v1
	v_add_co_u32_e64 v12, s[28:29], -1, v1
; %bb.5217:                             ;   in Loop: Header=BB4_4388 Depth=3
	s_or_b64 exec, exec, s[38:39]
	v_add_u32_e32 v1, 0xffffff81, v43
	v_mov_b32_e32 v2, 0xffffff82
	v_cndmask_b32_e32 v1, v1, v2, vcc
	v_lshrrev_b32_e32 v2, 23, v8
	v_add3_u32 v13, v44, v1, v2
	v_add_u32_e32 v6, 6, v13
	v_and_b32_e32 v1, 0xfffff, v12
	v_add_u32_e32 v2, v1, v8
	v_cmp_ne_u32_e32 vcc, 0, v6
                                        ; implicit-def: $vgpr8_vgpr9
                                        ; implicit-def: $vgpr1
	s_and_saveexec_b64 s[28:29], vcc
	s_xor_b64 s[28:29], exec, s[28:29]
; %bb.5218:                             ;   in Loop: Header=BB4_4388 Depth=3
	v_cmp_lt_u64_e32 vcc, s[88:89], v[2:3]
	v_add_u32_e32 v1, 7, v13
	v_cndmask_b32_e32 v1, v6, v1, vcc
	v_cndmask_b32_e64 v6, 0, 1, vcc
	v_lshrrev_b64 v[8:9], v6, v[2:3]
; %bb.5219:                             ;   in Loop: Header=BB4_4388 Depth=3
	s_andn2_saveexec_b64 s[28:29], s[28:29]
; %bb.5220:                             ;   in Loop: Header=BB4_4388 Depth=3
	v_mov_b32_e32 v9, v3
	v_bfe_u32 v1, v2, 23, 1
	v_mov_b32_e32 v8, v2
; %bb.5221:                             ;   in Loop: Header=BB4_4388 Depth=3
	s_or_b64 exec, exec, s[28:29]
	v_lshrrev_b64 v[6:7], 20, v[8:9]
	v_cmp_gt_i32_e32 vcc, 16, v1
	v_cndmask_b32_e32 v7, 0, v7, vcc
	v_cndmask_b32_e32 v6, 7, v6, vcc
	v_cmp_eq_u32_e32 vcc, 0, v1
	v_min_i32_e32 v1, 15, v1
	v_cmp_eq_u64_e64 s[28:29], 0, v[6:7]
	v_lshlrev_b32_e32 v1, 3, v1
	v_and_b32_e32 v1, 0xf8, v1
	v_and_or_b32 v1, v6, 7, v1
	s_and_b64 s[28:29], vcc, s[28:29]
	v_cndmask_b32_e64 v1, v1, 0, s[28:29]
	v_or_b32_e32 v43, v1, v47
.LBB4_5222:                             ;   in Loop: Header=BB4_4388 Depth=3
	s_or_b64 exec, exec, s[36:37]
                                        ; implicit-def: $vgpr47
.LBB4_5223:                             ;   in Loop: Header=BB4_4388 Depth=3
	s_andn2_saveexec_b64 s[28:29], s[34:35]
; %bb.5224:                             ;   in Loop: Header=BB4_4388 Depth=3
	v_or_b32_e32 v43, 0x7e, v47
; %bb.5225:                             ;   in Loop: Header=BB4_4388 Depth=3
	s_or_b64 exec, exec, s[28:29]
                                        ; implicit-def: $vgpr8
.LBB4_5226:                             ;   in Loop: Header=BB4_4388 Depth=3
	s_andn2_saveexec_b64 s[28:29], s[30:31]
; %bb.5227:                             ;   in Loop: Header=BB4_4388 Depth=3
	v_or_b32_sdwa v43, v8, s71 dst_sel:DWORD dst_unused:UNUSED_PAD src0_sel:BYTE_3 src1_sel:DWORD
; %bb.5228:                             ;   in Loop: Header=BB4_4388 Depth=3
	s_or_b64 exec, exec, s[28:29]
	v_lshrrev_b32_e32 v2, 16, v15
	v_cmp_ne_u16_sdwa s[44:45], v2, v3 src0_sel:BYTE_0 src1_sel:DWORD
	v_mov_b32_e32 v8, 0
	v_mov_b32_e32 v9, 0
	s_and_saveexec_b64 s[28:29], s[44:45]
	s_cbranch_execz .LBB4_5234
; %bb.5229:                             ;   in Loop: Header=BB4_4388 Depth=3
	v_cmp_ne_u16_sdwa s[44:45], v2, s70 src0_sel:BYTE_0 src1_sel:DWORD
	v_bfrev_b32_e32 v9, 1
	s_and_saveexec_b64 s[30:31], s[44:45]
	s_cbranch_execz .LBB4_5233
; %bb.5230:                             ;   in Loop: Header=BB4_4388 Depth=3
	v_bfe_u32 v1, v15, 16, 7
	v_cmp_ne_u32_e32 vcc, s71, v1
	v_mov_b32_e32 v9, 0x7f800001
	s_and_saveexec_b64 s[34:35], vcc
	s_cbranch_execz .LBB4_5232
; %bb.5231:                             ;   in Loop: Header=BB4_4388 Depth=3
	v_and_b32_e32 v9, 7, v2
	v_lshrrev_b32_e32 v12, 3, v1
	v_cmp_gt_u32_e32 vcc, 8, v1
	v_ffbh_u32_e32 v1, v9
	v_min_u32_e32 v1, 32, v1
	v_subrev_u32_e32 v6, 28, v1
	v_lshlrev_b64 v[6:7], v6, v[2:3]
	v_sub_u32_e32 v1, 29, v1
	v_and_b32_e32 v6, 7, v6
	v_cndmask_b32_e32 v1, v12, v1, vcc
	v_cndmask_b32_e32 v6, v9, v6, vcc
	v_lshlrev_b32_e32 v2, 24, v2
	v_lshlrev_b32_e32 v6, 20, v6
	v_and_b32_e32 v2, 0x80000000, v2
	v_lshl_add_u32 v1, v1, 23, v0
	v_or3_b32 v9, v2, v1, v6
.LBB4_5232:                             ;   in Loop: Header=BB4_4388 Depth=3
	s_or_b64 exec, exec, s[34:35]
.LBB4_5233:                             ;   in Loop: Header=BB4_4388 Depth=3
	s_or_b64 exec, exec, s[30:31]
.LBB4_5234:                             ;   in Loop: Header=BB4_4388 Depth=3
	s_or_b64 exec, exec, s[28:29]
	v_lshrrev_b32_e32 v2, 16, v11
	v_cmp_ne_u16_sdwa s[44:45], v2, v3 src0_sel:BYTE_0 src1_sel:DWORD
	s_and_saveexec_b64 s[28:29], s[44:45]
	s_cbranch_execz .LBB4_5240
; %bb.5235:                             ;   in Loop: Header=BB4_4388 Depth=3
	v_cmp_ne_u16_sdwa s[44:45], v2, s70 src0_sel:BYTE_0 src1_sel:DWORD
	v_bfrev_b32_e32 v8, 1
	s_and_saveexec_b64 s[30:31], s[44:45]
	s_cbranch_execz .LBB4_5239
; %bb.5236:                             ;   in Loop: Header=BB4_4388 Depth=3
	v_bfe_u32 v1, v11, 16, 7
	v_cmp_ne_u32_e32 vcc, s71, v1
	v_mov_b32_e32 v8, 0x7f800001
	s_and_saveexec_b64 s[34:35], vcc
	s_cbranch_execz .LBB4_5238
; %bb.5237:                             ;   in Loop: Header=BB4_4388 Depth=3
	v_and_b32_e32 v6, 7, v2
	v_lshrrev_b32_e32 v7, 3, v1
	v_cmp_gt_u32_e32 vcc, 8, v1
	v_ffbh_u32_e32 v1, v6
	v_min_u32_e32 v8, 32, v1
	v_subrev_u32_e32 v1, 28, v8
	v_lshlrev_b64 v[1:2], v1, v[2:3]
	v_sub_u32_e32 v2, 29, v8
	v_and_b32_e32 v1, 7, v1
	v_cndmask_b32_e32 v2, v7, v2, vcc
	v_cndmask_b32_e32 v1, v6, v1, vcc
	v_lshlrev_b32_e32 v6, 8, v11
	v_lshlrev_b32_e32 v1, 20, v1
	v_and_b32_e32 v6, 0x80000000, v6
	v_lshl_add_u32 v2, v2, 23, v0
	v_or3_b32 v8, v6, v2, v1
.LBB4_5238:                             ;   in Loop: Header=BB4_4388 Depth=3
	s_or_b64 exec, exec, s[34:35]
.LBB4_5239:                             ;   in Loop: Header=BB4_4388 Depth=3
	s_or_b64 exec, exec, s[30:31]
.LBB4_5240:                             ;   in Loop: Header=BB4_4388 Depth=3
	s_or_b64 exec, exec, s[28:29]
	v_mul_f32_e32 v8, v9, v8
	v_and_b32_e32 v2, 0x7f800000, v8
	v_cmp_ne_u64_e32 vcc, s[62:63], v[2:3]
                                        ; implicit-def: $vgpr12
	s_and_saveexec_b64 s[28:29], vcc
	s_xor_b64 s[30:31], exec, s[28:29]
	s_cbranch_execz .LBB4_5254
; %bb.5241:                             ;   in Loop: Header=BB4_4388 Depth=3
	v_and_b32_e32 v2, 0x7fffffff, v8
	v_cmp_gt_u64_e32 vcc, s[72:73], v[2:3]
	v_and_b32_sdwa v47, v8, s70 dst_sel:DWORD dst_unused:UNUSED_PAD src0_sel:BYTE_3 src1_sel:DWORD
                                        ; implicit-def: $vgpr12
	s_and_saveexec_b64 s[28:29], vcc
	s_xor_b64 s[34:35], exec, s[28:29]
	s_cbranch_execz .LBB4_5251
; %bb.5242:                             ;   in Loop: Header=BB4_4388 Depth=3
	v_mov_b32_e32 v12, 0
	v_cmp_ne_u32_e32 vcc, 0, v8
	s_and_saveexec_b64 s[36:37], vcc
	s_cbranch_execz .LBB4_5250
; %bb.5243:                             ;   in Loop: Header=BB4_4388 Depth=3
	v_bfe_u32 v44, v8, 23, 8
	v_cmp_gt_u32_e64 s[28:29], s80, v44
	v_sub_u32_e32 v2, 0x79, v44
	v_and_b32_e32 v1, 0x7fffff, v8
	v_cmp_eq_u32_e32 vcc, 0, v44
	v_cndmask_b32_e64 v2, 0, v2, s[28:29]
	v_mov_b32_e32 v6, 0x78
	v_or_b32_e32 v7, 0x800000, v1
	v_cndmask_b32_e32 v6, v2, v6, vcc
	v_cndmask_b32_e32 v2, v7, v1, vcc
	v_add_u32_e32 v1, 20, v6
	v_lshlrev_b64 v[7:8], v1, -1
	v_add_u32_e32 v1, 19, v6
	v_lshlrev_b64 v[12:13], v1, 1
	v_bfi_b32 v8, v8, 0, 0
	v_bfi_b32 v7, v7, 0, v2
	v_cmp_eq_u64_e64 s[28:29], v[7:8], v[12:13]
	v_lshrrev_b64 v[8:9], v6, v[2:3]
	v_mov_b32_e32 v13, v9
	v_mov_b32_e32 v12, v8
	s_and_saveexec_b64 s[38:39], s[28:29]
; %bb.5244:                             ;   in Loop: Header=BB4_4388 Depth=3
	v_bfe_u32 v1, v8, 20, 1
	v_add_co_u32_e64 v1, s[28:29], v8, v1
	v_add_co_u32_e64 v12, s[28:29], -1, v1
; %bb.5245:                             ;   in Loop: Header=BB4_4388 Depth=3
	s_or_b64 exec, exec, s[38:39]
	v_add_u32_e32 v1, 0xffffff81, v44
	v_mov_b32_e32 v2, 0xffffff82
	v_cndmask_b32_e32 v1, v1, v2, vcc
	v_lshrrev_b32_e32 v2, 23, v8
	v_add3_u32 v13, v6, v1, v2
	v_add_u32_e32 v6, 6, v13
	v_and_b32_e32 v1, 0xfffff, v12
	v_add_u32_e32 v2, v1, v8
	v_cmp_ne_u32_e32 vcc, 0, v6
                                        ; implicit-def: $vgpr8_vgpr9
                                        ; implicit-def: $vgpr1
	s_and_saveexec_b64 s[28:29], vcc
	s_xor_b64 s[28:29], exec, s[28:29]
; %bb.5246:                             ;   in Loop: Header=BB4_4388 Depth=3
	v_cmp_lt_u64_e32 vcc, s[88:89], v[2:3]
	v_add_u32_e32 v1, 7, v13
	v_cndmask_b32_e32 v1, v6, v1, vcc
	v_cndmask_b32_e64 v6, 0, 1, vcc
	v_lshrrev_b64 v[8:9], v6, v[2:3]
; %bb.5247:                             ;   in Loop: Header=BB4_4388 Depth=3
	s_andn2_saveexec_b64 s[28:29], s[28:29]
; %bb.5248:                             ;   in Loop: Header=BB4_4388 Depth=3
	v_mov_b32_e32 v9, v3
	v_bfe_u32 v1, v2, 23, 1
	v_mov_b32_e32 v8, v2
; %bb.5249:                             ;   in Loop: Header=BB4_4388 Depth=3
	s_or_b64 exec, exec, s[28:29]
	v_lshrrev_b64 v[6:7], 20, v[8:9]
	v_cmp_gt_i32_e32 vcc, 16, v1
	v_cndmask_b32_e32 v7, 0, v7, vcc
	v_cndmask_b32_e32 v6, 7, v6, vcc
	v_cmp_eq_u32_e32 vcc, 0, v1
	v_min_i32_e32 v1, 15, v1
	v_cmp_eq_u64_e64 s[28:29], 0, v[6:7]
	v_lshlrev_b32_e32 v1, 3, v1
	v_and_b32_e32 v1, 0xf8, v1
	v_and_or_b32 v1, v6, 7, v1
	s_and_b64 s[28:29], vcc, s[28:29]
	v_cndmask_b32_e64 v1, v1, 0, s[28:29]
	v_or_b32_e32 v12, v1, v47
.LBB4_5250:                             ;   in Loop: Header=BB4_4388 Depth=3
	s_or_b64 exec, exec, s[36:37]
                                        ; implicit-def: $vgpr47
.LBB4_5251:                             ;   in Loop: Header=BB4_4388 Depth=3
	s_andn2_saveexec_b64 s[28:29], s[34:35]
; %bb.5252:                             ;   in Loop: Header=BB4_4388 Depth=3
	v_or_b32_e32 v12, 0x7e, v47
; %bb.5253:                             ;   in Loop: Header=BB4_4388 Depth=3
	s_or_b64 exec, exec, s[28:29]
                                        ; implicit-def: $vgpr8
.LBB4_5254:                             ;   in Loop: Header=BB4_4388 Depth=3
	s_andn2_saveexec_b64 s[28:29], s[30:31]
; %bb.5255:                             ;   in Loop: Header=BB4_4388 Depth=3
	v_or_b32_sdwa v12, v8, s71 dst_sel:DWORD dst_unused:UNUSED_PAD src0_sel:BYTE_3 src1_sel:DWORD
; %bb.5256:                             ;   in Loop: Header=BB4_4388 Depth=3
	s_or_b64 exec, exec, s[28:29]
	v_cmp_lt_u64_e32 vcc, s[56:57], v[14:15]
	v_mov_b32_e32 v8, 0
	v_mov_b32_e32 v9, 0
	s_and_saveexec_b64 s[28:29], vcc
	s_cbranch_execz .LBB4_5262
; %bb.5257:                             ;   in Loop: Header=BB4_4388 Depth=3
	v_lshrrev_b32_e32 v2, 24, v15
	v_cmp_ne_u32_e32 vcc, s70, v2
	v_bfrev_b32_e32 v9, 1
	s_and_saveexec_b64 s[30:31], vcc
	s_cbranch_execz .LBB4_5261
; %bb.5258:                             ;   in Loop: Header=BB4_4388 Depth=3
	v_bfe_u32 v1, v15, 24, 7
	v_cmp_ne_u32_e32 vcc, s71, v1
	v_mov_b32_e32 v9, 0x7f800001
	s_and_saveexec_b64 s[34:35], vcc
	s_cbranch_execz .LBB4_5260
; %bb.5259:                             ;   in Loop: Header=BB4_4388 Depth=3
	v_and_b32_e32 v9, 7, v2
	v_lshrrev_b32_e32 v13, 3, v1
	v_cmp_gt_u32_e32 vcc, 8, v1
	v_ffbh_u32_e32 v1, v9
	v_min_u32_e32 v1, 32, v1
	v_subrev_u32_e32 v6, 28, v1
	v_lshlrev_b64 v[6:7], v6, v[2:3]
	v_sub_u32_e32 v1, 29, v1
	v_and_b32_e32 v6, 7, v6
	v_cndmask_b32_e32 v1, v13, v1, vcc
	v_cndmask_b32_e32 v6, v9, v6, vcc
	v_lshlrev_b32_e32 v2, 24, v2
	v_lshlrev_b32_e32 v6, 20, v6
	v_and_b32_e32 v2, 0x80000000, v2
	v_lshl_add_u32 v1, v1, 23, v0
	v_or3_b32 v9, v2, v1, v6
.LBB4_5260:                             ;   in Loop: Header=BB4_4388 Depth=3
	s_or_b64 exec, exec, s[34:35]
.LBB4_5261:                             ;   in Loop: Header=BB4_4388 Depth=3
	s_or_b64 exec, exec, s[30:31]
.LBB4_5262:                             ;   in Loop: Header=BB4_4388 Depth=3
	s_or_b64 exec, exec, s[28:29]
	v_cmp_lt_u64_e32 vcc, s[56:57], v[10:11]
	s_and_saveexec_b64 s[28:29], vcc
	s_cbranch_execz .LBB4_5268
; %bb.5263:                             ;   in Loop: Header=BB4_4388 Depth=3
	v_lshrrev_b32_e32 v2, 24, v11
	v_cmp_ne_u32_e32 vcc, s70, v2
	v_bfrev_b32_e32 v8, 1
	s_and_saveexec_b64 s[30:31], vcc
	s_cbranch_execz .LBB4_5267
; %bb.5264:                             ;   in Loop: Header=BB4_4388 Depth=3
	v_bfe_u32 v1, v11, 24, 7
	v_cmp_ne_u32_e32 vcc, s71, v1
	v_mov_b32_e32 v8, 0x7f800001
	s_and_saveexec_b64 s[34:35], vcc
	s_cbranch_execz .LBB4_5266
; %bb.5265:                             ;   in Loop: Header=BB4_4388 Depth=3
	v_and_b32_e32 v8, 7, v2
	v_lshrrev_b32_e32 v10, 3, v1
	v_cmp_gt_u32_e32 vcc, 8, v1
	v_ffbh_u32_e32 v1, v8
	v_min_u32_e32 v1, 32, v1
	v_subrev_u32_e32 v6, 28, v1
	v_lshlrev_b64 v[6:7], v6, v[2:3]
	v_sub_u32_e32 v1, 29, v1
	v_and_b32_e32 v6, 7, v6
	v_cndmask_b32_e32 v1, v10, v1, vcc
	v_cndmask_b32_e32 v6, v8, v6, vcc
	v_lshlrev_b32_e32 v2, 24, v2
	v_lshlrev_b32_e32 v6, 20, v6
	v_and_b32_e32 v2, 0x80000000, v2
	v_lshl_add_u32 v1, v1, 23, v0
	v_or3_b32 v8, v2, v1, v6
.LBB4_5266:                             ;   in Loop: Header=BB4_4388 Depth=3
	s_or_b64 exec, exec, s[34:35]
.LBB4_5267:                             ;   in Loop: Header=BB4_4388 Depth=3
	s_or_b64 exec, exec, s[30:31]
.LBB4_5268:                             ;   in Loop: Header=BB4_4388 Depth=3
	s_or_b64 exec, exec, s[28:29]
	v_mul_f32_e32 v8, v9, v8
	v_and_b32_e32 v2, 0x7f800000, v8
	v_cmp_ne_u64_e32 vcc, s[62:63], v[2:3]
                                        ; implicit-def: $vgpr2
	s_and_saveexec_b64 s[28:29], vcc
	s_xor_b64 s[30:31], exec, s[28:29]
	s_cbranch_execz .LBB4_5282
; %bb.5269:                             ;   in Loop: Header=BB4_4388 Depth=3
	v_and_b32_e32 v2, 0x7fffffff, v8
	v_cmp_gt_u64_e32 vcc, s[72:73], v[2:3]
	v_and_b32_sdwa v11, v8, s70 dst_sel:DWORD dst_unused:UNUSED_PAD src0_sel:BYTE_3 src1_sel:DWORD
                                        ; implicit-def: $vgpr2
	s_and_saveexec_b64 s[28:29], vcc
	s_xor_b64 s[34:35], exec, s[28:29]
	s_cbranch_execz .LBB4_5279
; %bb.5270:                             ;   in Loop: Header=BB4_4388 Depth=3
	v_mov_b32_e32 v2, 0
	v_cmp_ne_u32_e32 vcc, 0, v8
	s_and_saveexec_b64 s[36:37], vcc
	s_cbranch_execz .LBB4_5278
; %bb.5271:                             ;   in Loop: Header=BB4_4388 Depth=3
	v_bfe_u32 v13, v8, 23, 8
	v_cmp_gt_u32_e64 s[28:29], s80, v13
	v_sub_u32_e32 v2, 0x79, v13
	v_and_b32_e32 v1, 0x7fffff, v8
	v_cmp_eq_u32_e32 vcc, 0, v13
	v_cndmask_b32_e64 v2, 0, v2, s[28:29]
	v_mov_b32_e32 v6, 0x78
	v_or_b32_e32 v7, 0x800000, v1
	v_cndmask_b32_e32 v6, v2, v6, vcc
	v_cndmask_b32_e32 v2, v7, v1, vcc
	v_add_u32_e32 v1, 20, v6
	v_lshlrev_b64 v[7:8], v1, -1
	v_add_u32_e32 v1, 19, v6
	v_lshlrev_b64 v[9:10], v1, 1
	v_bfi_b32 v8, v8, 0, 0
	v_bfi_b32 v7, v7, 0, v2
	v_cmp_eq_u64_e64 s[28:29], v[7:8], v[9:10]
	v_lshrrev_b64 v[8:9], v6, v[2:3]
	v_mov_b32_e32 v10, v9
	v_mov_b32_e32 v9, v8
	s_and_saveexec_b64 s[38:39], s[28:29]
; %bb.5272:                             ;   in Loop: Header=BB4_4388 Depth=3
	v_bfe_u32 v1, v8, 20, 1
	v_add_co_u32_e64 v1, s[28:29], v8, v1
	v_add_co_u32_e64 v9, s[28:29], -1, v1
; %bb.5273:                             ;   in Loop: Header=BB4_4388 Depth=3
	s_or_b64 exec, exec, s[38:39]
	v_add_u32_e32 v1, 0xffffff81, v13
	v_mov_b32_e32 v2, 0xffffff82
	v_cndmask_b32_e32 v1, v1, v2, vcc
	v_lshrrev_b32_e32 v2, 23, v8
	v_add3_u32 v10, v6, v1, v2
	v_add_u32_e32 v6, 6, v10
	v_and_b32_e32 v1, 0xfffff, v9
	v_add_u32_e32 v2, v1, v8
	v_cmp_ne_u32_e32 vcc, 0, v6
                                        ; implicit-def: $vgpr8_vgpr9
                                        ; implicit-def: $vgpr1
	s_and_saveexec_b64 s[28:29], vcc
	s_xor_b64 s[28:29], exec, s[28:29]
; %bb.5274:                             ;   in Loop: Header=BB4_4388 Depth=3
	v_cmp_lt_u64_e32 vcc, s[88:89], v[2:3]
	v_add_u32_e32 v1, 7, v10
	v_cndmask_b32_e32 v1, v6, v1, vcc
	v_cndmask_b32_e64 v6, 0, 1, vcc
	v_lshrrev_b64 v[8:9], v6, v[2:3]
; %bb.5275:                             ;   in Loop: Header=BB4_4388 Depth=3
	s_andn2_saveexec_b64 s[28:29], s[28:29]
; %bb.5276:                             ;   in Loop: Header=BB4_4388 Depth=3
	v_mov_b32_e32 v9, v3
	v_bfe_u32 v1, v2, 23, 1
	v_mov_b32_e32 v8, v2
; %bb.5277:                             ;   in Loop: Header=BB4_4388 Depth=3
	s_or_b64 exec, exec, s[28:29]
	v_lshrrev_b64 v[6:7], 20, v[8:9]
	v_cmp_gt_i32_e32 vcc, 16, v1
	v_cndmask_b32_e32 v7, 0, v7, vcc
	v_cndmask_b32_e32 v6, 7, v6, vcc
	v_cmp_eq_u32_e32 vcc, 0, v1
	v_min_i32_e32 v1, 15, v1
	v_cmp_eq_u64_e64 s[28:29], 0, v[6:7]
	v_lshlrev_b32_e32 v1, 3, v1
	v_and_b32_e32 v1, 0xf8, v1
	v_and_or_b32 v1, v6, 7, v1
	s_and_b64 s[28:29], vcc, s[28:29]
	v_cndmask_b32_e64 v1, v1, 0, s[28:29]
	v_or_b32_e32 v2, v1, v11
.LBB4_5278:                             ;   in Loop: Header=BB4_4388 Depth=3
	s_or_b64 exec, exec, s[36:37]
                                        ; implicit-def: $vgpr11
.LBB4_5279:                             ;   in Loop: Header=BB4_4388 Depth=3
	s_andn2_saveexec_b64 s[28:29], s[34:35]
; %bb.5280:                             ;   in Loop: Header=BB4_4388 Depth=3
	v_or_b32_e32 v2, 0x7e, v11
; %bb.5281:                             ;   in Loop: Header=BB4_4388 Depth=3
	s_or_b64 exec, exec, s[28:29]
                                        ; implicit-def: $vgpr8
.LBB4_5282:                             ;   in Loop: Header=BB4_4388 Depth=3
	s_andn2_saveexec_b64 s[28:29], s[30:31]
	s_cbranch_execz .LBB4_4387
; %bb.5283:                             ;   in Loop: Header=BB4_4388 Depth=3
	v_or_b32_sdwa v2, v8, s71 dst_sel:DWORD dst_unused:UNUSED_PAD src0_sel:BYTE_3 src1_sel:DWORD
	s_branch .LBB4_4387
.LBB4_5284:                             ;   in Loop: Header=BB4_2384 Depth=2
	s_or_b64 exec, exec, s[42:43]
	buffer_load_dword v22, off, s[0:3], s33 offset:208 ; 4-byte Folded Reload
	buffer_load_dword v23, off, s[0:3], s33 offset:248 ; 4-byte Folded Reload
	;; [unrolled: 1-line block ×3, first 2 shown]
.LBB4_5285:                             ;   in Loop: Header=BB4_2384 Depth=2
	s_or_b64 exec, exec, s[40:41]
	v_lshlrev_b32_e32 v28, 11, v41
	v_cmp_ne_u32_e32 vcc, v40, v28
	s_mov_b64 s[28:29], 0
	v_mov_b32_e32 v61, 0
                                        ; implicit-def: $vgpr18
                                        ; implicit-def: $vgpr7
                                        ; implicit-def: $vgpr2
	s_and_saveexec_b64 s[42:43], vcc
	s_cbranch_execz .LBB4_5741
; %bb.5286:                             ;   in Loop: Header=BB4_2384 Depth=2
	buffer_load_dword v5, off, s[0:3], s33 offset:196 ; 4-byte Folded Reload
	v_lshlrev_b32_e32 v1, 6, v52
	v_sub_u32_e32 v2, v40, v28
	v_ashrrev_i32_e32 v7, 31, v2
	v_lshrrev_b32_e32 v7, 22, v7
	v_add_u32_e32 v7, v2, v7
	s_waitcnt vmcnt(0)
	v_and_b32_e32 v30, 0xfffffc00, v7
	v_sub_u32_e32 v34, v2, v30
	v_ashrrev_i32_e32 v8, 10, v7
	v_cmp_lt_i32_e32 vcc, 15, v34
	v_sub_u32_e32 v1, v5, v1
	v_ashrrev_i32_e32 v5, 31, v1
	v_lshrrev_b32_e32 v5, 26, v5
	v_add_u32_e32 v5, v1, v5
	v_ashrrev_i32_e32 v6, 6, v5
	v_and_b32_e32 v5, 0xffffffc0, v5
	v_sub_u32_e32 v29, v1, v5
	v_lshlrev_b32_e32 v1, 4, v29
	v_lshl_add_u32 v1, v6, 10, v1
	v_sub_u32_e32 v5, v2, v1
	v_addc_co_u32_e64 v2, s[28:29], 0, v8, vcc
	v_sub_u32_e32 v31, v2, v6
	v_cmp_lt_i32_e64 s[28:29], 15, v5
	s_and_saveexec_b64 s[30:31], s[28:29]
	s_cbranch_execz .LBB4_5738
; %bb.5287:                             ;   in Loop: Header=BB4_2384 Depth=2
	v_add_u32_e32 v6, v1, v28
	s_trap 2
	ds_read_b64 v[1:2], v0
	buffer_load_dword v8, off, s[0:3], s33 offset:200 ; 4-byte Folded Reload
	buffer_load_dword v9, off, s[0:3], s33 offset:204 ; 4-byte Folded Reload
	v_ashrrev_i32_e32 v7, 31, v6
	s_mov_b64 s[34:35], 0
	s_waitcnt vmcnt(0)
	v_add_co_u32_e64 v16, s[28:29], v6, v8
	v_addc_co_u32_e64 v17, s[28:29], v7, v9, s[28:29]
	s_waitcnt lgkmcnt(0)
	v_add_co_u32_e64 v18, s[28:29], v1, v6
	v_addc_co_u32_e64 v19, s[28:29], v2, v7, s[28:29]
	buffer_load_dword v1, off, s[0:3], s33 offset:188 ; 4-byte Folded Reload
	buffer_load_dword v2, off, s[0:3], s33 offset:192 ; 4-byte Folded Reload
	s_waitcnt vmcnt(1)
	v_add_co_u32_e64 v20, s[28:29], v6, v1
	s_waitcnt vmcnt(0)
	v_addc_co_u32_e64 v21, s[28:29], v7, v2, s[28:29]
	s_branch .LBB4_5289
.LBB4_5288:                             ;   in Loop: Header=BB4_5289 Depth=3
	s_or_b64 exec, exec, s[28:29]
	v_lshl_or_b32 v1, v26, 8, v25
	v_lshlrev_b32_e32 v8, 16, v24
	v_lshlrev_b32_e32 v9, 24, v27
	v_or3_b32 v8, v1, v8, v9
	v_lshl_or_b32 v1, v7, 8, v6
	v_lshlrev_b32_e32 v6, 16, v35
	v_lshlrev_b32_e32 v7, 24, v37
	v_or3_b32 v7, v1, v6, v7
	;; [unrolled: 4-line block ×3, first 2 shown]
	v_lshlrev_b32_e32 v1, 24, v2
	v_lshlrev_b32_e32 v2, 16, v12
	v_lshl_or_b32 v6, v23, 8, v22
	v_or3_b32 v10, v6, v2, v1
	buffer_load_dword v1, off, s[0:3], s33 offset:68 ; 4-byte Folded Reload
	s_waitcnt vmcnt(0)
	v_add_co_u32_e64 v16, s[28:29], v16, v1
	v_addc_co_u32_e64 v17, s[28:29], 0, v17, s[28:29]
	v_add_co_u32_e64 v18, s[28:29], v18, v1
	v_addc_co_u32_e64 v19, s[28:29], 0, v19, s[28:29]
	global_store_dwordx4 v[20:21], v[7:10], off glc slc
	v_add_co_u32_e64 v20, s[28:29], v20, v1
	v_sub_u32_e32 v5, v5, v1
	buffer_load_dword v1, off, s[0:3], s33 offset:64 ; 4-byte Folded Reload
	v_addc_co_u32_e64 v21, s[28:29], 0, v21, s[28:29]
	v_cmp_gt_i32_e64 s[28:29], 16, v5
	s_or_b64 s[34:35], s[28:29], s[34:35]
	s_waitcnt vmcnt(0)
	v_sub_u32_e32 v31, v31, v1
	s_andn2_b64 exec, exec, s[34:35]
	s_cbranch_execz .LBB4_5737
.LBB4_5289:                             ;   Parent Loop BB4_47 Depth=1
                                        ;     Parent Loop BB4_2384 Depth=2
                                        ; =>    This Inner Loop Header: Depth=3
	global_load_dwordx4 v[12:15], v[16:17], off glc slc
	global_load_dwordx4 v[8:11], v[18:19], off glc slc
	v_mov_b32_e32 v2, 0
	s_waitcnt vmcnt(1)
	v_cmp_ne_u16_sdwa s[28:29], v12, v3 src0_sel:BYTE_0 src1_sel:DWORD
	s_and_saveexec_b64 s[40:41], s[28:29]
	s_cbranch_execz .LBB4_5295
; %bb.5290:                             ;   in Loop: Header=BB4_5289 Depth=3
	v_cmp_ne_u16_sdwa s[28:29], v12, s70 src0_sel:BYTE_0 src1_sel:DWORD
	v_bfrev_b32_e32 v2, 1
	s_and_saveexec_b64 s[36:37], s[28:29]
	s_cbranch_execz .LBB4_5294
; %bb.5291:                             ;   in Loop: Header=BB4_5289 Depth=3
	v_and_b32_e32 v1, 0x7f, v12
	v_cmp_ne_u32_e64 s[28:29], s71, v1
	v_mov_b32_e32 v2, 0x7f800001
	s_and_saveexec_b64 s[38:39], s[28:29]
	s_cbranch_execz .LBB4_5293
; %bb.5292:                             ;   in Loop: Header=BB4_5289 Depth=3
	v_and_b32_e32 v2, 7, v12
	v_lshrrev_b32_e32 v6, 3, v1
	v_cmp_gt_u32_e64 s[28:29], 8, v1
	v_ffbh_u32_e32 v1, v2
	v_min_u32_e32 v1, 32, v1
	v_subrev_u32_e32 v2, 28, v1
	v_sub_u32_e32 v1, 29, v1
	v_cndmask_b32_e64 v6, v6, v1, s[28:29]
	v_cndmask_b32_e64 v1, 0, v2, s[28:29]
	v_lshlrev_b64 v[1:2], v1, v[12:13]
	v_lshlrev_b32_e32 v2, 24, v12
	v_lshlrev_b32_e32 v1, 20, v1
	v_and_b32_e32 v1, 0x700000, v1
	v_and_b32_e32 v2, 0x80000000, v2
	v_lshl_add_u32 v6, v6, 23, v0
	v_or3_b32 v2, v2, v6, v1
.LBB4_5293:                             ;   in Loop: Header=BB4_5289 Depth=3
	s_or_b64 exec, exec, s[38:39]
.LBB4_5294:                             ;   in Loop: Header=BB4_5289 Depth=3
	s_or_b64 exec, exec, s[36:37]
.LBB4_5295:                             ;   in Loop: Header=BB4_5289 Depth=3
	s_or_b64 exec, exec, s[40:41]
	s_waitcnt vmcnt(0)
	v_cmp_gt_i16_sdwa s[40:41], v8, s71 src0_sel:BYTE_0 src1_sel:DWORD
	s_mov_b64 s[28:29], 0
	s_and_saveexec_b64 s[44:45], s[40:41]
	s_xor_b64 s[40:41], exec, s[44:45]
	s_cbranch_execz .LBB4_5717
; %bb.5296:                             ;   in Loop: Header=BB4_5289 Depth=3
	v_cmp_eq_u16_sdwa s[44:45], v8, s70 src0_sel:BYTE_0 src1_sel:DWORD
	s_mov_b64 s[28:29], -1
	s_and_saveexec_b64 s[36:37], s[44:45]
; %bb.5297:                             ;   in Loop: Header=BB4_5289 Depth=3
	s_xor_b64 s[28:29], exec, -1
; %bb.5298:                             ;   in Loop: Header=BB4_5289 Depth=3
	s_or_b64 exec, exec, s[36:37]
	s_and_b64 s[28:29], s[28:29], exec
	s_or_saveexec_b64 s[40:41], s[40:41]
	v_bfrev_b32_e32 v1, 1
	s_xor_b64 exec, exec, s[40:41]
	s_cbranch_execnz .LBB4_5718
.LBB4_5299:                             ;   in Loop: Header=BB4_5289 Depth=3
	s_or_b64 exec, exec, s[40:41]
	s_and_saveexec_b64 s[40:41], s[28:29]
	s_cbranch_execz .LBB4_5301
.LBB4_5300:                             ;   in Loop: Header=BB4_5289 Depth=3
	v_and_b32_e32 v1, 7, v8
	v_ffbh_u32_e32 v1, v1
	v_and_b32_e32 v22, 0x7f, v8
	v_min_u32_e32 v1, 32, v1
	v_bfe_u32 v6, v8, 3, 4
	v_subrev_u32_e32 v7, 28, v1
	v_sub_u32_e32 v1, 29, v1
	v_cmp_gt_u32_e64 s[28:29], 8, v22
	v_cndmask_b32_e64 v1, v6, v1, s[28:29]
	v_cndmask_b32_e64 v6, 0, v7, s[28:29]
	v_lshlrev_b64 v[6:7], v6, v[8:9]
	v_lshlrev_b32_e32 v7, 24, v8
	v_lshlrev_b32_e32 v6, 20, v6
	v_and_b32_e32 v6, 0x700000, v6
	v_and_b32_e32 v7, 0x80000000, v7
	v_lshl_add_u32 v1, v1, 23, v0
	v_or3_b32 v1, v7, v1, v6
	v_cmp_ne_u32_e64 s[28:29], s71, v22
	v_mov_b32_e32 v6, 0x7f800001
	v_cndmask_b32_e64 v1, v6, v1, s[28:29]
.LBB4_5301:                             ;   in Loop: Header=BB4_5289 Depth=3
	s_or_b64 exec, exec, s[40:41]
	v_mul_f32_e32 v22, v2, v1
	v_and_b32_e32 v2, 0x7f800000, v22
	v_cmp_ne_u64_e64 s[28:29], s[62:63], v[2:3]
                                        ; implicit-def: $vgpr6
	s_and_saveexec_b64 s[40:41], s[28:29]
	s_xor_b64 s[36:37], exec, s[40:41]
	s_cbranch_execz .LBB4_5315
; %bb.5302:                             ;   in Loop: Header=BB4_5289 Depth=3
	v_and_b32_e32 v2, 0x7fffffff, v22
	v_cmp_gt_u64_e64 s[28:29], s[72:73], v[2:3]
	v_and_b32_sdwa v7, v22, s70 dst_sel:DWORD dst_unused:UNUSED_PAD src0_sel:BYTE_3 src1_sel:DWORD
                                        ; implicit-def: $vgpr6
	s_and_saveexec_b64 s[40:41], s[28:29]
	s_xor_b64 s[38:39], exec, s[40:41]
	s_cbranch_execz .LBB4_5312
; %bb.5303:                             ;   in Loop: Header=BB4_5289 Depth=3
	v_mov_b32_e32 v6, 0
	v_cmp_ne_u32_e64 s[28:29], 0, v22
	s_and_saveexec_b64 s[48:49], s[28:29]
	s_cbranch_execz .LBB4_5311
; %bb.5304:                             ;   in Loop: Header=BB4_5289 Depth=3
	v_bfe_u32 v6, v22, 23, 8
	v_cmp_gt_u32_e64 s[40:41], s80, v6
	v_sub_u32_e32 v2, 0x79, v6
	v_and_b32_e32 v1, 0x7fffff, v22
	v_cmp_eq_u32_e64 s[28:29], 0, v6
	v_cndmask_b32_e64 v2, 0, v2, s[40:41]
	v_mov_b32_e32 v23, 0x78
	v_or_b32_e32 v22, 0x800000, v1
	v_cndmask_b32_e64 v25, v2, v23, s[28:29]
	v_cndmask_b32_e64 v2, v22, v1, s[28:29]
	v_add_u32_e32 v1, 20, v25
	v_lshlrev_b64 v[22:23], v1, -1
	v_add_u32_e32 v1, 19, v25
	v_lshlrev_b64 v[26:27], v1, 1
	v_bfi_b32 v23, v23, 0, 0
	v_bfi_b32 v22, v22, 0, v2
	v_cmp_eq_u64_e64 s[40:41], v[22:23], v[26:27]
	v_lshrrev_b64 v[22:23], v25, v[2:3]
	v_mov_b32_e32 v24, v23
	v_mov_b32_e32 v23, v22
	s_and_saveexec_b64 s[50:51], s[40:41]
; %bb.5305:                             ;   in Loop: Header=BB4_5289 Depth=3
	v_bfe_u32 v1, v22, 20, 1
	v_add_co_u32_e64 v1, s[40:41], v22, v1
	v_add_co_u32_e64 v23, s[40:41], -1, v1
; %bb.5306:                             ;   in Loop: Header=BB4_5289 Depth=3
	s_or_b64 exec, exec, s[50:51]
	v_add_u32_e32 v1, 0xffffff81, v6
	v_mov_b32_e32 v2, 0xffffff82
	v_cndmask_b32_e64 v1, v1, v2, s[28:29]
	v_lshrrev_b32_e32 v2, 23, v22
	v_add3_u32 v24, v25, v1, v2
	v_add_u32_e32 v1, 6, v24
	v_and_b32_e32 v2, 0xfffff, v23
	v_add_u32_e32 v2, v2, v22
	v_cmp_ne_u32_e64 s[28:29], 0, v1
                                        ; implicit-def: $vgpr22_vgpr23
                                        ; implicit-def: $vgpr6
	s_and_saveexec_b64 s[40:41], s[28:29]
	s_xor_b64 s[40:41], exec, s[40:41]
; %bb.5307:                             ;   in Loop: Header=BB4_5289 Depth=3
	v_cmp_lt_u64_e64 s[28:29], s[88:89], v[2:3]
	v_add_u32_e32 v6, 7, v24
	v_cndmask_b32_e64 v6, v1, v6, s[28:29]
	v_cndmask_b32_e64 v1, 0, 1, s[28:29]
	v_lshrrev_b64 v[22:23], v1, v[2:3]
; %bb.5308:                             ;   in Loop: Header=BB4_5289 Depth=3
	s_andn2_saveexec_b64 s[28:29], s[40:41]
; %bb.5309:                             ;   in Loop: Header=BB4_5289 Depth=3
	v_mov_b32_e32 v23, v3
	v_bfe_u32 v6, v2, 23, 1
	v_mov_b32_e32 v22, v2
; %bb.5310:                             ;   in Loop: Header=BB4_5289 Depth=3
	s_or_b64 exec, exec, s[28:29]
	v_lshrrev_b64 v[1:2], 20, v[22:23]
	v_cmp_gt_i32_e64 s[28:29], 16, v6
	v_cndmask_b32_e64 v2, 0, v2, s[28:29]
	v_cndmask_b32_e64 v1, 7, v1, s[28:29]
	v_cmp_eq_u64_e64 s[40:41], 0, v[1:2]
	v_min_i32_e32 v2, 15, v6
	v_lshlrev_b32_e32 v2, 3, v2
	v_cmp_eq_u32_e64 s[28:29], 0, v6
	v_and_b32_e32 v2, 0xf8, v2
	v_and_or_b32 v1, v1, 7, v2
	s_and_b64 s[28:29], s[28:29], s[40:41]
	v_cndmask_b32_e64 v1, v1, 0, s[28:29]
	v_or_b32_e32 v6, v1, v7
.LBB4_5311:                             ;   in Loop: Header=BB4_5289 Depth=3
	s_or_b64 exec, exec, s[48:49]
                                        ; implicit-def: $vgpr7
.LBB4_5312:                             ;   in Loop: Header=BB4_5289 Depth=3
	s_andn2_saveexec_b64 s[28:29], s[38:39]
; %bb.5313:                             ;   in Loop: Header=BB4_5289 Depth=3
	v_or_b32_e32 v6, 0x7e, v7
; %bb.5314:                             ;   in Loop: Header=BB4_5289 Depth=3
	s_or_b64 exec, exec, s[28:29]
                                        ; implicit-def: $vgpr22
.LBB4_5315:                             ;   in Loop: Header=BB4_5289 Depth=3
	s_andn2_saveexec_b64 s[28:29], s[36:37]
; %bb.5316:                             ;   in Loop: Header=BB4_5289 Depth=3
	v_or_b32_sdwa v6, v22, s71 dst_sel:DWORD dst_unused:UNUSED_PAD src0_sel:BYTE_3 src1_sel:DWORD
; %bb.5317:                             ;   in Loop: Header=BB4_5289 Depth=3
	s_or_b64 exec, exec, s[28:29]
	v_lshrrev_b16_e32 v2, 8, v12
	v_cmp_ne_u16_e64 s[28:29], 0, v2
	v_mov_b32_e32 v7, 0
	s_and_saveexec_b64 s[40:41], s[28:29]
	s_cbranch_execz .LBB4_5323
; %bb.5318:                             ;   in Loop: Header=BB4_5289 Depth=3
	v_cmp_ne_u16_e64 s[28:29], s70, v2
	v_bfrev_b32_e32 v7, 1
	s_and_saveexec_b64 s[36:37], s[28:29]
	s_cbranch_execz .LBB4_5322
; %bb.5319:                             ;   in Loop: Header=BB4_5289 Depth=3
	v_and_b32_e32 v1, 0x7f, v2
	v_cmp_ne_u32_e64 s[28:29], s71, v1
	v_mov_b32_e32 v7, 0x7f800001
	s_and_saveexec_b64 s[38:39], s[28:29]
	s_cbranch_execz .LBB4_5321
; %bb.5320:                             ;   in Loop: Header=BB4_5289 Depth=3
	v_and_b32_e32 v7, 7, v2
	v_lshrrev_b32_e32 v22, 3, v1
	v_cmp_gt_u32_e64 s[28:29], 8, v1
	v_ffbh_u32_e32 v1, v7
	v_min_u32_e32 v23, 32, v1
	v_subrev_u32_e32 v1, 28, v23
	v_lshlrev_b64 v[1:2], v1, v[2:3]
	v_sub_u32_e32 v2, 29, v23
	v_and_b32_e32 v1, 7, v1
	v_cndmask_b32_e64 v2, v22, v2, s[28:29]
	v_cndmask_b32_e64 v1, v7, v1, s[28:29]
	v_lshlrev_b32_e32 v7, 16, v12
	v_lshlrev_b32_e32 v1, 20, v1
	v_and_b32_e32 v7, 0x80000000, v7
	v_lshl_add_u32 v2, v2, 23, v0
	v_or3_b32 v7, v7, v2, v1
.LBB4_5321:                             ;   in Loop: Header=BB4_5289 Depth=3
	s_or_b64 exec, exec, s[38:39]
.LBB4_5322:                             ;   in Loop: Header=BB4_5289 Depth=3
	s_or_b64 exec, exec, s[36:37]
.LBB4_5323:                             ;   in Loop: Header=BB4_5289 Depth=3
	s_or_b64 exec, exec, s[40:41]
	v_lshrrev_b16_e32 v2, 8, v8
	v_cmp_lt_i16_e64 s[28:29], s71, v2
	s_mov_b64 s[40:41], 0
	s_and_saveexec_b64 s[44:45], s[28:29]
	s_xor_b64 s[36:37], exec, s[44:45]
	s_cbranch_execz .LBB4_5719
; %bb.5324:                             ;   in Loop: Header=BB4_5289 Depth=3
	v_cmp_eq_u16_e64 s[28:29], s70, v2
	s_mov_b64 s[40:41], -1
	s_and_saveexec_b64 s[38:39], s[28:29]
; %bb.5325:                             ;   in Loop: Header=BB4_5289 Depth=3
	s_xor_b64 s[40:41], exec, -1
; %bb.5326:                             ;   in Loop: Header=BB4_5289 Depth=3
	s_or_b64 exec, exec, s[38:39]
	s_and_b64 s[40:41], s[40:41], exec
	s_or_saveexec_b64 s[36:37], s[36:37]
	v_bfrev_b32_e32 v1, 1
	s_xor_b64 exec, exec, s[36:37]
	s_cbranch_execnz .LBB4_5720
.LBB4_5327:                             ;   in Loop: Header=BB4_5289 Depth=3
	s_or_b64 exec, exec, s[36:37]
	s_and_saveexec_b64 s[36:37], s[40:41]
	s_cbranch_execz .LBB4_5329
.LBB4_5328:                             ;   in Loop: Header=BB4_5289 Depth=3
	v_and_b32_e32 v1, 7, v2
	v_ffbh_u32_e32 v22, v1
	v_min_u32_e32 v26, 32, v22
	v_subrev_u32_e32 v22, 28, v26
	v_lshlrev_b64 v[22:23], v22, v[2:3]
	v_and_b32_e32 v24, 0x7f, v2
	v_bfe_u32 v25, v2, 3, 4
	v_sub_u32_e32 v23, 29, v26
	v_and_b32_e32 v22, 7, v22
	v_cmp_gt_u32_e64 s[28:29], 8, v24
	v_cndmask_b32_e64 v23, v25, v23, s[28:29]
	v_cndmask_b32_e64 v1, v1, v22, s[28:29]
	v_lshlrev_b32_e32 v2, 24, v2
	v_lshlrev_b32_e32 v1, 20, v1
	v_and_b32_e32 v2, 0x80000000, v2
	v_lshl_add_u32 v22, v23, 23, v0
	v_or3_b32 v1, v2, v22, v1
	v_cmp_ne_u32_e64 s[28:29], s71, v24
	v_mov_b32_e32 v2, 0x7f800001
	v_cndmask_b32_e64 v1, v2, v1, s[28:29]
.LBB4_5329:                             ;   in Loop: Header=BB4_5289 Depth=3
	s_or_b64 exec, exec, s[36:37]
	v_mul_f32_e32 v22, v7, v1
	v_and_b32_e32 v2, 0x7f800000, v22
	v_cmp_ne_u64_e64 s[28:29], s[62:63], v[2:3]
                                        ; implicit-def: $vgpr7
	s_and_saveexec_b64 s[40:41], s[28:29]
	s_xor_b64 s[36:37], exec, s[40:41]
	s_cbranch_execz .LBB4_5343
; %bb.5330:                             ;   in Loop: Header=BB4_5289 Depth=3
	v_and_b32_e32 v2, 0x7fffffff, v22
	v_cmp_gt_u64_e64 s[28:29], s[72:73], v[2:3]
	v_and_b32_sdwa v25, v22, s70 dst_sel:DWORD dst_unused:UNUSED_PAD src0_sel:BYTE_3 src1_sel:DWORD
                                        ; implicit-def: $vgpr7
	s_and_saveexec_b64 s[40:41], s[28:29]
	s_xor_b64 s[38:39], exec, s[40:41]
	s_cbranch_execz .LBB4_5340
; %bb.5331:                             ;   in Loop: Header=BB4_5289 Depth=3
	v_mov_b32_e32 v7, 0
	v_cmp_ne_u32_e64 s[28:29], 0, v22
	s_and_saveexec_b64 s[48:49], s[28:29]
	s_cbranch_execz .LBB4_5339
; %bb.5332:                             ;   in Loop: Header=BB4_5289 Depth=3
	v_bfe_u32 v7, v22, 23, 8
	v_cmp_gt_u32_e64 s[40:41], s80, v7
	v_sub_u32_e32 v2, 0x79, v7
	v_and_b32_e32 v1, 0x7fffff, v22
	v_cmp_eq_u32_e64 s[28:29], 0, v7
	v_cndmask_b32_e64 v2, 0, v2, s[40:41]
	v_mov_b32_e32 v23, 0x78
	v_or_b32_e32 v22, 0x800000, v1
	v_cndmask_b32_e64 v26, v2, v23, s[28:29]
	v_cndmask_b32_e64 v2, v22, v1, s[28:29]
	v_add_u32_e32 v1, 20, v26
	v_lshlrev_b64 v[22:23], v1, -1
	v_add_u32_e32 v1, 19, v26
	v_lshlrev_b64 v[35:36], v1, 1
	v_bfi_b32 v23, v23, 0, 0
	v_bfi_b32 v22, v22, 0, v2
	v_cmp_eq_u64_e64 s[40:41], v[22:23], v[35:36]
	v_lshrrev_b64 v[22:23], v26, v[2:3]
	v_mov_b32_e32 v24, v23
	v_mov_b32_e32 v23, v22
	s_and_saveexec_b64 s[50:51], s[40:41]
; %bb.5333:                             ;   in Loop: Header=BB4_5289 Depth=3
	v_bfe_u32 v1, v22, 20, 1
	v_add_co_u32_e64 v1, s[40:41], v22, v1
	v_add_co_u32_e64 v23, s[40:41], -1, v1
; %bb.5334:                             ;   in Loop: Header=BB4_5289 Depth=3
	s_or_b64 exec, exec, s[50:51]
	v_add_u32_e32 v1, 0xffffff81, v7
	v_mov_b32_e32 v2, 0xffffff82
	v_cndmask_b32_e64 v1, v1, v2, s[28:29]
	v_lshrrev_b32_e32 v2, 23, v22
	v_add3_u32 v24, v26, v1, v2
	v_add_u32_e32 v1, 6, v24
	v_and_b32_e32 v2, 0xfffff, v23
	v_add_u32_e32 v2, v2, v22
	v_cmp_ne_u32_e64 s[28:29], 0, v1
                                        ; implicit-def: $vgpr22_vgpr23
                                        ; implicit-def: $vgpr7
	s_and_saveexec_b64 s[40:41], s[28:29]
	s_xor_b64 s[40:41], exec, s[40:41]
; %bb.5335:                             ;   in Loop: Header=BB4_5289 Depth=3
	v_cmp_lt_u64_e64 s[28:29], s[88:89], v[2:3]
	v_add_u32_e32 v7, 7, v24
	v_cndmask_b32_e64 v7, v1, v7, s[28:29]
	v_cndmask_b32_e64 v1, 0, 1, s[28:29]
	v_lshrrev_b64 v[22:23], v1, v[2:3]
; %bb.5336:                             ;   in Loop: Header=BB4_5289 Depth=3
	s_andn2_saveexec_b64 s[28:29], s[40:41]
; %bb.5337:                             ;   in Loop: Header=BB4_5289 Depth=3
	v_mov_b32_e32 v23, v3
	v_bfe_u32 v7, v2, 23, 1
	v_mov_b32_e32 v22, v2
; %bb.5338:                             ;   in Loop: Header=BB4_5289 Depth=3
	s_or_b64 exec, exec, s[28:29]
	v_lshrrev_b64 v[1:2], 20, v[22:23]
	v_cmp_gt_i32_e64 s[28:29], 16, v7
	v_cndmask_b32_e64 v2, 0, v2, s[28:29]
	v_cndmask_b32_e64 v1, 7, v1, s[28:29]
	v_cmp_eq_u64_e64 s[40:41], 0, v[1:2]
	v_min_i32_e32 v2, 15, v7
	v_lshlrev_b32_e32 v2, 3, v2
	v_cmp_eq_u32_e64 s[28:29], 0, v7
	v_and_b32_e32 v2, 0xf8, v2
	v_and_or_b32 v1, v1, 7, v2
	s_and_b64 s[28:29], s[28:29], s[40:41]
	v_cndmask_b32_e64 v1, v1, 0, s[28:29]
	v_or_b32_e32 v7, v1, v25
.LBB4_5339:                             ;   in Loop: Header=BB4_5289 Depth=3
	s_or_b64 exec, exec, s[48:49]
                                        ; implicit-def: $vgpr25
.LBB4_5340:                             ;   in Loop: Header=BB4_5289 Depth=3
	s_andn2_saveexec_b64 s[28:29], s[38:39]
; %bb.5341:                             ;   in Loop: Header=BB4_5289 Depth=3
	v_or_b32_e32 v7, 0x7e, v25
; %bb.5342:                             ;   in Loop: Header=BB4_5289 Depth=3
	s_or_b64 exec, exec, s[28:29]
                                        ; implicit-def: $vgpr22
.LBB4_5343:                             ;   in Loop: Header=BB4_5289 Depth=3
	s_andn2_saveexec_b64 s[28:29], s[36:37]
; %bb.5344:                             ;   in Loop: Header=BB4_5289 Depth=3
	v_or_b32_sdwa v7, v22, s71 dst_sel:DWORD dst_unused:UNUSED_PAD src0_sel:BYTE_3 src1_sel:DWORD
; %bb.5345:                             ;   in Loop: Header=BB4_5289 Depth=3
	s_or_b64 exec, exec, s[28:29]
	v_lshrrev_b32_e32 v2, 16, v12
	v_cmp_ne_u16_sdwa s[28:29], v2, v3 src0_sel:BYTE_0 src1_sel:DWORD
	v_mov_b32_e32 v22, 0
	s_and_saveexec_b64 s[40:41], s[28:29]
	s_cbranch_execz .LBB4_5351
; %bb.5346:                             ;   in Loop: Header=BB4_5289 Depth=3
	v_cmp_ne_u16_sdwa s[28:29], v2, s70 src0_sel:BYTE_0 src1_sel:DWORD
	v_bfrev_b32_e32 v22, 1
	s_and_saveexec_b64 s[36:37], s[28:29]
	s_cbranch_execz .LBB4_5350
; %bb.5347:                             ;   in Loop: Header=BB4_5289 Depth=3
	v_bfe_u32 v1, v12, 16, 7
	v_cmp_ne_u32_e64 s[28:29], s71, v1
	v_mov_b32_e32 v22, 0x7f800001
	s_and_saveexec_b64 s[38:39], s[28:29]
	s_cbranch_execz .LBB4_5349
; %bb.5348:                             ;   in Loop: Header=BB4_5289 Depth=3
	v_and_b32_e32 v24, 7, v2
	v_lshrrev_b32_e32 v25, 3, v1
	v_cmp_gt_u32_e64 s[28:29], 8, v1
	v_ffbh_u32_e32 v1, v24
	v_min_u32_e32 v1, 32, v1
	v_subrev_u32_e32 v22, 28, v1
	v_lshlrev_b64 v[22:23], v22, v[2:3]
	v_sub_u32_e32 v1, 29, v1
	v_and_b32_e32 v22, 7, v22
	v_cndmask_b32_e64 v1, v25, v1, s[28:29]
	v_cndmask_b32_e64 v22, v24, v22, s[28:29]
	v_lshlrev_b32_e32 v2, 24, v2
	v_lshlrev_b32_e32 v22, 20, v22
	v_and_b32_e32 v2, 0x80000000, v2
	v_lshl_add_u32 v1, v1, 23, v0
	v_or3_b32 v22, v2, v1, v22
.LBB4_5349:                             ;   in Loop: Header=BB4_5289 Depth=3
	s_or_b64 exec, exec, s[38:39]
.LBB4_5350:                             ;   in Loop: Header=BB4_5289 Depth=3
	s_or_b64 exec, exec, s[36:37]
.LBB4_5351:                             ;   in Loop: Header=BB4_5289 Depth=3
	s_or_b64 exec, exec, s[40:41]
	v_lshrrev_b32_e32 v2, 16, v8
	v_cmp_gt_i16_sdwa s[40:41], v2, s71 src0_sel:BYTE_0 src1_sel:DWORD
	s_mov_b64 s[28:29], 0
	s_and_saveexec_b64 s[44:45], s[40:41]
	s_xor_b64 s[40:41], exec, s[44:45]
	s_cbranch_execz .LBB4_5721
; %bb.5352:                             ;   in Loop: Header=BB4_5289 Depth=3
	v_cmp_eq_u16_sdwa s[44:45], v2, s70 src0_sel:BYTE_0 src1_sel:DWORD
	s_mov_b64 s[28:29], -1
	s_and_saveexec_b64 s[36:37], s[44:45]
; %bb.5353:                             ;   in Loop: Header=BB4_5289 Depth=3
	s_xor_b64 s[28:29], exec, -1
; %bb.5354:                             ;   in Loop: Header=BB4_5289 Depth=3
	s_or_b64 exec, exec, s[36:37]
	s_and_b64 s[28:29], s[28:29], exec
	s_or_saveexec_b64 s[40:41], s[40:41]
	v_bfrev_b32_e32 v1, 1
	s_xor_b64 exec, exec, s[40:41]
	s_cbranch_execnz .LBB4_5722
.LBB4_5355:                             ;   in Loop: Header=BB4_5289 Depth=3
	s_or_b64 exec, exec, s[40:41]
	s_and_saveexec_b64 s[40:41], s[28:29]
	s_cbranch_execz .LBB4_5357
.LBB4_5356:                             ;   in Loop: Header=BB4_5289 Depth=3
	v_and_b32_e32 v1, 7, v2
	v_ffbh_u32_e32 v23, v1
	v_min_u32_e32 v27, 32, v23
	v_subrev_u32_e32 v23, 28, v27
	v_lshlrev_b64 v[23:24], v23, v[2:3]
	v_and_b32_e32 v25, 0x7f, v2
	v_bfe_u32 v26, v2, 3, 4
	v_sub_u32_e32 v24, 29, v27
	v_and_b32_e32 v23, 7, v23
	v_cmp_gt_u32_e64 s[28:29], 8, v25
	v_cndmask_b32_e64 v24, v26, v24, s[28:29]
	v_cndmask_b32_e64 v1, v1, v23, s[28:29]
	v_lshlrev_b32_e32 v2, 24, v2
	v_lshlrev_b32_e32 v1, 20, v1
	v_and_b32_e32 v2, 0x80000000, v2
	v_lshl_add_u32 v23, v24, 23, v0
	v_or3_b32 v1, v2, v23, v1
	v_cmp_ne_u32_e64 s[28:29], s71, v25
	v_mov_b32_e32 v2, 0x7f800001
	v_cndmask_b32_e64 v1, v2, v1, s[28:29]
.LBB4_5357:                             ;   in Loop: Header=BB4_5289 Depth=3
	s_or_b64 exec, exec, s[40:41]
	v_mul_f32_e32 v22, v22, v1
	v_and_b32_e32 v2, 0x7f800000, v22
	v_cmp_ne_u64_e64 s[28:29], s[62:63], v[2:3]
                                        ; implicit-def: $vgpr35
	s_and_saveexec_b64 s[40:41], s[28:29]
	s_xor_b64 s[36:37], exec, s[40:41]
	s_cbranch_execz .LBB4_5371
; %bb.5358:                             ;   in Loop: Header=BB4_5289 Depth=3
	v_and_b32_e32 v2, 0x7fffffff, v22
	v_cmp_gt_u64_e64 s[28:29], s[72:73], v[2:3]
	v_and_b32_sdwa v25, v22, s70 dst_sel:DWORD dst_unused:UNUSED_PAD src0_sel:BYTE_3 src1_sel:DWORD
                                        ; implicit-def: $vgpr35
	s_and_saveexec_b64 s[40:41], s[28:29]
	s_xor_b64 s[38:39], exec, s[40:41]
	s_cbranch_execz .LBB4_5368
; %bb.5359:                             ;   in Loop: Header=BB4_5289 Depth=3
	v_mov_b32_e32 v35, 0
	v_cmp_ne_u32_e64 s[28:29], 0, v22
	s_and_saveexec_b64 s[48:49], s[28:29]
	s_cbranch_execz .LBB4_5367
; %bb.5360:                             ;   in Loop: Header=BB4_5289 Depth=3
	v_bfe_u32 v26, v22, 23, 8
	v_cmp_gt_u32_e64 s[40:41], s80, v26
	v_sub_u32_e32 v2, 0x79, v26
	v_and_b32_e32 v1, 0x7fffff, v22
	v_cmp_eq_u32_e64 s[28:29], 0, v26
	v_cndmask_b32_e64 v2, 0, v2, s[40:41]
	v_mov_b32_e32 v23, 0x78
	v_or_b32_e32 v22, 0x800000, v1
	v_cndmask_b32_e64 v27, v2, v23, s[28:29]
	v_cndmask_b32_e64 v2, v22, v1, s[28:29]
	v_add_u32_e32 v1, 20, v27
	v_lshlrev_b64 v[22:23], v1, -1
	v_add_u32_e32 v1, 19, v27
	v_lshlrev_b64 v[35:36], v1, 1
	v_bfi_b32 v23, v23, 0, 0
	v_bfi_b32 v22, v22, 0, v2
	v_cmp_eq_u64_e64 s[40:41], v[22:23], v[35:36]
	v_lshrrev_b64 v[22:23], v27, v[2:3]
	v_mov_b32_e32 v24, v23
	v_mov_b32_e32 v23, v22
	s_and_saveexec_b64 s[50:51], s[40:41]
; %bb.5361:                             ;   in Loop: Header=BB4_5289 Depth=3
	v_bfe_u32 v1, v22, 20, 1
	v_add_co_u32_e64 v1, s[40:41], v22, v1
	v_add_co_u32_e64 v23, s[40:41], -1, v1
; %bb.5362:                             ;   in Loop: Header=BB4_5289 Depth=3
	s_or_b64 exec, exec, s[50:51]
	v_add_u32_e32 v1, 0xffffff81, v26
	v_mov_b32_e32 v2, 0xffffff82
	v_cndmask_b32_e64 v1, v1, v2, s[28:29]
	v_lshrrev_b32_e32 v2, 23, v22
	v_add3_u32 v26, v27, v1, v2
	v_add_u32_e32 v1, 6, v26
	v_and_b32_e32 v2, 0xfffff, v23
	v_add_u32_e32 v2, v2, v22
	v_cmp_ne_u32_e64 s[28:29], 0, v1
                                        ; implicit-def: $vgpr22_vgpr23
                                        ; implicit-def: $vgpr24
	s_and_saveexec_b64 s[40:41], s[28:29]
	s_xor_b64 s[40:41], exec, s[40:41]
; %bb.5363:                             ;   in Loop: Header=BB4_5289 Depth=3
	v_cmp_lt_u64_e64 s[28:29], s[88:89], v[2:3]
	v_add_u32_e32 v22, 7, v26
	v_cndmask_b32_e64 v24, v1, v22, s[28:29]
	v_cndmask_b32_e64 v1, 0, 1, s[28:29]
	v_lshrrev_b64 v[22:23], v1, v[2:3]
; %bb.5364:                             ;   in Loop: Header=BB4_5289 Depth=3
	s_andn2_saveexec_b64 s[28:29], s[40:41]
; %bb.5365:                             ;   in Loop: Header=BB4_5289 Depth=3
	v_mov_b32_e32 v23, v3
	v_bfe_u32 v24, v2, 23, 1
	v_mov_b32_e32 v22, v2
; %bb.5366:                             ;   in Loop: Header=BB4_5289 Depth=3
	s_or_b64 exec, exec, s[28:29]
	v_lshrrev_b64 v[1:2], 20, v[22:23]
	v_cmp_gt_i32_e64 s[28:29], 16, v24
	v_cndmask_b32_e64 v2, 0, v2, s[28:29]
	v_cndmask_b32_e64 v1, 7, v1, s[28:29]
	v_cmp_eq_u64_e64 s[40:41], 0, v[1:2]
	v_min_i32_e32 v2, 15, v24
	v_lshlrev_b32_e32 v2, 3, v2
	v_cmp_eq_u32_e64 s[28:29], 0, v24
	v_and_b32_e32 v2, 0xf8, v2
	v_and_or_b32 v1, v1, 7, v2
	s_and_b64 s[28:29], s[28:29], s[40:41]
	v_cndmask_b32_e64 v1, v1, 0, s[28:29]
	v_or_b32_e32 v35, v1, v25
.LBB4_5367:                             ;   in Loop: Header=BB4_5289 Depth=3
	s_or_b64 exec, exec, s[48:49]
                                        ; implicit-def: $vgpr25
.LBB4_5368:                             ;   in Loop: Header=BB4_5289 Depth=3
	s_andn2_saveexec_b64 s[28:29], s[38:39]
; %bb.5369:                             ;   in Loop: Header=BB4_5289 Depth=3
	v_or_b32_e32 v35, 0x7e, v25
; %bb.5370:                             ;   in Loop: Header=BB4_5289 Depth=3
	s_or_b64 exec, exec, s[28:29]
                                        ; implicit-def: $vgpr22
.LBB4_5371:                             ;   in Loop: Header=BB4_5289 Depth=3
	s_andn2_saveexec_b64 s[28:29], s[36:37]
; %bb.5372:                             ;   in Loop: Header=BB4_5289 Depth=3
	v_or_b32_sdwa v35, v22, s71 dst_sel:DWORD dst_unused:UNUSED_PAD src0_sel:BYTE_3 src1_sel:DWORD
; %bb.5373:                             ;   in Loop: Header=BB4_5289 Depth=3
	s_or_b64 exec, exec, s[28:29]
	v_cmp_lt_u32_e64 s[28:29], s57, v12
	v_mov_b32_e32 v22, 0
	s_and_saveexec_b64 s[40:41], s[28:29]
	s_cbranch_execz .LBB4_5379
; %bb.5374:                             ;   in Loop: Header=BB4_5289 Depth=3
	v_lshrrev_b32_e32 v2, 24, v12
	v_cmp_ne_u32_e64 s[28:29], s70, v2
	v_bfrev_b32_e32 v22, 1
	s_and_saveexec_b64 s[36:37], s[28:29]
	s_cbranch_execz .LBB4_5378
; %bb.5375:                             ;   in Loop: Header=BB4_5289 Depth=3
	v_bfe_u32 v1, v12, 24, 7
	v_cmp_ne_u32_e64 s[28:29], s71, v1
	v_mov_b32_e32 v22, 0x7f800001
	s_and_saveexec_b64 s[38:39], s[28:29]
	s_cbranch_execz .LBB4_5377
; %bb.5376:                             ;   in Loop: Header=BB4_5289 Depth=3
	v_and_b32_e32 v24, 7, v2
	v_lshrrev_b32_e32 v25, 3, v1
	v_cmp_gt_u32_e64 s[28:29], 8, v1
	v_ffbh_u32_e32 v1, v24
	v_min_u32_e32 v1, 32, v1
	v_subrev_u32_e32 v22, 28, v1
	v_lshlrev_b64 v[22:23], v22, v[2:3]
	v_sub_u32_e32 v1, 29, v1
	v_and_b32_e32 v22, 7, v22
	v_cndmask_b32_e64 v1, v25, v1, s[28:29]
	v_cndmask_b32_e64 v22, v24, v22, s[28:29]
	v_lshlrev_b32_e32 v2, 24, v2
	v_lshlrev_b32_e32 v22, 20, v22
	v_and_b32_e32 v2, 0x80000000, v2
	v_lshl_add_u32 v1, v1, 23, v0
	v_or3_b32 v22, v2, v1, v22
.LBB4_5377:                             ;   in Loop: Header=BB4_5289 Depth=3
	s_or_b64 exec, exec, s[38:39]
.LBB4_5378:                             ;   in Loop: Header=BB4_5289 Depth=3
	s_or_b64 exec, exec, s[36:37]
.LBB4_5379:                             ;   in Loop: Header=BB4_5289 Depth=3
	s_or_b64 exec, exec, s[40:41]
	v_bfe_u32 v2, v8, 24, 3
	v_ffbh_u32_e32 v23, v2
	v_min_u32_e32 v27, 32, v23
	v_lshrrev_b32_e32 v1, 24, v8
	v_subrev_u32_e32 v23, 28, v27
	v_lshlrev_b64 v[23:24], v23, v[1:2]
	v_bfe_u32 v25, v8, 24, 7
	v_bfe_u32 v26, v1, 3, 4
	v_sub_u32_e32 v24, 29, v27
	v_and_b32_e32 v23, 7, v23
	v_cmp_gt_u32_e64 s[28:29], 8, v25
	v_cndmask_b32_e64 v24, v26, v24, s[28:29]
	v_cndmask_b32_e64 v2, v2, v23, s[28:29]
	v_lshlrev_b32_e32 v2, 20, v2
	v_and_b32_e32 v23, 0x80000000, v8
	v_lshl_add_u32 v24, v24, 23, v0
	v_or3_b32 v2, v23, v24, v2
	v_cmp_ne_u32_e64 s[28:29], s71, v25
	v_mov_b32_e32 v23, 0x7f800001
	v_cndmask_b32_e64 v2, v23, v2, s[28:29]
	v_cmp_ne_u32_e64 s[28:29], s70, v1
	v_bfrev_b32_e32 v1, 1
	v_cndmask_b32_e64 v1, v1, v2, s[28:29]
	v_cmp_lt_u32_e64 s[28:29], s57, v8
	v_cndmask_b32_e64 v1, 0, v1, s[28:29]
	v_mul_f32_e32 v22, v1, v22
	v_and_b32_e32 v2, 0x7f800000, v22
	v_cmp_ne_u64_e64 s[28:29], s[62:63], v[2:3]
                                        ; implicit-def: $vgpr37
	s_and_saveexec_b64 s[40:41], s[28:29]
	s_xor_b64 s[36:37], exec, s[40:41]
	s_cbranch_execz .LBB4_5393
; %bb.5380:                             ;   in Loop: Header=BB4_5289 Depth=3
	v_and_b32_e32 v2, 0x7fffffff, v22
	v_cmp_gt_u64_e64 s[28:29], s[72:73], v[2:3]
	v_and_b32_sdwa v25, v22, s70 dst_sel:DWORD dst_unused:UNUSED_PAD src0_sel:BYTE_3 src1_sel:DWORD
                                        ; implicit-def: $vgpr37
	s_and_saveexec_b64 s[40:41], s[28:29]
	s_xor_b64 s[38:39], exec, s[40:41]
	s_cbranch_execz .LBB4_5390
; %bb.5381:                             ;   in Loop: Header=BB4_5289 Depth=3
	v_mov_b32_e32 v37, 0
	v_cmp_ne_u32_e64 s[28:29], 0, v22
	s_and_saveexec_b64 s[48:49], s[28:29]
	s_cbranch_execz .LBB4_5389
; %bb.5382:                             ;   in Loop: Header=BB4_5289 Depth=3
	v_bfe_u32 v26, v22, 23, 8
	v_cmp_gt_u32_e64 s[40:41], s80, v26
	v_sub_u32_e32 v2, 0x79, v26
	v_and_b32_e32 v1, 0x7fffff, v22
	v_cmp_eq_u32_e64 s[28:29], 0, v26
	v_cndmask_b32_e64 v2, 0, v2, s[40:41]
	v_mov_b32_e32 v23, 0x78
	v_or_b32_e32 v22, 0x800000, v1
	v_cndmask_b32_e64 v27, v2, v23, s[28:29]
	v_cndmask_b32_e64 v2, v22, v1, s[28:29]
	v_add_u32_e32 v1, 20, v27
	v_lshlrev_b64 v[22:23], v1, -1
	v_add_u32_e32 v1, 19, v27
	v_lshlrev_b64 v[36:37], v1, 1
	v_bfi_b32 v23, v23, 0, 0
	v_bfi_b32 v22, v22, 0, v2
	v_cmp_eq_u64_e64 s[40:41], v[22:23], v[36:37]
	v_lshrrev_b64 v[22:23], v27, v[2:3]
	v_mov_b32_e32 v24, v23
	v_mov_b32_e32 v23, v22
	s_and_saveexec_b64 s[50:51], s[40:41]
; %bb.5383:                             ;   in Loop: Header=BB4_5289 Depth=3
	v_bfe_u32 v1, v22, 20, 1
	v_add_co_u32_e64 v1, s[40:41], v22, v1
	v_add_co_u32_e64 v23, s[40:41], -1, v1
; %bb.5384:                             ;   in Loop: Header=BB4_5289 Depth=3
	s_or_b64 exec, exec, s[50:51]
	v_add_u32_e32 v1, 0xffffff81, v26
	v_mov_b32_e32 v2, 0xffffff82
	v_cndmask_b32_e64 v1, v1, v2, s[28:29]
	v_lshrrev_b32_e32 v2, 23, v22
	v_add3_u32 v26, v27, v1, v2
	v_add_u32_e32 v1, 6, v26
	v_and_b32_e32 v2, 0xfffff, v23
	v_add_u32_e32 v2, v2, v22
	v_cmp_ne_u32_e64 s[28:29], 0, v1
                                        ; implicit-def: $vgpr22_vgpr23
                                        ; implicit-def: $vgpr24
	s_and_saveexec_b64 s[40:41], s[28:29]
	s_xor_b64 s[40:41], exec, s[40:41]
; %bb.5385:                             ;   in Loop: Header=BB4_5289 Depth=3
	v_cmp_lt_u64_e64 s[28:29], s[88:89], v[2:3]
	v_add_u32_e32 v22, 7, v26
	v_cndmask_b32_e64 v24, v1, v22, s[28:29]
	v_cndmask_b32_e64 v1, 0, 1, s[28:29]
	v_lshrrev_b64 v[22:23], v1, v[2:3]
; %bb.5386:                             ;   in Loop: Header=BB4_5289 Depth=3
	s_andn2_saveexec_b64 s[28:29], s[40:41]
; %bb.5387:                             ;   in Loop: Header=BB4_5289 Depth=3
	v_mov_b32_e32 v23, v3
	v_bfe_u32 v24, v2, 23, 1
	v_mov_b32_e32 v22, v2
; %bb.5388:                             ;   in Loop: Header=BB4_5289 Depth=3
	s_or_b64 exec, exec, s[28:29]
	v_lshrrev_b64 v[1:2], 20, v[22:23]
	v_cmp_gt_i32_e64 s[28:29], 16, v24
	v_cndmask_b32_e64 v2, 0, v2, s[28:29]
	v_cndmask_b32_e64 v1, 7, v1, s[28:29]
	v_cmp_eq_u64_e64 s[40:41], 0, v[1:2]
	v_min_i32_e32 v2, 15, v24
	v_lshlrev_b32_e32 v2, 3, v2
	v_cmp_eq_u32_e64 s[28:29], 0, v24
	v_and_b32_e32 v2, 0xf8, v2
	v_and_or_b32 v1, v1, 7, v2
	s_and_b64 s[28:29], s[28:29], s[40:41]
	v_cndmask_b32_e64 v1, v1, 0, s[28:29]
	v_or_b32_e32 v37, v1, v25
.LBB4_5389:                             ;   in Loop: Header=BB4_5289 Depth=3
	s_or_b64 exec, exec, s[48:49]
                                        ; implicit-def: $vgpr25
.LBB4_5390:                             ;   in Loop: Header=BB4_5289 Depth=3
	s_andn2_saveexec_b64 s[28:29], s[38:39]
; %bb.5391:                             ;   in Loop: Header=BB4_5289 Depth=3
	v_or_b32_e32 v37, 0x7e, v25
; %bb.5392:                             ;   in Loop: Header=BB4_5289 Depth=3
	s_or_b64 exec, exec, s[28:29]
                                        ; implicit-def: $vgpr22
.LBB4_5393:                             ;   in Loop: Header=BB4_5289 Depth=3
	s_andn2_saveexec_b64 s[28:29], s[36:37]
; %bb.5394:                             ;   in Loop: Header=BB4_5289 Depth=3
	v_or_b32_sdwa v37, v22, s71 dst_sel:DWORD dst_unused:UNUSED_PAD src0_sel:BYTE_3 src1_sel:DWORD
; %bb.5395:                             ;   in Loop: Header=BB4_5289 Depth=3
	s_or_b64 exec, exec, s[28:29]
	v_mov_b32_e32 v2, v13
	v_cmp_ne_u16_sdwa s[28:29], v13, v3 src0_sel:BYTE_0 src1_sel:DWORD
	v_mov_b32_e32 v24, 0
	s_and_saveexec_b64 s[40:41], s[28:29]
	s_cbranch_execz .LBB4_5401
; %bb.5396:                             ;   in Loop: Header=BB4_5289 Depth=3
	v_cmp_ne_u16_sdwa s[28:29], v13, s70 src0_sel:BYTE_0 src1_sel:DWORD
	v_bfrev_b32_e32 v24, 1
	s_and_saveexec_b64 s[36:37], s[28:29]
	s_cbranch_execz .LBB4_5400
; %bb.5397:                             ;   in Loop: Header=BB4_5289 Depth=3
	v_and_b32_e32 v1, 0x7f, v13
	v_cmp_ne_u32_e64 s[28:29], s71, v1
	v_mov_b32_e32 v24, 0x7f800001
	s_and_saveexec_b64 s[38:39], s[28:29]
	s_cbranch_execz .LBB4_5399
; %bb.5398:                             ;   in Loop: Header=BB4_5289 Depth=3
	v_and_b32_e32 v22, 7, v13
	v_lshrrev_b32_e32 v23, 3, v1
	v_cmp_gt_u32_e64 s[28:29], 8, v1
	v_ffbh_u32_e32 v1, v22
	v_min_u32_e32 v1, 32, v1
	v_subrev_u32_e32 v22, 28, v1
	v_sub_u32_e32 v1, 29, v1
	v_cndmask_b32_e64 v22, 0, v22, s[28:29]
	v_cndmask_b32_e64 v1, v23, v1, s[28:29]
	v_lshlrev_b64 v[22:23], v22, v[2:3]
	v_lshlrev_b32_e32 v23, 24, v2
	v_lshlrev_b32_e32 v22, 20, v22
	v_and_b32_e32 v22, 0x700000, v22
	v_and_b32_e32 v23, 0x80000000, v23
	v_lshl_add_u32 v1, v1, 23, v0
	v_or3_b32 v24, v23, v1, v22
.LBB4_5399:                             ;   in Loop: Header=BB4_5289 Depth=3
	s_or_b64 exec, exec, s[38:39]
.LBB4_5400:                             ;   in Loop: Header=BB4_5289 Depth=3
	s_or_b64 exec, exec, s[36:37]
.LBB4_5401:                             ;   in Loop: Header=BB4_5289 Depth=3
	s_or_b64 exec, exec, s[40:41]
	v_cmp_gt_i16_sdwa s[40:41], v9, s71 src0_sel:BYTE_0 src1_sel:DWORD
	s_mov_b64 s[28:29], 0
	s_and_saveexec_b64 s[44:45], s[40:41]
	s_xor_b64 s[40:41], exec, s[44:45]
	s_cbranch_execz .LBB4_5405
; %bb.5402:                             ;   in Loop: Header=BB4_5289 Depth=3
	v_cmp_eq_u16_sdwa s[44:45], v9, s70 src0_sel:BYTE_0 src1_sel:DWORD
	s_mov_b64 s[28:29], -1
	s_and_saveexec_b64 s[36:37], s[44:45]
; %bb.5403:                             ;   in Loop: Header=BB4_5289 Depth=3
	s_xor_b64 s[28:29], exec, -1
; %bb.5404:                             ;   in Loop: Header=BB4_5289 Depth=3
	s_or_b64 exec, exec, s[36:37]
	s_and_b64 s[28:29], s[28:29], exec
.LBB4_5405:                             ;   in Loop: Header=BB4_5289 Depth=3
	s_or_saveexec_b64 s[40:41], s[40:41]
	v_bfrev_b32_e32 v1, 1
	s_xor_b64 exec, exec, s[40:41]
; %bb.5406:                             ;   in Loop: Header=BB4_5289 Depth=3
	v_cmp_ne_u16_sdwa s[44:45], v9, v3 src0_sel:BYTE_0 src1_sel:DWORD
	s_andn2_b64 s[28:29], s[28:29], exec
	s_and_b64 s[44:45], s[44:45], exec
	v_mov_b32_e32 v1, 0
	s_or_b64 s[28:29], s[28:29], s[44:45]
; %bb.5407:                             ;   in Loop: Header=BB4_5289 Depth=3
	s_or_b64 exec, exec, s[40:41]
	v_mov_b32_e32 v22, v9
	v_mov_b32_e32 v23, v3
	s_and_saveexec_b64 s[40:41], s[28:29]
	s_cbranch_execz .LBB4_5409
; %bb.5408:                             ;   in Loop: Header=BB4_5289 Depth=3
	v_and_b32_e32 v1, 7, v9
	v_ffbh_u32_e32 v1, v1
	v_and_b32_e32 v27, 0x7f, v9
	v_min_u32_e32 v1, 32, v1
	v_bfe_u32 v25, v9, 3, 4
	v_subrev_u32_e32 v26, 28, v1
	v_sub_u32_e32 v1, 29, v1
	v_cmp_gt_u32_e64 s[28:29], 8, v27
	v_cndmask_b32_e64 v1, v25, v1, s[28:29]
	v_cndmask_b32_e64 v25, 0, v26, s[28:29]
	v_lshlrev_b64 v[25:26], v25, v[22:23]
	v_lshl_add_u32 v1, v1, 23, v0
	v_lshlrev_b32_e32 v23, 20, v25
	v_lshlrev_b32_e32 v25, 24, v22
	v_and_b32_e32 v23, 0x700000, v23
	v_and_b32_e32 v25, 0x80000000, v25
	v_or3_b32 v1, v25, v1, v23
	v_cmp_ne_u32_e64 s[28:29], s71, v27
	v_mov_b32_e32 v23, 0x7f800001
	v_cndmask_b32_e64 v1, v23, v1, s[28:29]
.LBB4_5409:                             ;   in Loop: Header=BB4_5289 Depth=3
	s_or_b64 exec, exec, s[40:41]
	v_mul_f32_e32 v23, v24, v1
	v_and_b32_e32 v24, 0x7f800000, v23
	v_mov_b32_e32 v25, v3
	v_cmp_ne_u64_e64 s[28:29], s[62:63], v[24:25]
                                        ; implicit-def: $vgpr25
	s_and_saveexec_b64 s[40:41], s[28:29]
	s_xor_b64 s[36:37], exec, s[40:41]
	s_cbranch_execz .LBB4_5423
; %bb.5410:                             ;   in Loop: Header=BB4_5289 Depth=3
	v_and_b32_e32 v24, 0x7fffffff, v23
	v_mov_b32_e32 v25, v3
	v_cmp_gt_u64_e64 s[28:29], s[72:73], v[24:25]
	v_and_b32_sdwa v36, v23, s70 dst_sel:DWORD dst_unused:UNUSED_PAD src0_sel:BYTE_3 src1_sel:DWORD
                                        ; implicit-def: $vgpr25
	s_and_saveexec_b64 s[40:41], s[28:29]
	s_xor_b64 s[38:39], exec, s[40:41]
	s_cbranch_execz .LBB4_5420
; %bb.5411:                             ;   in Loop: Header=BB4_5289 Depth=3
	v_mov_b32_e32 v25, 0
	v_cmp_ne_u32_e64 s[28:29], 0, v23
	s_and_saveexec_b64 s[48:49], s[28:29]
	s_cbranch_execz .LBB4_5419
; %bb.5412:                             ;   in Loop: Header=BB4_5289 Depth=3
	v_bfe_u32 v26, v23, 23, 8
	v_and_b32_e32 v1, 0x7fffff, v23
	v_cmp_gt_u32_e64 s[40:41], s80, v26
	v_sub_u32_e32 v23, 0x79, v26
	v_cmp_eq_u32_e64 s[28:29], 0, v26
	v_cndmask_b32_e64 v23, 0, v23, s[40:41]
	v_mov_b32_e32 v25, 0x78
	v_or_b32_e32 v24, 0x800000, v1
	v_cndmask_b32_e64 v27, v23, v25, s[28:29]
	v_cndmask_b32_e64 v23, v24, v1, s[28:29]
	v_add_u32_e32 v1, 20, v27
	v_lshlrev_b64 v[50:51], v1, -1
	v_mov_b32_e32 v24, v3
	v_add_u32_e32 v1, 19, v27
	v_bfi_b32 v50, v50, 0, v23
	v_lshlrev_b64 v[52:53], v1, 1
	v_lshrrev_b64 v[23:24], v27, v[23:24]
	v_bfi_b32 v51, v51, 0, 0
	v_cmp_eq_u64_e64 s[40:41], v[50:51], v[52:53]
	v_mov_b32_e32 v25, v24
	v_mov_b32_e32 v24, v23
	s_and_saveexec_b64 s[50:51], s[40:41]
; %bb.5413:                             ;   in Loop: Header=BB4_5289 Depth=3
	v_bfe_u32 v1, v23, 20, 1
	v_add_co_u32_e64 v1, s[40:41], v23, v1
	v_add_co_u32_e64 v24, s[40:41], -1, v1
; %bb.5414:                             ;   in Loop: Header=BB4_5289 Depth=3
	s_or_b64 exec, exec, s[50:51]
	v_add_u32_e32 v1, 0xffffff81, v26
	v_mov_b32_e32 v25, 0xffffff82
	v_cndmask_b32_e64 v1, v1, v25, s[28:29]
	v_lshrrev_b32_e32 v25, 23, v23
	v_add3_u32 v25, v27, v1, v25
	v_add_u32_e32 v1, 6, v25
	v_and_b32_e32 v24, 0xfffff, v24
	v_add_u32_e32 v26, v24, v23
	v_mov_b32_e32 v27, v3
	v_cmp_ne_u32_e64 s[28:29], 0, v1
                                        ; implicit-def: $vgpr23
	s_and_saveexec_b64 s[40:41], s[28:29]
	s_xor_b64 s[40:41], exec, s[40:41]
; %bb.5415:                             ;   in Loop: Header=BB4_5289 Depth=3
	v_cmp_lt_u64_e64 s[28:29], s[88:89], v[26:27]
	v_add_u32_e32 v23, 7, v25
	v_cndmask_b32_e64 v23, v1, v23, s[28:29]
	v_cndmask_b32_e64 v1, 0, 1, s[28:29]
	v_lshrrev_b64 v[26:27], v1, v[26:27]
; %bb.5416:                             ;   in Loop: Header=BB4_5289 Depth=3
	s_andn2_saveexec_b64 s[28:29], s[40:41]
; %bb.5417:                             ;   in Loop: Header=BB4_5289 Depth=3
	v_bfe_u32 v23, v26, 23, 1
; %bb.5418:                             ;   in Loop: Header=BB4_5289 Depth=3
	s_or_b64 exec, exec, s[28:29]
	v_lshrrev_b64 v[24:25], 20, v[26:27]
	v_cmp_gt_i32_e64 s[28:29], 16, v23
	v_cndmask_b32_e64 v25, 0, v25, s[28:29]
	v_cndmask_b32_e64 v24, 7, v24, s[28:29]
	v_min_i32_e32 v1, 15, v23
	v_cmp_eq_u64_e64 s[40:41], 0, v[24:25]
	v_lshlrev_b32_e32 v1, 3, v1
	v_cmp_eq_u32_e64 s[28:29], 0, v23
	v_and_b32_e32 v1, 0xf8, v1
	v_and_or_b32 v1, v24, 7, v1
	s_and_b64 s[28:29], s[28:29], s[40:41]
	v_cndmask_b32_e64 v1, v1, 0, s[28:29]
	v_or_b32_e32 v25, v1, v36
.LBB4_5419:                             ;   in Loop: Header=BB4_5289 Depth=3
	s_or_b64 exec, exec, s[48:49]
                                        ; implicit-def: $vgpr36
.LBB4_5420:                             ;   in Loop: Header=BB4_5289 Depth=3
	s_andn2_saveexec_b64 s[28:29], s[38:39]
; %bb.5421:                             ;   in Loop: Header=BB4_5289 Depth=3
	v_or_b32_e32 v25, 0x7e, v36
; %bb.5422:                             ;   in Loop: Header=BB4_5289 Depth=3
	s_or_b64 exec, exec, s[28:29]
                                        ; implicit-def: $vgpr23
.LBB4_5423:                             ;   in Loop: Header=BB4_5289 Depth=3
	s_andn2_saveexec_b64 s[28:29], s[36:37]
; %bb.5424:                             ;   in Loop: Header=BB4_5289 Depth=3
	v_or_b32_sdwa v25, v23, s71 dst_sel:DWORD dst_unused:UNUSED_PAD src0_sel:BYTE_3 src1_sel:DWORD
; %bb.5425:                             ;   in Loop: Header=BB4_5289 Depth=3
	s_or_b64 exec, exec, s[28:29]
	v_lshrrev_b16_e32 v23, 8, v2
	v_cmp_ne_u16_e64 s[28:29], 0, v23
	v_mov_b32_e32 v24, 0
	s_and_saveexec_b64 s[40:41], s[28:29]
	s_cbranch_execz .LBB4_5431
; %bb.5426:                             ;   in Loop: Header=BB4_5289 Depth=3
	v_cmp_ne_u16_e64 s[28:29], s70, v23
	v_bfrev_b32_e32 v24, 1
	s_and_saveexec_b64 s[36:37], s[28:29]
	s_cbranch_execz .LBB4_5430
; %bb.5427:                             ;   in Loop: Header=BB4_5289 Depth=3
	v_and_b32_e32 v1, 0x7f, v23
	v_cmp_ne_u32_e64 s[28:29], s71, v1
	v_mov_b32_e32 v24, 0x7f800001
	s_and_saveexec_b64 s[38:39], s[28:29]
	s_cbranch_execz .LBB4_5429
; %bb.5428:                             ;   in Loop: Header=BB4_5289 Depth=3
	v_and_b32_e32 v26, 7, v23
	v_lshrrev_b32_e32 v27, 3, v1
	v_cmp_gt_u32_e64 s[28:29], 8, v1
	v_ffbh_u32_e32 v1, v26
	v_min_u32_e32 v1, 32, v1
	v_subrev_u32_e32 v24, 28, v1
	v_lshlrev_b64 v[23:24], v24, v[23:24]
	v_sub_u32_e32 v1, 29, v1
	v_and_b32_e32 v23, 7, v23
	v_cndmask_b32_e64 v1, v27, v1, s[28:29]
	v_cndmask_b32_e64 v23, v26, v23, s[28:29]
	v_lshlrev_b32_e32 v2, 16, v2
	v_lshlrev_b32_e32 v23, 20, v23
	v_and_b32_e32 v2, 0x80000000, v2
	v_lshl_add_u32 v1, v1, 23, v0
	v_or3_b32 v24, v2, v1, v23
.LBB4_5429:                             ;   in Loop: Header=BB4_5289 Depth=3
	s_or_b64 exec, exec, s[38:39]
.LBB4_5430:                             ;   in Loop: Header=BB4_5289 Depth=3
	s_or_b64 exec, exec, s[36:37]
.LBB4_5431:                             ;   in Loop: Header=BB4_5289 Depth=3
	s_or_b64 exec, exec, s[40:41]
	v_lshrrev_b16_e32 v2, 8, v22
	v_cmp_lt_i16_e64 s[28:29], s71, v2
	s_mov_b64 s[40:41], 0
	s_and_saveexec_b64 s[44:45], s[28:29]
	s_xor_b64 s[36:37], exec, s[44:45]
	s_cbranch_execz .LBB4_5723
; %bb.5432:                             ;   in Loop: Header=BB4_5289 Depth=3
	v_cmp_eq_u16_e64 s[28:29], s70, v2
	s_mov_b64 s[40:41], -1
	s_and_saveexec_b64 s[38:39], s[28:29]
; %bb.5433:                             ;   in Loop: Header=BB4_5289 Depth=3
	s_xor_b64 s[40:41], exec, -1
; %bb.5434:                             ;   in Loop: Header=BB4_5289 Depth=3
	s_or_b64 exec, exec, s[38:39]
	s_and_b64 s[40:41], s[40:41], exec
	s_or_saveexec_b64 s[36:37], s[36:37]
	v_bfrev_b32_e32 v1, 1
	s_xor_b64 exec, exec, s[36:37]
	s_cbranch_execnz .LBB4_5724
.LBB4_5435:                             ;   in Loop: Header=BB4_5289 Depth=3
	s_or_b64 exec, exec, s[36:37]
	s_and_saveexec_b64 s[36:37], s[40:41]
	s_cbranch_execz .LBB4_5437
.LBB4_5436:                             ;   in Loop: Header=BB4_5289 Depth=3
	v_and_b32_e32 v1, 7, v2
	v_ffbh_u32_e32 v22, v1
	v_min_u32_e32 v36, 32, v22
	v_subrev_u32_e32 v22, 28, v36
	v_lshlrev_b64 v[22:23], v22, v[2:3]
	v_and_b32_e32 v26, 0x7f, v2
	v_bfe_u32 v27, v2, 3, 4
	v_sub_u32_e32 v23, 29, v36
	v_and_b32_e32 v22, 7, v22
	v_cmp_gt_u32_e64 s[28:29], 8, v26
	v_cndmask_b32_e64 v23, v27, v23, s[28:29]
	v_cndmask_b32_e64 v1, v1, v22, s[28:29]
	v_lshlrev_b32_e32 v2, 24, v2
	v_lshlrev_b32_e32 v1, 20, v1
	v_and_b32_e32 v2, 0x80000000, v2
	v_lshl_add_u32 v22, v23, 23, v0
	v_or3_b32 v1, v2, v22, v1
	v_cmp_ne_u32_e64 s[28:29], s71, v26
	v_mov_b32_e32 v2, 0x7f800001
	v_cndmask_b32_e64 v1, v2, v1, s[28:29]
.LBB4_5437:                             ;   in Loop: Header=BB4_5289 Depth=3
	s_or_b64 exec, exec, s[36:37]
	v_mul_f32_e32 v22, v24, v1
	v_and_b32_e32 v2, 0x7f800000, v22
	v_cmp_ne_u64_e64 s[28:29], s[62:63], v[2:3]
                                        ; implicit-def: $vgpr26
	s_and_saveexec_b64 s[40:41], s[28:29]
	s_xor_b64 s[36:37], exec, s[40:41]
	s_cbranch_execz .LBB4_5451
; %bb.5438:                             ;   in Loop: Header=BB4_5289 Depth=3
	v_and_b32_e32 v2, 0x7fffffff, v22
	v_cmp_gt_u64_e64 s[28:29], s[72:73], v[2:3]
	v_and_b32_sdwa v27, v22, s70 dst_sel:DWORD dst_unused:UNUSED_PAD src0_sel:BYTE_3 src1_sel:DWORD
                                        ; implicit-def: $vgpr26
	s_and_saveexec_b64 s[40:41], s[28:29]
	s_xor_b64 s[38:39], exec, s[40:41]
	s_cbranch_execz .LBB4_5448
; %bb.5439:                             ;   in Loop: Header=BB4_5289 Depth=3
	v_mov_b32_e32 v26, 0
	v_cmp_ne_u32_e64 s[28:29], 0, v22
	s_and_saveexec_b64 s[48:49], s[28:29]
	s_cbranch_execz .LBB4_5447
; %bb.5440:                             ;   in Loop: Header=BB4_5289 Depth=3
	v_bfe_u32 v26, v22, 23, 8
	v_cmp_gt_u32_e64 s[40:41], s80, v26
	v_sub_u32_e32 v2, 0x79, v26
	v_and_b32_e32 v1, 0x7fffff, v22
	v_cmp_eq_u32_e64 s[28:29], 0, v26
	v_cndmask_b32_e64 v2, 0, v2, s[40:41]
	v_mov_b32_e32 v23, 0x78
	v_or_b32_e32 v22, 0x800000, v1
	v_cndmask_b32_e64 v36, v2, v23, s[28:29]
	v_cndmask_b32_e64 v2, v22, v1, s[28:29]
	v_add_u32_e32 v1, 20, v36
	v_lshlrev_b64 v[22:23], v1, -1
	v_add_u32_e32 v1, 19, v36
	v_lshlrev_b64 v[50:51], v1, 1
	v_bfi_b32 v23, v23, 0, 0
	v_bfi_b32 v22, v22, 0, v2
	v_cmp_eq_u64_e64 s[40:41], v[22:23], v[50:51]
	v_lshrrev_b64 v[22:23], v36, v[2:3]
	v_mov_b32_e32 v24, v23
	v_mov_b32_e32 v23, v22
	s_and_saveexec_b64 s[50:51], s[40:41]
; %bb.5441:                             ;   in Loop: Header=BB4_5289 Depth=3
	v_bfe_u32 v1, v22, 20, 1
	v_add_co_u32_e64 v1, s[40:41], v22, v1
	v_add_co_u32_e64 v23, s[40:41], -1, v1
; %bb.5442:                             ;   in Loop: Header=BB4_5289 Depth=3
	s_or_b64 exec, exec, s[50:51]
	v_add_u32_e32 v1, 0xffffff81, v26
	v_mov_b32_e32 v2, 0xffffff82
	v_cndmask_b32_e64 v1, v1, v2, s[28:29]
	v_lshrrev_b32_e32 v2, 23, v22
	v_add3_u32 v26, v36, v1, v2
	v_add_u32_e32 v1, 6, v26
	v_and_b32_e32 v2, 0xfffff, v23
	v_add_u32_e32 v2, v2, v22
	v_cmp_ne_u32_e64 s[28:29], 0, v1
                                        ; implicit-def: $vgpr22_vgpr23
                                        ; implicit-def: $vgpr24
	s_and_saveexec_b64 s[40:41], s[28:29]
	s_xor_b64 s[40:41], exec, s[40:41]
; %bb.5443:                             ;   in Loop: Header=BB4_5289 Depth=3
	v_cmp_lt_u64_e64 s[28:29], s[88:89], v[2:3]
	v_add_u32_e32 v22, 7, v26
	v_cndmask_b32_e64 v24, v1, v22, s[28:29]
	v_cndmask_b32_e64 v1, 0, 1, s[28:29]
	v_lshrrev_b64 v[22:23], v1, v[2:3]
; %bb.5444:                             ;   in Loop: Header=BB4_5289 Depth=3
	s_andn2_saveexec_b64 s[28:29], s[40:41]
; %bb.5445:                             ;   in Loop: Header=BB4_5289 Depth=3
	v_mov_b32_e32 v23, v3
	v_bfe_u32 v24, v2, 23, 1
	v_mov_b32_e32 v22, v2
; %bb.5446:                             ;   in Loop: Header=BB4_5289 Depth=3
	s_or_b64 exec, exec, s[28:29]
	v_lshrrev_b64 v[1:2], 20, v[22:23]
	v_cmp_gt_i32_e64 s[28:29], 16, v24
	v_cndmask_b32_e64 v2, 0, v2, s[28:29]
	v_cndmask_b32_e64 v1, 7, v1, s[28:29]
	v_cmp_eq_u64_e64 s[40:41], 0, v[1:2]
	v_min_i32_e32 v2, 15, v24
	v_lshlrev_b32_e32 v2, 3, v2
	v_cmp_eq_u32_e64 s[28:29], 0, v24
	v_and_b32_e32 v2, 0xf8, v2
	v_and_or_b32 v1, v1, 7, v2
	s_and_b64 s[28:29], s[28:29], s[40:41]
	v_cndmask_b32_e64 v1, v1, 0, s[28:29]
	v_or_b32_e32 v26, v1, v27
.LBB4_5447:                             ;   in Loop: Header=BB4_5289 Depth=3
	s_or_b64 exec, exec, s[48:49]
                                        ; implicit-def: $vgpr27
.LBB4_5448:                             ;   in Loop: Header=BB4_5289 Depth=3
	s_andn2_saveexec_b64 s[28:29], s[38:39]
; %bb.5449:                             ;   in Loop: Header=BB4_5289 Depth=3
	v_or_b32_e32 v26, 0x7e, v27
; %bb.5450:                             ;   in Loop: Header=BB4_5289 Depth=3
	s_or_b64 exec, exec, s[28:29]
                                        ; implicit-def: $vgpr22
.LBB4_5451:                             ;   in Loop: Header=BB4_5289 Depth=3
	s_andn2_saveexec_b64 s[28:29], s[36:37]
; %bb.5452:                             ;   in Loop: Header=BB4_5289 Depth=3
	v_or_b32_sdwa v26, v22, s71 dst_sel:DWORD dst_unused:UNUSED_PAD src0_sel:BYTE_3 src1_sel:DWORD
; %bb.5453:                             ;   in Loop: Header=BB4_5289 Depth=3
	s_or_b64 exec, exec, s[28:29]
	v_lshrrev_b32_e32 v2, 16, v13
	v_cmp_ne_u16_sdwa s[28:29], v2, v3 src0_sel:BYTE_0 src1_sel:DWORD
	v_mov_b32_e32 v22, 0
	s_and_saveexec_b64 s[40:41], s[28:29]
	s_cbranch_execz .LBB4_5459
; %bb.5454:                             ;   in Loop: Header=BB4_5289 Depth=3
	v_cmp_ne_u16_sdwa s[28:29], v2, s70 src0_sel:BYTE_0 src1_sel:DWORD
	v_bfrev_b32_e32 v22, 1
	s_and_saveexec_b64 s[36:37], s[28:29]
	s_cbranch_execz .LBB4_5458
; %bb.5455:                             ;   in Loop: Header=BB4_5289 Depth=3
	v_bfe_u32 v1, v13, 16, 7
	v_cmp_ne_u32_e64 s[28:29], s71, v1
	v_mov_b32_e32 v22, 0x7f800001
	s_and_saveexec_b64 s[38:39], s[28:29]
	s_cbranch_execz .LBB4_5457
; %bb.5456:                             ;   in Loop: Header=BB4_5289 Depth=3
	v_and_b32_e32 v24, 7, v2
	v_lshrrev_b32_e32 v27, 3, v1
	v_cmp_gt_u32_e64 s[28:29], 8, v1
	v_ffbh_u32_e32 v1, v24
	v_min_u32_e32 v1, 32, v1
	v_subrev_u32_e32 v22, 28, v1
	v_lshlrev_b64 v[22:23], v22, v[2:3]
	v_sub_u32_e32 v1, 29, v1
	v_and_b32_e32 v22, 7, v22
	v_cndmask_b32_e64 v1, v27, v1, s[28:29]
	v_cndmask_b32_e64 v22, v24, v22, s[28:29]
	v_lshlrev_b32_e32 v2, 24, v2
	v_lshlrev_b32_e32 v22, 20, v22
	v_and_b32_e32 v2, 0x80000000, v2
	v_lshl_add_u32 v1, v1, 23, v0
	v_or3_b32 v22, v2, v1, v22
.LBB4_5457:                             ;   in Loop: Header=BB4_5289 Depth=3
	s_or_b64 exec, exec, s[38:39]
.LBB4_5458:                             ;   in Loop: Header=BB4_5289 Depth=3
	s_or_b64 exec, exec, s[36:37]
.LBB4_5459:                             ;   in Loop: Header=BB4_5289 Depth=3
	s_or_b64 exec, exec, s[40:41]
	v_lshrrev_b32_e32 v2, 16, v9
	v_cmp_gt_i16_sdwa s[40:41], v2, s71 src0_sel:BYTE_0 src1_sel:DWORD
	s_mov_b64 s[28:29], 0
	s_and_saveexec_b64 s[44:45], s[40:41]
	s_xor_b64 s[40:41], exec, s[44:45]
	s_cbranch_execz .LBB4_5725
; %bb.5460:                             ;   in Loop: Header=BB4_5289 Depth=3
	v_cmp_eq_u16_sdwa s[44:45], v2, s70 src0_sel:BYTE_0 src1_sel:DWORD
	s_mov_b64 s[28:29], -1
	s_and_saveexec_b64 s[36:37], s[44:45]
; %bb.5461:                             ;   in Loop: Header=BB4_5289 Depth=3
	s_xor_b64 s[28:29], exec, -1
; %bb.5462:                             ;   in Loop: Header=BB4_5289 Depth=3
	s_or_b64 exec, exec, s[36:37]
	s_and_b64 s[28:29], s[28:29], exec
	s_or_saveexec_b64 s[40:41], s[40:41]
	v_bfrev_b32_e32 v1, 1
	s_xor_b64 exec, exec, s[40:41]
	s_cbranch_execnz .LBB4_5726
.LBB4_5463:                             ;   in Loop: Header=BB4_5289 Depth=3
	s_or_b64 exec, exec, s[40:41]
	s_and_saveexec_b64 s[40:41], s[28:29]
	s_cbranch_execz .LBB4_5465
.LBB4_5464:                             ;   in Loop: Header=BB4_5289 Depth=3
	v_and_b32_e32 v1, 7, v2
	v_ffbh_u32_e32 v23, v1
	v_min_u32_e32 v50, 32, v23
	v_subrev_u32_e32 v23, 28, v50
	v_lshlrev_b64 v[23:24], v23, v[2:3]
	v_and_b32_e32 v27, 0x7f, v2
	v_bfe_u32 v36, v2, 3, 4
	v_sub_u32_e32 v24, 29, v50
	v_and_b32_e32 v23, 7, v23
	v_cmp_gt_u32_e64 s[28:29], 8, v27
	v_cndmask_b32_e64 v24, v36, v24, s[28:29]
	v_cndmask_b32_e64 v1, v1, v23, s[28:29]
	v_lshlrev_b32_e32 v2, 24, v2
	v_lshlrev_b32_e32 v1, 20, v1
	v_and_b32_e32 v2, 0x80000000, v2
	v_lshl_add_u32 v23, v24, 23, v0
	v_or3_b32 v1, v2, v23, v1
	v_cmp_ne_u32_e64 s[28:29], s71, v27
	v_mov_b32_e32 v2, 0x7f800001
	v_cndmask_b32_e64 v1, v2, v1, s[28:29]
.LBB4_5465:                             ;   in Loop: Header=BB4_5289 Depth=3
	s_or_b64 exec, exec, s[40:41]
	v_mul_f32_e32 v22, v22, v1
	v_and_b32_e32 v2, 0x7f800000, v22
	v_cmp_ne_u64_e64 s[28:29], s[62:63], v[2:3]
                                        ; implicit-def: $vgpr24
	s_and_saveexec_b64 s[40:41], s[28:29]
	s_xor_b64 s[36:37], exec, s[40:41]
	s_cbranch_execz .LBB4_5479
; %bb.5466:                             ;   in Loop: Header=BB4_5289 Depth=3
	v_and_b32_e32 v2, 0x7fffffff, v22
	v_cmp_gt_u64_e64 s[28:29], s[72:73], v[2:3]
	v_and_b32_sdwa v27, v22, s70 dst_sel:DWORD dst_unused:UNUSED_PAD src0_sel:BYTE_3 src1_sel:DWORD
                                        ; implicit-def: $vgpr24
	s_and_saveexec_b64 s[40:41], s[28:29]
	s_xor_b64 s[38:39], exec, s[40:41]
	s_cbranch_execz .LBB4_5476
; %bb.5467:                             ;   in Loop: Header=BB4_5289 Depth=3
	v_mov_b32_e32 v24, 0
	v_cmp_ne_u32_e64 s[28:29], 0, v22
	s_and_saveexec_b64 s[48:49], s[28:29]
	s_cbranch_execz .LBB4_5475
; %bb.5468:                             ;   in Loop: Header=BB4_5289 Depth=3
	v_bfe_u32 v36, v22, 23, 8
	v_cmp_gt_u32_e64 s[40:41], s80, v36
	v_sub_u32_e32 v2, 0x79, v36
	v_and_b32_e32 v1, 0x7fffff, v22
	v_cmp_eq_u32_e64 s[28:29], 0, v36
	v_cndmask_b32_e64 v2, 0, v2, s[40:41]
	v_mov_b32_e32 v23, 0x78
	v_or_b32_e32 v22, 0x800000, v1
	v_cndmask_b32_e64 v50, v2, v23, s[28:29]
	v_cndmask_b32_e64 v2, v22, v1, s[28:29]
	v_add_u32_e32 v1, 20, v50
	v_lshlrev_b64 v[22:23], v1, -1
	v_add_u32_e32 v1, 19, v50
	v_lshlrev_b64 v[51:52], v1, 1
	v_bfi_b32 v23, v23, 0, 0
	v_bfi_b32 v22, v22, 0, v2
	v_cmp_eq_u64_e64 s[40:41], v[22:23], v[51:52]
	v_lshrrev_b64 v[22:23], v50, v[2:3]
	v_mov_b32_e32 v24, v23
	v_mov_b32_e32 v23, v22
	s_and_saveexec_b64 s[50:51], s[40:41]
; %bb.5469:                             ;   in Loop: Header=BB4_5289 Depth=3
	v_bfe_u32 v1, v22, 20, 1
	v_add_co_u32_e64 v1, s[40:41], v22, v1
	v_add_co_u32_e64 v23, s[40:41], -1, v1
; %bb.5470:                             ;   in Loop: Header=BB4_5289 Depth=3
	s_or_b64 exec, exec, s[50:51]
	v_add_u32_e32 v1, 0xffffff81, v36
	v_mov_b32_e32 v2, 0xffffff82
	v_cndmask_b32_e64 v1, v1, v2, s[28:29]
	v_lshrrev_b32_e32 v2, 23, v22
	v_add3_u32 v36, v50, v1, v2
	v_add_u32_e32 v1, 6, v36
	v_and_b32_e32 v2, 0xfffff, v23
	v_add_u32_e32 v2, v2, v22
	v_cmp_ne_u32_e64 s[28:29], 0, v1
                                        ; implicit-def: $vgpr22_vgpr23
                                        ; implicit-def: $vgpr24
	s_and_saveexec_b64 s[40:41], s[28:29]
	s_xor_b64 s[40:41], exec, s[40:41]
; %bb.5471:                             ;   in Loop: Header=BB4_5289 Depth=3
	v_cmp_lt_u64_e64 s[28:29], s[88:89], v[2:3]
	v_add_u32_e32 v22, 7, v36
	v_cndmask_b32_e64 v24, v1, v22, s[28:29]
	v_cndmask_b32_e64 v1, 0, 1, s[28:29]
	v_lshrrev_b64 v[22:23], v1, v[2:3]
; %bb.5472:                             ;   in Loop: Header=BB4_5289 Depth=3
	s_andn2_saveexec_b64 s[28:29], s[40:41]
; %bb.5473:                             ;   in Loop: Header=BB4_5289 Depth=3
	v_mov_b32_e32 v23, v3
	v_bfe_u32 v24, v2, 23, 1
	v_mov_b32_e32 v22, v2
; %bb.5474:                             ;   in Loop: Header=BB4_5289 Depth=3
	s_or_b64 exec, exec, s[28:29]
	v_lshrrev_b64 v[1:2], 20, v[22:23]
	v_cmp_gt_i32_e64 s[28:29], 16, v24
	v_cndmask_b32_e64 v2, 0, v2, s[28:29]
	v_cndmask_b32_e64 v1, 7, v1, s[28:29]
	v_cmp_eq_u64_e64 s[40:41], 0, v[1:2]
	v_min_i32_e32 v2, 15, v24
	v_lshlrev_b32_e32 v2, 3, v2
	v_cmp_eq_u32_e64 s[28:29], 0, v24
	v_and_b32_e32 v2, 0xf8, v2
	v_and_or_b32 v1, v1, 7, v2
	s_and_b64 s[28:29], s[28:29], s[40:41]
	v_cndmask_b32_e64 v1, v1, 0, s[28:29]
	v_or_b32_e32 v24, v1, v27
.LBB4_5475:                             ;   in Loop: Header=BB4_5289 Depth=3
	s_or_b64 exec, exec, s[48:49]
                                        ; implicit-def: $vgpr27
.LBB4_5476:                             ;   in Loop: Header=BB4_5289 Depth=3
	s_andn2_saveexec_b64 s[28:29], s[38:39]
; %bb.5477:                             ;   in Loop: Header=BB4_5289 Depth=3
	v_or_b32_e32 v24, 0x7e, v27
; %bb.5478:                             ;   in Loop: Header=BB4_5289 Depth=3
	s_or_b64 exec, exec, s[28:29]
                                        ; implicit-def: $vgpr22
.LBB4_5479:                             ;   in Loop: Header=BB4_5289 Depth=3
	s_andn2_saveexec_b64 s[28:29], s[36:37]
; %bb.5480:                             ;   in Loop: Header=BB4_5289 Depth=3
	v_or_b32_sdwa v24, v22, s71 dst_sel:DWORD dst_unused:UNUSED_PAD src0_sel:BYTE_3 src1_sel:DWORD
; %bb.5481:                             ;   in Loop: Header=BB4_5289 Depth=3
	s_or_b64 exec, exec, s[28:29]
	v_cmp_lt_u64_e64 s[28:29], s[56:57], v[12:13]
	v_mov_b32_e32 v12, 0
	s_and_saveexec_b64 s[40:41], s[28:29]
	s_cbranch_execz .LBB4_5487
; %bb.5482:                             ;   in Loop: Header=BB4_5289 Depth=3
	v_lshrrev_b32_e32 v2, 24, v13
	v_cmp_ne_u32_e64 s[28:29], s70, v2
	v_bfrev_b32_e32 v12, 1
	s_and_saveexec_b64 s[36:37], s[28:29]
	s_cbranch_execz .LBB4_5486
; %bb.5483:                             ;   in Loop: Header=BB4_5289 Depth=3
	v_bfe_u32 v1, v13, 24, 7
	v_cmp_ne_u32_e64 s[28:29], s71, v1
	v_mov_b32_e32 v12, 0x7f800001
	s_and_saveexec_b64 s[38:39], s[28:29]
	s_cbranch_execz .LBB4_5485
; %bb.5484:                             ;   in Loop: Header=BB4_5289 Depth=3
	v_and_b32_e32 v22, 7, v2
	v_lshrrev_b32_e32 v23, 3, v1
	v_cmp_gt_u32_e64 s[28:29], 8, v1
	v_ffbh_u32_e32 v1, v22
	v_min_u32_e32 v1, 32, v1
	v_subrev_u32_e32 v12, 28, v1
	v_lshlrev_b64 v[12:13], v12, v[2:3]
	v_sub_u32_e32 v1, 29, v1
	v_and_b32_e32 v12, 7, v12
	v_cndmask_b32_e64 v1, v23, v1, s[28:29]
	v_cndmask_b32_e64 v12, v22, v12, s[28:29]
	v_lshlrev_b32_e32 v2, 24, v2
	v_lshlrev_b32_e32 v12, 20, v12
	v_and_b32_e32 v2, 0x80000000, v2
	v_lshl_add_u32 v1, v1, 23, v0
	v_or3_b32 v12, v2, v1, v12
.LBB4_5485:                             ;   in Loop: Header=BB4_5289 Depth=3
	s_or_b64 exec, exec, s[38:39]
.LBB4_5486:                             ;   in Loop: Header=BB4_5289 Depth=3
	s_or_b64 exec, exec, s[36:37]
.LBB4_5487:                             ;   in Loop: Header=BB4_5289 Depth=3
	s_or_b64 exec, exec, s[40:41]
	v_bfe_u32 v2, v9, 24, 3
	v_ffbh_u32_e32 v22, v2
	v_min_u32_e32 v36, 32, v22
	v_lshrrev_b32_e32 v1, 24, v9
	v_subrev_u32_e32 v22, 28, v36
	v_lshlrev_b64 v[22:23], v22, v[1:2]
	v_bfe_u32 v13, v9, 24, 7
	v_bfe_u32 v27, v1, 3, 4
	v_sub_u32_e32 v23, 29, v36
	v_and_b32_e32 v22, 7, v22
	v_cmp_gt_u32_e64 s[28:29], 8, v13
	v_cndmask_b32_e64 v23, v27, v23, s[28:29]
	v_cndmask_b32_e64 v2, v2, v22, s[28:29]
	v_lshlrev_b32_e32 v2, 20, v2
	v_and_b32_e32 v22, 0x80000000, v9
	v_lshl_add_u32 v23, v23, 23, v0
	v_or3_b32 v2, v22, v23, v2
	v_cmp_ne_u32_e64 s[28:29], s71, v13
	v_mov_b32_e32 v13, 0x7f800001
	v_cndmask_b32_e64 v2, v13, v2, s[28:29]
	v_cmp_ne_u32_e64 s[28:29], s70, v1
	v_bfrev_b32_e32 v1, 1
	v_cndmask_b32_e64 v1, v1, v2, s[28:29]
	v_cmp_lt_u64_e64 s[28:29], s[56:57], v[8:9]
                                        ; implicit-def: $vgpr27
	v_cndmask_b32_e64 v1, 0, v1, s[28:29]
	v_mul_f32_e32 v8, v1, v12
	v_and_b32_e32 v2, 0x7f800000, v8
	v_cmp_ne_u64_e64 s[28:29], s[62:63], v[2:3]
	s_and_saveexec_b64 s[40:41], s[28:29]
	s_xor_b64 s[36:37], exec, s[40:41]
	s_cbranch_execz .LBB4_5501
; %bb.5488:                             ;   in Loop: Header=BB4_5289 Depth=3
	v_and_b32_e32 v2, 0x7fffffff, v8
	v_cmp_gt_u64_e64 s[28:29], s[72:73], v[2:3]
	v_and_b32_sdwa v22, v8, s70 dst_sel:DWORD dst_unused:UNUSED_PAD src0_sel:BYTE_3 src1_sel:DWORD
                                        ; implicit-def: $vgpr27
	s_and_saveexec_b64 s[40:41], s[28:29]
	s_xor_b64 s[38:39], exec, s[40:41]
	s_cbranch_execz .LBB4_5498
; %bb.5489:                             ;   in Loop: Header=BB4_5289 Depth=3
	v_mov_b32_e32 v27, 0
	v_cmp_ne_u32_e64 s[28:29], 0, v8
	s_and_saveexec_b64 s[48:49], s[28:29]
	s_cbranch_execz .LBB4_5497
; %bb.5490:                             ;   in Loop: Header=BB4_5289 Depth=3
	v_bfe_u32 v23, v8, 23, 8
	v_cmp_gt_u32_e64 s[40:41], s80, v23
	v_sub_u32_e32 v2, 0x79, v23
	v_and_b32_e32 v1, 0x7fffff, v8
	v_cmp_eq_u32_e64 s[28:29], 0, v23
	v_cndmask_b32_e64 v2, 0, v2, s[40:41]
	v_mov_b32_e32 v9, 0x78
	v_or_b32_e32 v8, 0x800000, v1
	v_cndmask_b32_e64 v27, v2, v9, s[28:29]
	v_cndmask_b32_e64 v2, v8, v1, s[28:29]
	v_add_u32_e32 v1, 20, v27
	v_lshlrev_b64 v[8:9], v1, -1
	v_add_u32_e32 v1, 19, v27
	v_lshlrev_b64 v[12:13], v1, 1
	v_bfi_b32 v9, v9, 0, 0
	v_bfi_b32 v8, v8, 0, v2
	v_cmp_eq_u64_e64 s[40:41], v[8:9], v[12:13]
	v_lshrrev_b64 v[8:9], v27, v[2:3]
	v_mov_b32_e32 v13, v9
	v_mov_b32_e32 v12, v8
	s_and_saveexec_b64 s[50:51], s[40:41]
; %bb.5491:                             ;   in Loop: Header=BB4_5289 Depth=3
	v_bfe_u32 v1, v8, 20, 1
	v_add_co_u32_e64 v1, s[40:41], v8, v1
	v_add_co_u32_e64 v12, s[40:41], -1, v1
; %bb.5492:                             ;   in Loop: Header=BB4_5289 Depth=3
	s_or_b64 exec, exec, s[50:51]
	v_add_u32_e32 v1, 0xffffff81, v23
	v_mov_b32_e32 v2, 0xffffff82
	v_cndmask_b32_e64 v1, v1, v2, s[28:29]
	v_lshrrev_b32_e32 v2, 23, v8
	v_add3_u32 v13, v27, v1, v2
	v_add_u32_e32 v1, 6, v13
	v_and_b32_e32 v2, 0xfffff, v12
	v_add_u32_e32 v2, v2, v8
	v_cmp_ne_u32_e64 s[28:29], 0, v1
                                        ; implicit-def: $vgpr8_vgpr9
                                        ; implicit-def: $vgpr12
	s_and_saveexec_b64 s[40:41], s[28:29]
	s_xor_b64 s[40:41], exec, s[40:41]
; %bb.5493:                             ;   in Loop: Header=BB4_5289 Depth=3
	v_cmp_lt_u64_e64 s[28:29], s[88:89], v[2:3]
	v_add_u32_e32 v8, 7, v13
	v_cndmask_b32_e64 v12, v1, v8, s[28:29]
	v_cndmask_b32_e64 v1, 0, 1, s[28:29]
	v_lshrrev_b64 v[8:9], v1, v[2:3]
; %bb.5494:                             ;   in Loop: Header=BB4_5289 Depth=3
	s_andn2_saveexec_b64 s[28:29], s[40:41]
; %bb.5495:                             ;   in Loop: Header=BB4_5289 Depth=3
	v_mov_b32_e32 v9, v3
	v_bfe_u32 v12, v2, 23, 1
	v_mov_b32_e32 v8, v2
; %bb.5496:                             ;   in Loop: Header=BB4_5289 Depth=3
	s_or_b64 exec, exec, s[28:29]
	v_lshrrev_b64 v[1:2], 20, v[8:9]
	v_cmp_gt_i32_e64 s[28:29], 16, v12
	v_cndmask_b32_e64 v2, 0, v2, s[28:29]
	v_cndmask_b32_e64 v1, 7, v1, s[28:29]
	v_cmp_eq_u64_e64 s[40:41], 0, v[1:2]
	v_min_i32_e32 v2, 15, v12
	v_lshlrev_b32_e32 v2, 3, v2
	v_cmp_eq_u32_e64 s[28:29], 0, v12
	v_and_b32_e32 v2, 0xf8, v2
	v_and_or_b32 v1, v1, 7, v2
	s_and_b64 s[28:29], s[28:29], s[40:41]
	v_cndmask_b32_e64 v1, v1, 0, s[28:29]
	v_or_b32_e32 v27, v1, v22
.LBB4_5497:                             ;   in Loop: Header=BB4_5289 Depth=3
	s_or_b64 exec, exec, s[48:49]
                                        ; implicit-def: $vgpr22
.LBB4_5498:                             ;   in Loop: Header=BB4_5289 Depth=3
	s_andn2_saveexec_b64 s[28:29], s[38:39]
; %bb.5499:                             ;   in Loop: Header=BB4_5289 Depth=3
	v_or_b32_e32 v27, 0x7e, v22
; %bb.5500:                             ;   in Loop: Header=BB4_5289 Depth=3
	s_or_b64 exec, exec, s[28:29]
                                        ; implicit-def: $vgpr8
.LBB4_5501:                             ;   in Loop: Header=BB4_5289 Depth=3
	s_andn2_saveexec_b64 s[28:29], s[36:37]
; %bb.5502:                             ;   in Loop: Header=BB4_5289 Depth=3
	v_or_b32_sdwa v27, v8, s71 dst_sel:DWORD dst_unused:UNUSED_PAD src0_sel:BYTE_3 src1_sel:DWORD
; %bb.5503:                             ;   in Loop: Header=BB4_5289 Depth=3
	s_or_b64 exec, exec, s[28:29]
	v_cmp_ne_u16_sdwa s[28:29], v14, v3 src0_sel:BYTE_0 src1_sel:DWORD
	v_mov_b32_e32 v2, 0
	s_and_saveexec_b64 s[40:41], s[28:29]
	s_cbranch_execz .LBB4_5509
; %bb.5504:                             ;   in Loop: Header=BB4_5289 Depth=3
	v_cmp_ne_u16_sdwa s[28:29], v14, s70 src0_sel:BYTE_0 src1_sel:DWORD
	v_bfrev_b32_e32 v2, 1
	s_and_saveexec_b64 s[36:37], s[28:29]
	s_cbranch_execz .LBB4_5508
; %bb.5505:                             ;   in Loop: Header=BB4_5289 Depth=3
	v_and_b32_e32 v1, 0x7f, v14
	v_cmp_ne_u32_e64 s[28:29], s71, v1
	v_mov_b32_e32 v2, 0x7f800001
	s_and_saveexec_b64 s[38:39], s[28:29]
	s_cbranch_execz .LBB4_5507
; %bb.5506:                             ;   in Loop: Header=BB4_5289 Depth=3
	v_and_b32_e32 v2, 7, v14
	v_lshrrev_b32_e32 v8, 3, v1
	v_cmp_gt_u32_e64 s[28:29], 8, v1
	v_ffbh_u32_e32 v1, v2
	v_min_u32_e32 v1, 32, v1
	v_subrev_u32_e32 v2, 28, v1
	v_sub_u32_e32 v1, 29, v1
	v_cndmask_b32_e64 v8, v8, v1, s[28:29]
	v_cndmask_b32_e64 v1, 0, v2, s[28:29]
	v_lshlrev_b64 v[1:2], v1, v[14:15]
	v_lshlrev_b32_e32 v2, 24, v14
	v_lshlrev_b32_e32 v1, 20, v1
	v_and_b32_e32 v1, 0x700000, v1
	v_and_b32_e32 v2, 0x80000000, v2
	v_lshl_add_u32 v8, v8, 23, v0
	v_or3_b32 v2, v2, v8, v1
.LBB4_5507:                             ;   in Loop: Header=BB4_5289 Depth=3
	s_or_b64 exec, exec, s[38:39]
.LBB4_5508:                             ;   in Loop: Header=BB4_5289 Depth=3
	s_or_b64 exec, exec, s[36:37]
.LBB4_5509:                             ;   in Loop: Header=BB4_5289 Depth=3
	s_or_b64 exec, exec, s[40:41]
	v_cmp_gt_i16_sdwa s[40:41], v10, s71 src0_sel:BYTE_0 src1_sel:DWORD
	s_mov_b64 s[28:29], 0
	s_and_saveexec_b64 s[44:45], s[40:41]
	s_xor_b64 s[40:41], exec, s[44:45]
	s_cbranch_execz .LBB4_5727
; %bb.5510:                             ;   in Loop: Header=BB4_5289 Depth=3
	v_cmp_eq_u16_sdwa s[44:45], v10, s70 src0_sel:BYTE_0 src1_sel:DWORD
	s_mov_b64 s[28:29], -1
	s_and_saveexec_b64 s[36:37], s[44:45]
; %bb.5511:                             ;   in Loop: Header=BB4_5289 Depth=3
	s_xor_b64 s[28:29], exec, -1
; %bb.5512:                             ;   in Loop: Header=BB4_5289 Depth=3
	s_or_b64 exec, exec, s[36:37]
	s_and_b64 s[28:29], s[28:29], exec
	s_or_saveexec_b64 s[40:41], s[40:41]
	v_bfrev_b32_e32 v1, 1
	s_xor_b64 exec, exec, s[40:41]
	s_cbranch_execnz .LBB4_5728
.LBB4_5513:                             ;   in Loop: Header=BB4_5289 Depth=3
	s_or_b64 exec, exec, s[40:41]
	s_and_saveexec_b64 s[40:41], s[28:29]
	s_cbranch_execz .LBB4_5515
.LBB4_5514:                             ;   in Loop: Header=BB4_5289 Depth=3
	v_and_b32_e32 v1, 7, v10
	v_ffbh_u32_e32 v1, v1
	v_and_b32_e32 v12, 0x7f, v10
	v_min_u32_e32 v1, 32, v1
	v_bfe_u32 v8, v10, 3, 4
	v_subrev_u32_e32 v9, 28, v1
	v_sub_u32_e32 v1, 29, v1
	v_cmp_gt_u32_e64 s[28:29], 8, v12
	v_cndmask_b32_e64 v1, v8, v1, s[28:29]
	v_cndmask_b32_e64 v8, 0, v9, s[28:29]
	v_lshlrev_b64 v[8:9], v8, v[10:11]
	v_lshlrev_b32_e32 v9, 24, v10
	v_lshlrev_b32_e32 v8, 20, v8
	v_and_b32_e32 v8, 0x700000, v8
	v_and_b32_e32 v9, 0x80000000, v9
	v_lshl_add_u32 v1, v1, 23, v0
	v_or3_b32 v1, v9, v1, v8
	v_cmp_ne_u32_e64 s[28:29], s71, v12
	v_mov_b32_e32 v8, 0x7f800001
	v_cndmask_b32_e64 v1, v8, v1, s[28:29]
.LBB4_5515:                             ;   in Loop: Header=BB4_5289 Depth=3
	s_or_b64 exec, exec, s[40:41]
	v_mul_f32_e32 v8, v2, v1
	v_and_b32_e32 v2, 0x7f800000, v8
	v_cmp_ne_u64_e64 s[28:29], s[62:63], v[2:3]
                                        ; implicit-def: $vgpr36
	s_and_saveexec_b64 s[40:41], s[28:29]
	s_xor_b64 s[36:37], exec, s[40:41]
	s_cbranch_execz .LBB4_5529
; %bb.5516:                             ;   in Loop: Header=BB4_5289 Depth=3
	v_and_b32_e32 v2, 0x7fffffff, v8
	v_cmp_gt_u64_e64 s[28:29], s[72:73], v[2:3]
	v_and_b32_sdwa v22, v8, s70 dst_sel:DWORD dst_unused:UNUSED_PAD src0_sel:BYTE_3 src1_sel:DWORD
                                        ; implicit-def: $vgpr36
	s_and_saveexec_b64 s[40:41], s[28:29]
	s_xor_b64 s[38:39], exec, s[40:41]
	s_cbranch_execz .LBB4_5526
; %bb.5517:                             ;   in Loop: Header=BB4_5289 Depth=3
	v_mov_b32_e32 v36, 0
	v_cmp_ne_u32_e64 s[28:29], 0, v8
	s_and_saveexec_b64 s[48:49], s[28:29]
	s_cbranch_execz .LBB4_5525
; %bb.5518:                             ;   in Loop: Header=BB4_5289 Depth=3
	v_bfe_u32 v23, v8, 23, 8
	v_cmp_gt_u32_e64 s[40:41], s80, v23
	v_sub_u32_e32 v2, 0x79, v23
	v_and_b32_e32 v1, 0x7fffff, v8
	v_cmp_eq_u32_e64 s[28:29], 0, v23
	v_cndmask_b32_e64 v2, 0, v2, s[40:41]
	v_mov_b32_e32 v9, 0x78
	v_or_b32_e32 v8, 0x800000, v1
	v_cndmask_b32_e64 v36, v2, v9, s[28:29]
	v_cndmask_b32_e64 v2, v8, v1, s[28:29]
	v_add_u32_e32 v1, 20, v36
	v_lshlrev_b64 v[8:9], v1, -1
	v_add_u32_e32 v1, 19, v36
	v_lshlrev_b64 v[12:13], v1, 1
	v_bfi_b32 v9, v9, 0, 0
	v_bfi_b32 v8, v8, 0, v2
	v_cmp_eq_u64_e64 s[40:41], v[8:9], v[12:13]
	v_lshrrev_b64 v[8:9], v36, v[2:3]
	v_mov_b32_e32 v13, v9
	v_mov_b32_e32 v12, v8
	s_and_saveexec_b64 s[50:51], s[40:41]
; %bb.5519:                             ;   in Loop: Header=BB4_5289 Depth=3
	v_bfe_u32 v1, v8, 20, 1
	v_add_co_u32_e64 v1, s[40:41], v8, v1
	v_add_co_u32_e64 v12, s[40:41], -1, v1
; %bb.5520:                             ;   in Loop: Header=BB4_5289 Depth=3
	s_or_b64 exec, exec, s[50:51]
	v_add_u32_e32 v1, 0xffffff81, v23
	v_mov_b32_e32 v2, 0xffffff82
	v_cndmask_b32_e64 v1, v1, v2, s[28:29]
	v_lshrrev_b32_e32 v2, 23, v8
	v_add3_u32 v13, v36, v1, v2
	v_add_u32_e32 v1, 6, v13
	v_and_b32_e32 v2, 0xfffff, v12
	v_add_u32_e32 v2, v2, v8
	v_cmp_ne_u32_e64 s[28:29], 0, v1
                                        ; implicit-def: $vgpr8_vgpr9
                                        ; implicit-def: $vgpr12
	s_and_saveexec_b64 s[40:41], s[28:29]
	s_xor_b64 s[40:41], exec, s[40:41]
; %bb.5521:                             ;   in Loop: Header=BB4_5289 Depth=3
	v_cmp_lt_u64_e64 s[28:29], s[88:89], v[2:3]
	v_add_u32_e32 v8, 7, v13
	v_cndmask_b32_e64 v12, v1, v8, s[28:29]
	v_cndmask_b32_e64 v1, 0, 1, s[28:29]
	v_lshrrev_b64 v[8:9], v1, v[2:3]
; %bb.5522:                             ;   in Loop: Header=BB4_5289 Depth=3
	s_andn2_saveexec_b64 s[28:29], s[40:41]
; %bb.5523:                             ;   in Loop: Header=BB4_5289 Depth=3
	v_mov_b32_e32 v9, v3
	v_bfe_u32 v12, v2, 23, 1
	v_mov_b32_e32 v8, v2
; %bb.5524:                             ;   in Loop: Header=BB4_5289 Depth=3
	s_or_b64 exec, exec, s[28:29]
	v_lshrrev_b64 v[1:2], 20, v[8:9]
	v_cmp_gt_i32_e64 s[28:29], 16, v12
	v_cndmask_b32_e64 v2, 0, v2, s[28:29]
	v_cndmask_b32_e64 v1, 7, v1, s[28:29]
	v_cmp_eq_u64_e64 s[40:41], 0, v[1:2]
	v_min_i32_e32 v2, 15, v12
	v_lshlrev_b32_e32 v2, 3, v2
	v_cmp_eq_u32_e64 s[28:29], 0, v12
	v_and_b32_e32 v2, 0xf8, v2
	v_and_or_b32 v1, v1, 7, v2
	s_and_b64 s[28:29], s[28:29], s[40:41]
	v_cndmask_b32_e64 v1, v1, 0, s[28:29]
	v_or_b32_e32 v36, v1, v22
.LBB4_5525:                             ;   in Loop: Header=BB4_5289 Depth=3
	s_or_b64 exec, exec, s[48:49]
                                        ; implicit-def: $vgpr22
.LBB4_5526:                             ;   in Loop: Header=BB4_5289 Depth=3
	s_andn2_saveexec_b64 s[28:29], s[38:39]
; %bb.5527:                             ;   in Loop: Header=BB4_5289 Depth=3
	v_or_b32_e32 v36, 0x7e, v22
; %bb.5528:                             ;   in Loop: Header=BB4_5289 Depth=3
	s_or_b64 exec, exec, s[28:29]
                                        ; implicit-def: $vgpr8
.LBB4_5529:                             ;   in Loop: Header=BB4_5289 Depth=3
	s_andn2_saveexec_b64 s[28:29], s[36:37]
; %bb.5530:                             ;   in Loop: Header=BB4_5289 Depth=3
	v_or_b32_sdwa v36, v8, s71 dst_sel:DWORD dst_unused:UNUSED_PAD src0_sel:BYTE_3 src1_sel:DWORD
; %bb.5531:                             ;   in Loop: Header=BB4_5289 Depth=3
	s_or_b64 exec, exec, s[28:29]
	v_lshrrev_b16_e32 v2, 8, v14
	v_cmp_ne_u16_e64 s[28:29], 0, v2
	v_mov_b32_e32 v8, 0
	s_and_saveexec_b64 s[40:41], s[28:29]
	s_cbranch_execz .LBB4_5537
; %bb.5532:                             ;   in Loop: Header=BB4_5289 Depth=3
	v_cmp_ne_u16_e64 s[28:29], s70, v2
	v_bfrev_b32_e32 v8, 1
	s_and_saveexec_b64 s[36:37], s[28:29]
	s_cbranch_execz .LBB4_5536
; %bb.5533:                             ;   in Loop: Header=BB4_5289 Depth=3
	v_and_b32_e32 v1, 0x7f, v2
	v_cmp_ne_u32_e64 s[28:29], s71, v1
	v_mov_b32_e32 v8, 0x7f800001
	s_and_saveexec_b64 s[38:39], s[28:29]
	s_cbranch_execz .LBB4_5535
; %bb.5534:                             ;   in Loop: Header=BB4_5289 Depth=3
	v_and_b32_e32 v8, 7, v2
	v_lshrrev_b32_e32 v9, 3, v1
	v_cmp_gt_u32_e64 s[28:29], 8, v1
	v_ffbh_u32_e32 v1, v8
	v_min_u32_e32 v12, 32, v1
	v_subrev_u32_e32 v1, 28, v12
	v_lshlrev_b64 v[1:2], v1, v[2:3]
	v_sub_u32_e32 v2, 29, v12
	v_and_b32_e32 v1, 7, v1
	v_cndmask_b32_e64 v2, v9, v2, s[28:29]
	v_cndmask_b32_e64 v1, v8, v1, s[28:29]
	v_lshlrev_b32_e32 v8, 16, v14
	v_lshlrev_b32_e32 v1, 20, v1
	v_and_b32_e32 v8, 0x80000000, v8
	v_lshl_add_u32 v2, v2, 23, v0
	v_or3_b32 v8, v8, v2, v1
.LBB4_5535:                             ;   in Loop: Header=BB4_5289 Depth=3
	s_or_b64 exec, exec, s[38:39]
.LBB4_5536:                             ;   in Loop: Header=BB4_5289 Depth=3
	s_or_b64 exec, exec, s[36:37]
.LBB4_5537:                             ;   in Loop: Header=BB4_5289 Depth=3
	s_or_b64 exec, exec, s[40:41]
	v_lshrrev_b16_e32 v2, 8, v10
	v_cmp_lt_i16_e64 s[28:29], s71, v2
	s_mov_b64 s[40:41], 0
	s_and_saveexec_b64 s[44:45], s[28:29]
	s_xor_b64 s[36:37], exec, s[44:45]
	s_cbranch_execz .LBB4_5729
; %bb.5538:                             ;   in Loop: Header=BB4_5289 Depth=3
	v_cmp_eq_u16_e64 s[28:29], s70, v2
	s_mov_b64 s[40:41], -1
	s_and_saveexec_b64 s[38:39], s[28:29]
; %bb.5539:                             ;   in Loop: Header=BB4_5289 Depth=3
	s_xor_b64 s[40:41], exec, -1
; %bb.5540:                             ;   in Loop: Header=BB4_5289 Depth=3
	s_or_b64 exec, exec, s[38:39]
	s_and_b64 s[40:41], s[40:41], exec
	s_or_saveexec_b64 s[36:37], s[36:37]
	v_bfrev_b32_e32 v1, 1
	s_xor_b64 exec, exec, s[36:37]
	s_cbranch_execnz .LBB4_5730
.LBB4_5541:                             ;   in Loop: Header=BB4_5289 Depth=3
	s_or_b64 exec, exec, s[36:37]
	s_and_saveexec_b64 s[36:37], s[40:41]
	s_cbranch_execz .LBB4_5543
.LBB4_5542:                             ;   in Loop: Header=BB4_5289 Depth=3
	v_and_b32_e32 v1, 7, v2
	v_ffbh_u32_e32 v12, v1
	v_min_u32_e32 v23, 32, v12
	v_subrev_u32_e32 v12, 28, v23
	v_lshlrev_b64 v[12:13], v12, v[2:3]
	v_and_b32_e32 v9, 0x7f, v2
	v_bfe_u32 v22, v2, 3, 4
	v_sub_u32_e32 v13, 29, v23
	v_and_b32_e32 v12, 7, v12
	v_cmp_gt_u32_e64 s[28:29], 8, v9
	v_cndmask_b32_e64 v13, v22, v13, s[28:29]
	v_cndmask_b32_e64 v1, v1, v12, s[28:29]
	v_lshlrev_b32_e32 v2, 24, v2
	v_lshlrev_b32_e32 v1, 20, v1
	v_and_b32_e32 v2, 0x80000000, v2
	v_lshl_add_u32 v12, v13, 23, v0
	v_or3_b32 v1, v2, v12, v1
	v_cmp_ne_u32_e64 s[28:29], s71, v9
	v_mov_b32_e32 v2, 0x7f800001
	v_cndmask_b32_e64 v1, v2, v1, s[28:29]
.LBB4_5543:                             ;   in Loop: Header=BB4_5289 Depth=3
	s_or_b64 exec, exec, s[36:37]
	v_mul_f32_e32 v8, v8, v1
	v_and_b32_e32 v2, 0x7f800000, v8
	v_cmp_ne_u64_e64 s[28:29], s[62:63], v[2:3]
                                        ; implicit-def: $vgpr52
	s_and_saveexec_b64 s[40:41], s[28:29]
	s_xor_b64 s[36:37], exec, s[40:41]
	s_cbranch_execz .LBB4_5557
; %bb.5544:                             ;   in Loop: Header=BB4_5289 Depth=3
	v_and_b32_e32 v2, 0x7fffffff, v8
	v_cmp_gt_u64_e64 s[28:29], s[72:73], v[2:3]
	v_and_b32_sdwa v22, v8, s70 dst_sel:DWORD dst_unused:UNUSED_PAD src0_sel:BYTE_3 src1_sel:DWORD
                                        ; implicit-def: $vgpr52
	s_and_saveexec_b64 s[40:41], s[28:29]
	s_xor_b64 s[38:39], exec, s[40:41]
	s_cbranch_execz .LBB4_5554
; %bb.5545:                             ;   in Loop: Header=BB4_5289 Depth=3
	v_mov_b32_e32 v52, 0
	v_cmp_ne_u32_e64 s[28:29], 0, v8
	s_and_saveexec_b64 s[48:49], s[28:29]
	s_cbranch_execz .LBB4_5553
; %bb.5546:                             ;   in Loop: Header=BB4_5289 Depth=3
	v_bfe_u32 v23, v8, 23, 8
	v_cmp_gt_u32_e64 s[40:41], s80, v23
	v_sub_u32_e32 v2, 0x79, v23
	v_and_b32_e32 v1, 0x7fffff, v8
	v_cmp_eq_u32_e64 s[28:29], 0, v23
	v_cndmask_b32_e64 v2, 0, v2, s[40:41]
	v_mov_b32_e32 v9, 0x78
	v_or_b32_e32 v8, 0x800000, v1
	v_cndmask_b32_e64 v50, v2, v9, s[28:29]
	v_cndmask_b32_e64 v2, v8, v1, s[28:29]
	v_add_u32_e32 v1, 20, v50
	v_lshlrev_b64 v[8:9], v1, -1
	v_add_u32_e32 v1, 19, v50
	v_lshlrev_b64 v[12:13], v1, 1
	v_bfi_b32 v9, v9, 0, 0
	v_bfi_b32 v8, v8, 0, v2
	v_cmp_eq_u64_e64 s[40:41], v[8:9], v[12:13]
	v_lshrrev_b64 v[8:9], v50, v[2:3]
	v_mov_b32_e32 v13, v9
	v_mov_b32_e32 v12, v8
	s_and_saveexec_b64 s[50:51], s[40:41]
; %bb.5547:                             ;   in Loop: Header=BB4_5289 Depth=3
	v_bfe_u32 v1, v8, 20, 1
	v_add_co_u32_e64 v1, s[40:41], v8, v1
	v_add_co_u32_e64 v12, s[40:41], -1, v1
; %bb.5548:                             ;   in Loop: Header=BB4_5289 Depth=3
	s_or_b64 exec, exec, s[50:51]
	v_add_u32_e32 v1, 0xffffff81, v23
	v_mov_b32_e32 v2, 0xffffff82
	v_cndmask_b32_e64 v1, v1, v2, s[28:29]
	v_lshrrev_b32_e32 v2, 23, v8
	v_add3_u32 v13, v50, v1, v2
	v_add_u32_e32 v1, 6, v13
	v_and_b32_e32 v2, 0xfffff, v12
	v_add_u32_e32 v2, v2, v8
	v_cmp_ne_u32_e64 s[28:29], 0, v1
                                        ; implicit-def: $vgpr8_vgpr9
                                        ; implicit-def: $vgpr12
	s_and_saveexec_b64 s[40:41], s[28:29]
	s_xor_b64 s[40:41], exec, s[40:41]
; %bb.5549:                             ;   in Loop: Header=BB4_5289 Depth=3
	v_cmp_lt_u64_e64 s[28:29], s[88:89], v[2:3]
	v_add_u32_e32 v8, 7, v13
	v_cndmask_b32_e64 v12, v1, v8, s[28:29]
	v_cndmask_b32_e64 v1, 0, 1, s[28:29]
	v_lshrrev_b64 v[8:9], v1, v[2:3]
; %bb.5550:                             ;   in Loop: Header=BB4_5289 Depth=3
	s_andn2_saveexec_b64 s[28:29], s[40:41]
; %bb.5551:                             ;   in Loop: Header=BB4_5289 Depth=3
	v_mov_b32_e32 v9, v3
	v_bfe_u32 v12, v2, 23, 1
	v_mov_b32_e32 v8, v2
; %bb.5552:                             ;   in Loop: Header=BB4_5289 Depth=3
	s_or_b64 exec, exec, s[28:29]
	v_lshrrev_b64 v[1:2], 20, v[8:9]
	v_cmp_gt_i32_e64 s[28:29], 16, v12
	v_cndmask_b32_e64 v2, 0, v2, s[28:29]
	v_cndmask_b32_e64 v1, 7, v1, s[28:29]
	v_cmp_eq_u64_e64 s[40:41], 0, v[1:2]
	v_min_i32_e32 v2, 15, v12
	v_lshlrev_b32_e32 v2, 3, v2
	v_cmp_eq_u32_e64 s[28:29], 0, v12
	v_and_b32_e32 v2, 0xf8, v2
	v_and_or_b32 v1, v1, 7, v2
	s_and_b64 s[28:29], s[28:29], s[40:41]
	v_cndmask_b32_e64 v1, v1, 0, s[28:29]
	v_or_b32_e32 v52, v1, v22
.LBB4_5553:                             ;   in Loop: Header=BB4_5289 Depth=3
	s_or_b64 exec, exec, s[48:49]
                                        ; implicit-def: $vgpr22
.LBB4_5554:                             ;   in Loop: Header=BB4_5289 Depth=3
	s_andn2_saveexec_b64 s[28:29], s[38:39]
; %bb.5555:                             ;   in Loop: Header=BB4_5289 Depth=3
	v_or_b32_e32 v52, 0x7e, v22
; %bb.5556:                             ;   in Loop: Header=BB4_5289 Depth=3
	s_or_b64 exec, exec, s[28:29]
                                        ; implicit-def: $vgpr8
.LBB4_5557:                             ;   in Loop: Header=BB4_5289 Depth=3
	s_andn2_saveexec_b64 s[28:29], s[36:37]
; %bb.5558:                             ;   in Loop: Header=BB4_5289 Depth=3
	v_or_b32_sdwa v52, v8, s71 dst_sel:DWORD dst_unused:UNUSED_PAD src0_sel:BYTE_3 src1_sel:DWORD
; %bb.5559:                             ;   in Loop: Header=BB4_5289 Depth=3
	s_or_b64 exec, exec, s[28:29]
	v_lshrrev_b32_e32 v2, 16, v14
	v_cmp_ne_u16_sdwa s[28:29], v2, v3 src0_sel:BYTE_0 src1_sel:DWORD
	v_mov_b32_e32 v8, 0
	s_and_saveexec_b64 s[40:41], s[28:29]
	s_cbranch_execz .LBB4_5565
; %bb.5560:                             ;   in Loop: Header=BB4_5289 Depth=3
	v_cmp_ne_u16_sdwa s[28:29], v2, s70 src0_sel:BYTE_0 src1_sel:DWORD
	v_bfrev_b32_e32 v8, 1
	s_and_saveexec_b64 s[36:37], s[28:29]
	s_cbranch_execz .LBB4_5564
; %bb.5561:                             ;   in Loop: Header=BB4_5289 Depth=3
	v_bfe_u32 v1, v14, 16, 7
	v_cmp_ne_u32_e64 s[28:29], s71, v1
	v_mov_b32_e32 v8, 0x7f800001
	s_and_saveexec_b64 s[38:39], s[28:29]
	s_cbranch_execz .LBB4_5563
; %bb.5562:                             ;   in Loop: Header=BB4_5289 Depth=3
	v_and_b32_e32 v12, 7, v2
	v_lshrrev_b32_e32 v13, 3, v1
	v_cmp_gt_u32_e64 s[28:29], 8, v1
	v_ffbh_u32_e32 v1, v12
	v_min_u32_e32 v1, 32, v1
	v_subrev_u32_e32 v8, 28, v1
	v_lshlrev_b64 v[8:9], v8, v[2:3]
	v_sub_u32_e32 v1, 29, v1
	v_and_b32_e32 v8, 7, v8
	v_cndmask_b32_e64 v1, v13, v1, s[28:29]
	v_cndmask_b32_e64 v8, v12, v8, s[28:29]
	v_lshlrev_b32_e32 v2, 24, v2
	v_lshlrev_b32_e32 v8, 20, v8
	v_and_b32_e32 v2, 0x80000000, v2
	v_lshl_add_u32 v1, v1, 23, v0
	v_or3_b32 v8, v2, v1, v8
.LBB4_5563:                             ;   in Loop: Header=BB4_5289 Depth=3
	s_or_b64 exec, exec, s[38:39]
.LBB4_5564:                             ;   in Loop: Header=BB4_5289 Depth=3
	s_or_b64 exec, exec, s[36:37]
.LBB4_5565:                             ;   in Loop: Header=BB4_5289 Depth=3
	s_or_b64 exec, exec, s[40:41]
	v_lshrrev_b32_e32 v2, 16, v10
	v_cmp_gt_i16_sdwa s[40:41], v2, s71 src0_sel:BYTE_0 src1_sel:DWORD
	s_mov_b64 s[28:29], 0
	s_and_saveexec_b64 s[44:45], s[40:41]
	s_xor_b64 s[40:41], exec, s[44:45]
	s_cbranch_execz .LBB4_5731
; %bb.5566:                             ;   in Loop: Header=BB4_5289 Depth=3
	v_cmp_eq_u16_sdwa s[44:45], v2, s70 src0_sel:BYTE_0 src1_sel:DWORD
	s_mov_b64 s[28:29], -1
	s_and_saveexec_b64 s[36:37], s[44:45]
; %bb.5567:                             ;   in Loop: Header=BB4_5289 Depth=3
	s_xor_b64 s[28:29], exec, -1
; %bb.5568:                             ;   in Loop: Header=BB4_5289 Depth=3
	s_or_b64 exec, exec, s[36:37]
	s_and_b64 s[28:29], s[28:29], exec
	s_or_saveexec_b64 s[40:41], s[40:41]
	v_bfrev_b32_e32 v1, 1
	s_xor_b64 exec, exec, s[40:41]
	s_cbranch_execnz .LBB4_5732
.LBB4_5569:                             ;   in Loop: Header=BB4_5289 Depth=3
	s_or_b64 exec, exec, s[40:41]
	s_and_saveexec_b64 s[40:41], s[28:29]
	s_cbranch_execz .LBB4_5571
.LBB4_5570:                             ;   in Loop: Header=BB4_5289 Depth=3
	v_and_b32_e32 v1, 7, v2
	v_ffbh_u32_e32 v12, v1
	v_min_u32_e32 v23, 32, v12
	v_subrev_u32_e32 v12, 28, v23
	v_lshlrev_b64 v[12:13], v12, v[2:3]
	v_and_b32_e32 v9, 0x7f, v2
	v_bfe_u32 v22, v2, 3, 4
	v_sub_u32_e32 v13, 29, v23
	v_and_b32_e32 v12, 7, v12
	v_cmp_gt_u32_e64 s[28:29], 8, v9
	v_cndmask_b32_e64 v13, v22, v13, s[28:29]
	v_cndmask_b32_e64 v1, v1, v12, s[28:29]
	v_lshlrev_b32_e32 v2, 24, v2
	v_lshlrev_b32_e32 v1, 20, v1
	v_and_b32_e32 v2, 0x80000000, v2
	v_lshl_add_u32 v12, v13, 23, v0
	v_or3_b32 v1, v2, v12, v1
	v_cmp_ne_u32_e64 s[28:29], s71, v9
	v_mov_b32_e32 v2, 0x7f800001
	v_cndmask_b32_e64 v1, v2, v1, s[28:29]
.LBB4_5571:                             ;   in Loop: Header=BB4_5289 Depth=3
	s_or_b64 exec, exec, s[40:41]
	v_mul_f32_e32 v8, v8, v1
	v_and_b32_e32 v2, 0x7f800000, v8
	v_cmp_ne_u64_e64 s[28:29], s[62:63], v[2:3]
                                        ; implicit-def: $vgpr53
	s_and_saveexec_b64 s[40:41], s[28:29]
	s_xor_b64 s[36:37], exec, s[40:41]
	s_cbranch_execz .LBB4_5585
; %bb.5572:                             ;   in Loop: Header=BB4_5289 Depth=3
	v_and_b32_e32 v2, 0x7fffffff, v8
	v_cmp_gt_u64_e64 s[28:29], s[72:73], v[2:3]
	v_and_b32_sdwa v22, v8, s70 dst_sel:DWORD dst_unused:UNUSED_PAD src0_sel:BYTE_3 src1_sel:DWORD
                                        ; implicit-def: $vgpr53
	s_and_saveexec_b64 s[40:41], s[28:29]
	s_xor_b64 s[38:39], exec, s[40:41]
	s_cbranch_execz .LBB4_5582
; %bb.5573:                             ;   in Loop: Header=BB4_5289 Depth=3
	v_mov_b32_e32 v53, 0
	v_cmp_ne_u32_e64 s[28:29], 0, v8
	s_and_saveexec_b64 s[48:49], s[28:29]
	s_cbranch_execz .LBB4_5581
; %bb.5574:                             ;   in Loop: Header=BB4_5289 Depth=3
	v_bfe_u32 v23, v8, 23, 8
	v_cmp_gt_u32_e64 s[40:41], s80, v23
	v_sub_u32_e32 v2, 0x79, v23
	v_and_b32_e32 v1, 0x7fffff, v8
	v_cmp_eq_u32_e64 s[28:29], 0, v23
	v_cndmask_b32_e64 v2, 0, v2, s[40:41]
	v_mov_b32_e32 v9, 0x78
	v_or_b32_e32 v8, 0x800000, v1
	v_cndmask_b32_e64 v50, v2, v9, s[28:29]
	v_cndmask_b32_e64 v2, v8, v1, s[28:29]
	v_add_u32_e32 v1, 20, v50
	v_lshlrev_b64 v[8:9], v1, -1
	v_add_u32_e32 v1, 19, v50
	v_lshlrev_b64 v[12:13], v1, 1
	v_bfi_b32 v9, v9, 0, 0
	v_bfi_b32 v8, v8, 0, v2
	v_cmp_eq_u64_e64 s[40:41], v[8:9], v[12:13]
	v_lshrrev_b64 v[8:9], v50, v[2:3]
	v_mov_b32_e32 v13, v9
	v_mov_b32_e32 v12, v8
	s_and_saveexec_b64 s[50:51], s[40:41]
; %bb.5575:                             ;   in Loop: Header=BB4_5289 Depth=3
	v_bfe_u32 v1, v8, 20, 1
	v_add_co_u32_e64 v1, s[40:41], v8, v1
	v_add_co_u32_e64 v12, s[40:41], -1, v1
; %bb.5576:                             ;   in Loop: Header=BB4_5289 Depth=3
	s_or_b64 exec, exec, s[50:51]
	v_add_u32_e32 v1, 0xffffff81, v23
	v_mov_b32_e32 v2, 0xffffff82
	v_cndmask_b32_e64 v1, v1, v2, s[28:29]
	v_lshrrev_b32_e32 v2, 23, v8
	v_add3_u32 v13, v50, v1, v2
	v_add_u32_e32 v1, 6, v13
	v_and_b32_e32 v2, 0xfffff, v12
	v_add_u32_e32 v2, v2, v8
	v_cmp_ne_u32_e64 s[28:29], 0, v1
                                        ; implicit-def: $vgpr8_vgpr9
                                        ; implicit-def: $vgpr12
	s_and_saveexec_b64 s[40:41], s[28:29]
	s_xor_b64 s[40:41], exec, s[40:41]
; %bb.5577:                             ;   in Loop: Header=BB4_5289 Depth=3
	v_cmp_lt_u64_e64 s[28:29], s[88:89], v[2:3]
	v_add_u32_e32 v8, 7, v13
	v_cndmask_b32_e64 v12, v1, v8, s[28:29]
	v_cndmask_b32_e64 v1, 0, 1, s[28:29]
	v_lshrrev_b64 v[8:9], v1, v[2:3]
; %bb.5578:                             ;   in Loop: Header=BB4_5289 Depth=3
	s_andn2_saveexec_b64 s[28:29], s[40:41]
; %bb.5579:                             ;   in Loop: Header=BB4_5289 Depth=3
	v_mov_b32_e32 v9, v3
	v_bfe_u32 v12, v2, 23, 1
	v_mov_b32_e32 v8, v2
; %bb.5580:                             ;   in Loop: Header=BB4_5289 Depth=3
	s_or_b64 exec, exec, s[28:29]
	v_lshrrev_b64 v[1:2], 20, v[8:9]
	v_cmp_gt_i32_e64 s[28:29], 16, v12
	v_cndmask_b32_e64 v2, 0, v2, s[28:29]
	v_cndmask_b32_e64 v1, 7, v1, s[28:29]
	v_cmp_eq_u64_e64 s[40:41], 0, v[1:2]
	v_min_i32_e32 v2, 15, v12
	v_lshlrev_b32_e32 v2, 3, v2
	v_cmp_eq_u32_e64 s[28:29], 0, v12
	v_and_b32_e32 v2, 0xf8, v2
	v_and_or_b32 v1, v1, 7, v2
	s_and_b64 s[28:29], s[28:29], s[40:41]
	v_cndmask_b32_e64 v1, v1, 0, s[28:29]
	v_or_b32_e32 v53, v1, v22
.LBB4_5581:                             ;   in Loop: Header=BB4_5289 Depth=3
	s_or_b64 exec, exec, s[48:49]
                                        ; implicit-def: $vgpr22
.LBB4_5582:                             ;   in Loop: Header=BB4_5289 Depth=3
	s_andn2_saveexec_b64 s[28:29], s[38:39]
; %bb.5583:                             ;   in Loop: Header=BB4_5289 Depth=3
	v_or_b32_e32 v53, 0x7e, v22
; %bb.5584:                             ;   in Loop: Header=BB4_5289 Depth=3
	s_or_b64 exec, exec, s[28:29]
                                        ; implicit-def: $vgpr8
.LBB4_5585:                             ;   in Loop: Header=BB4_5289 Depth=3
	s_andn2_saveexec_b64 s[28:29], s[36:37]
; %bb.5586:                             ;   in Loop: Header=BB4_5289 Depth=3
	v_or_b32_sdwa v53, v8, s71 dst_sel:DWORD dst_unused:UNUSED_PAD src0_sel:BYTE_3 src1_sel:DWORD
; %bb.5587:                             ;   in Loop: Header=BB4_5289 Depth=3
	s_or_b64 exec, exec, s[28:29]
	v_cmp_lt_u32_e64 s[28:29], s57, v14
	v_mov_b32_e32 v8, 0
	s_and_saveexec_b64 s[40:41], s[28:29]
	s_cbranch_execz .LBB4_5593
; %bb.5588:                             ;   in Loop: Header=BB4_5289 Depth=3
	v_lshrrev_b32_e32 v2, 24, v14
	v_cmp_ne_u32_e64 s[28:29], s70, v2
	v_bfrev_b32_e32 v8, 1
	s_and_saveexec_b64 s[36:37], s[28:29]
	s_cbranch_execz .LBB4_5592
; %bb.5589:                             ;   in Loop: Header=BB4_5289 Depth=3
	v_bfe_u32 v1, v14, 24, 7
	v_cmp_ne_u32_e64 s[28:29], s71, v1
	v_mov_b32_e32 v8, 0x7f800001
	s_and_saveexec_b64 s[38:39], s[28:29]
	s_cbranch_execz .LBB4_5591
; %bb.5590:                             ;   in Loop: Header=BB4_5289 Depth=3
	v_and_b32_e32 v12, 7, v2
	v_lshrrev_b32_e32 v13, 3, v1
	v_cmp_gt_u32_e64 s[28:29], 8, v1
	v_ffbh_u32_e32 v1, v12
	v_min_u32_e32 v1, 32, v1
	v_subrev_u32_e32 v8, 28, v1
	v_lshlrev_b64 v[8:9], v8, v[2:3]
	v_sub_u32_e32 v1, 29, v1
	v_and_b32_e32 v8, 7, v8
	v_cndmask_b32_e64 v1, v13, v1, s[28:29]
	v_cndmask_b32_e64 v8, v12, v8, s[28:29]
	v_lshlrev_b32_e32 v2, 24, v2
	v_lshlrev_b32_e32 v8, 20, v8
	v_and_b32_e32 v2, 0x80000000, v2
	v_lshl_add_u32 v1, v1, 23, v0
	v_or3_b32 v8, v2, v1, v8
.LBB4_5591:                             ;   in Loop: Header=BB4_5289 Depth=3
	s_or_b64 exec, exec, s[38:39]
.LBB4_5592:                             ;   in Loop: Header=BB4_5289 Depth=3
	s_or_b64 exec, exec, s[36:37]
.LBB4_5593:                             ;   in Loop: Header=BB4_5289 Depth=3
	s_or_b64 exec, exec, s[40:41]
	v_bfe_u32 v2, v10, 24, 3
	v_ffbh_u32_e32 v12, v2
	v_min_u32_e32 v23, 32, v12
	v_lshrrev_b32_e32 v1, 24, v10
	v_subrev_u32_e32 v12, 28, v23
	v_lshlrev_b64 v[12:13], v12, v[1:2]
	v_bfe_u32 v9, v10, 24, 7
	v_bfe_u32 v22, v1, 3, 4
	v_sub_u32_e32 v13, 29, v23
	v_and_b32_e32 v12, 7, v12
	v_cmp_gt_u32_e64 s[28:29], 8, v9
	v_cndmask_b32_e64 v13, v22, v13, s[28:29]
	v_cndmask_b32_e64 v2, v2, v12, s[28:29]
	v_lshlrev_b32_e32 v2, 20, v2
	v_and_b32_e32 v12, 0x80000000, v10
	v_lshl_add_u32 v13, v13, 23, v0
	v_or3_b32 v2, v12, v13, v2
	v_cmp_ne_u32_e64 s[28:29], s71, v9
	v_mov_b32_e32 v9, 0x7f800001
	v_cndmask_b32_e64 v2, v9, v2, s[28:29]
	v_cmp_ne_u32_e64 s[28:29], s70, v1
	v_bfrev_b32_e32 v1, 1
	v_cndmask_b32_e64 v1, v1, v2, s[28:29]
	v_cmp_lt_u32_e64 s[28:29], s57, v10
	v_cndmask_b32_e64 v1, 0, v1, s[28:29]
	v_mul_f32_e32 v8, v1, v8
	v_and_b32_e32 v2, 0x7f800000, v8
	v_cmp_ne_u64_e64 s[28:29], s[62:63], v[2:3]
                                        ; implicit-def: $vgpr51
	s_and_saveexec_b64 s[40:41], s[28:29]
	s_xor_b64 s[36:37], exec, s[40:41]
	s_cbranch_execz .LBB4_5607
; %bb.5594:                             ;   in Loop: Header=BB4_5289 Depth=3
	v_and_b32_e32 v2, 0x7fffffff, v8
	v_cmp_gt_u64_e64 s[28:29], s[72:73], v[2:3]
	v_and_b32_sdwa v22, v8, s70 dst_sel:DWORD dst_unused:UNUSED_PAD src0_sel:BYTE_3 src1_sel:DWORD
                                        ; implicit-def: $vgpr51
	s_and_saveexec_b64 s[40:41], s[28:29]
	s_xor_b64 s[38:39], exec, s[40:41]
	s_cbranch_execz .LBB4_5604
; %bb.5595:                             ;   in Loop: Header=BB4_5289 Depth=3
	v_mov_b32_e32 v51, 0
	v_cmp_ne_u32_e64 s[28:29], 0, v8
	s_and_saveexec_b64 s[48:49], s[28:29]
	s_cbranch_execz .LBB4_5603
; %bb.5596:                             ;   in Loop: Header=BB4_5289 Depth=3
	v_bfe_u32 v23, v8, 23, 8
	v_cmp_gt_u32_e64 s[40:41], s80, v23
	v_sub_u32_e32 v2, 0x79, v23
	v_and_b32_e32 v1, 0x7fffff, v8
	v_cmp_eq_u32_e64 s[28:29], 0, v23
	v_cndmask_b32_e64 v2, 0, v2, s[40:41]
	v_mov_b32_e32 v9, 0x78
	v_or_b32_e32 v8, 0x800000, v1
	v_cndmask_b32_e64 v50, v2, v9, s[28:29]
	v_cndmask_b32_e64 v2, v8, v1, s[28:29]
	v_add_u32_e32 v1, 20, v50
	v_lshlrev_b64 v[8:9], v1, -1
	v_add_u32_e32 v1, 19, v50
	v_lshlrev_b64 v[12:13], v1, 1
	v_bfi_b32 v9, v9, 0, 0
	v_bfi_b32 v8, v8, 0, v2
	v_cmp_eq_u64_e64 s[40:41], v[8:9], v[12:13]
	v_lshrrev_b64 v[8:9], v50, v[2:3]
	v_mov_b32_e32 v13, v9
	v_mov_b32_e32 v12, v8
	s_and_saveexec_b64 s[50:51], s[40:41]
; %bb.5597:                             ;   in Loop: Header=BB4_5289 Depth=3
	v_bfe_u32 v1, v8, 20, 1
	v_add_co_u32_e64 v1, s[40:41], v8, v1
	v_add_co_u32_e64 v12, s[40:41], -1, v1
; %bb.5598:                             ;   in Loop: Header=BB4_5289 Depth=3
	s_or_b64 exec, exec, s[50:51]
	v_add_u32_e32 v1, 0xffffff81, v23
	v_mov_b32_e32 v2, 0xffffff82
	v_cndmask_b32_e64 v1, v1, v2, s[28:29]
	v_lshrrev_b32_e32 v2, 23, v8
	v_add3_u32 v13, v50, v1, v2
	v_add_u32_e32 v1, 6, v13
	v_and_b32_e32 v2, 0xfffff, v12
	v_add_u32_e32 v2, v2, v8
	v_cmp_ne_u32_e64 s[28:29], 0, v1
                                        ; implicit-def: $vgpr8_vgpr9
                                        ; implicit-def: $vgpr12
	s_and_saveexec_b64 s[40:41], s[28:29]
	s_xor_b64 s[40:41], exec, s[40:41]
; %bb.5599:                             ;   in Loop: Header=BB4_5289 Depth=3
	v_cmp_lt_u64_e64 s[28:29], s[88:89], v[2:3]
	v_add_u32_e32 v8, 7, v13
	v_cndmask_b32_e64 v12, v1, v8, s[28:29]
	v_cndmask_b32_e64 v1, 0, 1, s[28:29]
	v_lshrrev_b64 v[8:9], v1, v[2:3]
; %bb.5600:                             ;   in Loop: Header=BB4_5289 Depth=3
	s_andn2_saveexec_b64 s[28:29], s[40:41]
; %bb.5601:                             ;   in Loop: Header=BB4_5289 Depth=3
	v_mov_b32_e32 v9, v3
	v_bfe_u32 v12, v2, 23, 1
	v_mov_b32_e32 v8, v2
; %bb.5602:                             ;   in Loop: Header=BB4_5289 Depth=3
	s_or_b64 exec, exec, s[28:29]
	v_lshrrev_b64 v[1:2], 20, v[8:9]
	v_cmp_gt_i32_e64 s[28:29], 16, v12
	v_cndmask_b32_e64 v2, 0, v2, s[28:29]
	v_cndmask_b32_e64 v1, 7, v1, s[28:29]
	v_cmp_eq_u64_e64 s[40:41], 0, v[1:2]
	v_min_i32_e32 v2, 15, v12
	v_lshlrev_b32_e32 v2, 3, v2
	v_cmp_eq_u32_e64 s[28:29], 0, v12
	v_and_b32_e32 v2, 0xf8, v2
	v_and_or_b32 v1, v1, 7, v2
	s_and_b64 s[28:29], s[28:29], s[40:41]
	v_cndmask_b32_e64 v1, v1, 0, s[28:29]
	v_or_b32_e32 v51, v1, v22
.LBB4_5603:                             ;   in Loop: Header=BB4_5289 Depth=3
	s_or_b64 exec, exec, s[48:49]
                                        ; implicit-def: $vgpr22
.LBB4_5604:                             ;   in Loop: Header=BB4_5289 Depth=3
	s_andn2_saveexec_b64 s[28:29], s[38:39]
; %bb.5605:                             ;   in Loop: Header=BB4_5289 Depth=3
	v_or_b32_e32 v51, 0x7e, v22
; %bb.5606:                             ;   in Loop: Header=BB4_5289 Depth=3
	s_or_b64 exec, exec, s[28:29]
                                        ; implicit-def: $vgpr8
.LBB4_5607:                             ;   in Loop: Header=BB4_5289 Depth=3
	s_andn2_saveexec_b64 s[28:29], s[36:37]
; %bb.5608:                             ;   in Loop: Header=BB4_5289 Depth=3
	v_or_b32_sdwa v51, v8, s71 dst_sel:DWORD dst_unused:UNUSED_PAD src0_sel:BYTE_3 src1_sel:DWORD
; %bb.5609:                             ;   in Loop: Header=BB4_5289 Depth=3
	s_or_b64 exec, exec, s[28:29]
	v_mov_b32_e32 v2, v15
	v_cmp_ne_u16_sdwa s[28:29], v15, v3 src0_sel:BYTE_0 src1_sel:DWORD
	v_mov_b32_e32 v12, 0
	s_and_saveexec_b64 s[40:41], s[28:29]
	s_cbranch_execz .LBB4_5615
; %bb.5610:                             ;   in Loop: Header=BB4_5289 Depth=3
	v_cmp_ne_u16_sdwa s[28:29], v15, s70 src0_sel:BYTE_0 src1_sel:DWORD
	v_bfrev_b32_e32 v12, 1
	s_and_saveexec_b64 s[36:37], s[28:29]
	s_cbranch_execz .LBB4_5614
; %bb.5611:                             ;   in Loop: Header=BB4_5289 Depth=3
	v_and_b32_e32 v1, 0x7f, v15
	v_cmp_ne_u32_e64 s[28:29], s71, v1
	v_mov_b32_e32 v12, 0x7f800001
	s_and_saveexec_b64 s[38:39], s[28:29]
	s_cbranch_execz .LBB4_5613
; %bb.5612:                             ;   in Loop: Header=BB4_5289 Depth=3
	v_and_b32_e32 v8, 7, v15
	v_lshrrev_b32_e32 v9, 3, v1
	v_cmp_gt_u32_e64 s[28:29], 8, v1
	v_ffbh_u32_e32 v1, v8
	v_min_u32_e32 v1, 32, v1
	v_subrev_u32_e32 v8, 28, v1
	v_sub_u32_e32 v1, 29, v1
	v_cndmask_b32_e64 v8, 0, v8, s[28:29]
	v_cndmask_b32_e64 v1, v9, v1, s[28:29]
	v_lshlrev_b64 v[8:9], v8, v[2:3]
	v_lshlrev_b32_e32 v9, 24, v2
	v_lshlrev_b32_e32 v8, 20, v8
	v_and_b32_e32 v8, 0x700000, v8
	v_and_b32_e32 v9, 0x80000000, v9
	v_lshl_add_u32 v1, v1, 23, v0
	v_or3_b32 v12, v9, v1, v8
.LBB4_5613:                             ;   in Loop: Header=BB4_5289 Depth=3
	s_or_b64 exec, exec, s[38:39]
.LBB4_5614:                             ;   in Loop: Header=BB4_5289 Depth=3
	s_or_b64 exec, exec, s[36:37]
.LBB4_5615:                             ;   in Loop: Header=BB4_5289 Depth=3
	s_or_b64 exec, exec, s[40:41]
	v_cmp_gt_i16_sdwa s[40:41], v11, s71 src0_sel:BYTE_0 src1_sel:DWORD
	s_mov_b64 s[28:29], 0
	s_and_saveexec_b64 s[44:45], s[40:41]
	s_xor_b64 s[40:41], exec, s[44:45]
	s_cbranch_execz .LBB4_5619
; %bb.5616:                             ;   in Loop: Header=BB4_5289 Depth=3
	v_cmp_eq_u16_sdwa s[44:45], v11, s70 src0_sel:BYTE_0 src1_sel:DWORD
	s_mov_b64 s[28:29], -1
	s_and_saveexec_b64 s[36:37], s[44:45]
; %bb.5617:                             ;   in Loop: Header=BB4_5289 Depth=3
	s_xor_b64 s[28:29], exec, -1
; %bb.5618:                             ;   in Loop: Header=BB4_5289 Depth=3
	s_or_b64 exec, exec, s[36:37]
	s_and_b64 s[28:29], s[28:29], exec
.LBB4_5619:                             ;   in Loop: Header=BB4_5289 Depth=3
	s_or_saveexec_b64 s[40:41], s[40:41]
	v_bfrev_b32_e32 v1, 1
	s_xor_b64 exec, exec, s[40:41]
; %bb.5620:                             ;   in Loop: Header=BB4_5289 Depth=3
	v_cmp_ne_u16_sdwa s[44:45], v11, v3 src0_sel:BYTE_0 src1_sel:DWORD
	s_andn2_b64 s[28:29], s[28:29], exec
	s_and_b64 s[44:45], s[44:45], exec
	v_mov_b32_e32 v1, 0
	s_or_b64 s[28:29], s[28:29], s[44:45]
; %bb.5621:                             ;   in Loop: Header=BB4_5289 Depth=3
	s_or_b64 exec, exec, s[40:41]
	v_mov_b32_e32 v8, v11
	v_mov_b32_e32 v9, v3
	s_and_saveexec_b64 s[40:41], s[28:29]
	s_cbranch_execz .LBB4_5623
; %bb.5622:                             ;   in Loop: Header=BB4_5289 Depth=3
	v_and_b32_e32 v1, 7, v11
	v_ffbh_u32_e32 v1, v1
	v_and_b32_e32 v13, 0x7f, v11
	v_min_u32_e32 v1, 32, v1
	v_bfe_u32 v22, v11, 3, 4
	v_subrev_u32_e32 v23, 28, v1
	v_sub_u32_e32 v1, 29, v1
	v_cmp_gt_u32_e64 s[28:29], 8, v13
	v_cndmask_b32_e64 v1, v22, v1, s[28:29]
	v_cndmask_b32_e64 v22, 0, v23, s[28:29]
	v_lshlrev_b64 v[22:23], v22, v[8:9]
	v_lshl_add_u32 v1, v1, 23, v0
	v_lshlrev_b32_e32 v9, 20, v22
	v_lshlrev_b32_e32 v22, 24, v8
	v_and_b32_e32 v9, 0x700000, v9
	v_and_b32_e32 v22, 0x80000000, v22
	v_or3_b32 v1, v22, v1, v9
	v_cmp_ne_u32_e64 s[28:29], s71, v13
	v_mov_b32_e32 v9, 0x7f800001
	v_cndmask_b32_e64 v1, v9, v1, s[28:29]
.LBB4_5623:                             ;   in Loop: Header=BB4_5289 Depth=3
	s_or_b64 exec, exec, s[40:41]
	v_mul_f32_e32 v12, v12, v1
	v_and_b32_e32 v22, 0x7f800000, v12
	v_mov_b32_e32 v23, v3
	v_cmp_ne_u64_e64 s[28:29], s[62:63], v[22:23]
                                        ; implicit-def: $vgpr22
	s_and_saveexec_b64 s[40:41], s[28:29]
	s_xor_b64 s[36:37], exec, s[40:41]
	s_cbranch_execz .LBB4_5637
; %bb.5624:                             ;   in Loop: Header=BB4_5289 Depth=3
	v_and_b32_e32 v22, 0x7fffffff, v12
	v_mov_b32_e32 v23, v3
	v_cmp_gt_u64_e64 s[28:29], s[72:73], v[22:23]
	v_and_b32_sdwa v9, v12, s70 dst_sel:DWORD dst_unused:UNUSED_PAD src0_sel:BYTE_3 src1_sel:DWORD
                                        ; implicit-def: $vgpr22
	s_and_saveexec_b64 s[40:41], s[28:29]
	s_xor_b64 s[38:39], exec, s[40:41]
	s_cbranch_execz .LBB4_5634
; %bb.5625:                             ;   in Loop: Header=BB4_5289 Depth=3
	v_mov_b32_e32 v22, 0
	v_cmp_ne_u32_e64 s[28:29], 0, v12
	s_and_saveexec_b64 s[48:49], s[28:29]
	s_cbranch_execz .LBB4_5633
; %bb.5626:                             ;   in Loop: Header=BB4_5289 Depth=3
	v_bfe_u32 v50, v12, 23, 8
	v_and_b32_e32 v1, 0x7fffff, v12
	v_cmp_gt_u32_e64 s[40:41], s80, v50
	v_sub_u32_e32 v12, 0x79, v50
	v_cmp_eq_u32_e64 s[28:29], 0, v50
	v_cndmask_b32_e64 v12, 0, v12, s[40:41]
	v_mov_b32_e32 v22, 0x78
	v_or_b32_e32 v13, 0x800000, v1
	v_cndmask_b32_e64 v54, v12, v22, s[28:29]
	v_cndmask_b32_e64 v12, v13, v1, s[28:29]
	v_add_u32_e32 v1, 20, v54
	v_lshlrev_b64 v[22:23], v1, -1
	v_mov_b32_e32 v13, v3
	v_add_u32_e32 v1, 19, v54
	v_bfi_b32 v22, v22, 0, v12
	v_lshlrev_b64 v[42:43], v1, 1
	v_lshrrev_b64 v[12:13], v54, v[12:13]
	v_bfi_b32 v23, v23, 0, 0
	v_cmp_eq_u64_e64 s[40:41], v[22:23], v[42:43]
	v_mov_b32_e32 v23, v13
	v_mov_b32_e32 v22, v12
	s_and_saveexec_b64 s[50:51], s[40:41]
; %bb.5627:                             ;   in Loop: Header=BB4_5289 Depth=3
	v_bfe_u32 v1, v12, 20, 1
	v_add_co_u32_e64 v1, s[40:41], v12, v1
	v_add_co_u32_e64 v22, s[40:41], -1, v1
; %bb.5628:                             ;   in Loop: Header=BB4_5289 Depth=3
	s_or_b64 exec, exec, s[50:51]
	v_add_u32_e32 v1, 0xffffff81, v50
	v_mov_b32_e32 v13, 0xffffff82
	v_cndmask_b32_e64 v1, v1, v13, s[28:29]
	v_lshrrev_b32_e32 v13, 23, v12
	v_add3_u32 v23, v54, v1, v13
	v_add_u32_e32 v1, 6, v23
	v_and_b32_e32 v13, 0xfffff, v22
	v_add_u32_e32 v12, v13, v12
	v_mov_b32_e32 v13, v3
	v_cmp_ne_u32_e64 s[28:29], 0, v1
                                        ; implicit-def: $vgpr22
	s_and_saveexec_b64 s[40:41], s[28:29]
	s_xor_b64 s[40:41], exec, s[40:41]
; %bb.5629:                             ;   in Loop: Header=BB4_5289 Depth=3
	v_cmp_lt_u64_e64 s[28:29], s[88:89], v[12:13]
	v_add_u32_e32 v22, 7, v23
	v_cndmask_b32_e64 v22, v1, v22, s[28:29]
	v_cndmask_b32_e64 v1, 0, 1, s[28:29]
	v_lshrrev_b64 v[12:13], v1, v[12:13]
; %bb.5630:                             ;   in Loop: Header=BB4_5289 Depth=3
	s_andn2_saveexec_b64 s[28:29], s[40:41]
; %bb.5631:                             ;   in Loop: Header=BB4_5289 Depth=3
	v_bfe_u32 v22, v12, 23, 1
; %bb.5632:                             ;   in Loop: Header=BB4_5289 Depth=3
	s_or_b64 exec, exec, s[28:29]
	v_lshrrev_b64 v[12:13], 20, v[12:13]
	v_cmp_gt_i32_e64 s[28:29], 16, v22
	v_cndmask_b32_e64 v13, 0, v13, s[28:29]
	v_cndmask_b32_e64 v12, 7, v12, s[28:29]
	v_min_i32_e32 v1, 15, v22
	v_cmp_eq_u64_e64 s[40:41], 0, v[12:13]
	v_lshlrev_b32_e32 v1, 3, v1
	v_cmp_eq_u32_e64 s[28:29], 0, v22
	v_and_b32_e32 v1, 0xf8, v1
	v_and_or_b32 v1, v12, 7, v1
	s_and_b64 s[28:29], s[28:29], s[40:41]
	v_cndmask_b32_e64 v1, v1, 0, s[28:29]
	v_or_b32_e32 v22, v1, v9
.LBB4_5633:                             ;   in Loop: Header=BB4_5289 Depth=3
	s_or_b64 exec, exec, s[48:49]
                                        ; implicit-def: $vgpr9
.LBB4_5634:                             ;   in Loop: Header=BB4_5289 Depth=3
	s_andn2_saveexec_b64 s[28:29], s[38:39]
; %bb.5635:                             ;   in Loop: Header=BB4_5289 Depth=3
	v_or_b32_e32 v22, 0x7e, v9
; %bb.5636:                             ;   in Loop: Header=BB4_5289 Depth=3
	s_or_b64 exec, exec, s[28:29]
                                        ; implicit-def: $vgpr12
.LBB4_5637:                             ;   in Loop: Header=BB4_5289 Depth=3
	s_andn2_saveexec_b64 s[28:29], s[36:37]
; %bb.5638:                             ;   in Loop: Header=BB4_5289 Depth=3
	v_or_b32_sdwa v22, v12, s71 dst_sel:DWORD dst_unused:UNUSED_PAD src0_sel:BYTE_3 src1_sel:DWORD
; %bb.5639:                             ;   in Loop: Header=BB4_5289 Depth=3
	s_or_b64 exec, exec, s[28:29]
	v_lshrrev_b16_e32 v9, 8, v2
	v_cmp_ne_u16_e64 s[28:29], 0, v9
	v_mov_b32_e32 v12, 0
	s_and_saveexec_b64 s[40:41], s[28:29]
	s_cbranch_execz .LBB4_5645
; %bb.5640:                             ;   in Loop: Header=BB4_5289 Depth=3
	v_cmp_ne_u16_e64 s[28:29], s70, v9
	v_bfrev_b32_e32 v12, 1
	s_and_saveexec_b64 s[36:37], s[28:29]
	s_cbranch_execz .LBB4_5644
; %bb.5641:                             ;   in Loop: Header=BB4_5289 Depth=3
	v_and_b32_e32 v1, 0x7f, v9
	v_cmp_ne_u32_e64 s[28:29], s71, v1
	v_mov_b32_e32 v12, 0x7f800001
	s_and_saveexec_b64 s[38:39], s[28:29]
	s_cbranch_execz .LBB4_5643
; %bb.5642:                             ;   in Loop: Header=BB4_5289 Depth=3
	v_and_b32_e32 v23, 7, v9
	v_lshrrev_b32_e32 v50, 3, v1
	v_cmp_gt_u32_e64 s[28:29], 8, v1
	v_ffbh_u32_e32 v1, v23
	v_min_u32_e32 v1, 32, v1
	v_subrev_u32_e32 v12, 28, v1
	v_lshlrev_b64 v[12:13], v12, v[9:10]
	v_sub_u32_e32 v1, 29, v1
	v_and_b32_e32 v9, 7, v12
	v_cndmask_b32_e64 v1, v50, v1, s[28:29]
	v_cndmask_b32_e64 v9, v23, v9, s[28:29]
	v_lshlrev_b32_e32 v2, 16, v2
	v_lshlrev_b32_e32 v9, 20, v9
	v_and_b32_e32 v2, 0x80000000, v2
	v_lshl_add_u32 v1, v1, 23, v0
	v_or3_b32 v12, v2, v1, v9
.LBB4_5643:                             ;   in Loop: Header=BB4_5289 Depth=3
	s_or_b64 exec, exec, s[38:39]
.LBB4_5644:                             ;   in Loop: Header=BB4_5289 Depth=3
	s_or_b64 exec, exec, s[36:37]
.LBB4_5645:                             ;   in Loop: Header=BB4_5289 Depth=3
	s_or_b64 exec, exec, s[40:41]
	v_lshrrev_b16_e32 v2, 8, v8
	v_cmp_lt_i16_e64 s[28:29], s71, v2
	s_mov_b64 s[40:41], 0
	s_and_saveexec_b64 s[44:45], s[28:29]
	s_xor_b64 s[36:37], exec, s[44:45]
	s_cbranch_execz .LBB4_5733
; %bb.5646:                             ;   in Loop: Header=BB4_5289 Depth=3
	v_cmp_eq_u16_e64 s[28:29], s70, v2
	s_mov_b64 s[40:41], -1
	s_and_saveexec_b64 s[38:39], s[28:29]
; %bb.5647:                             ;   in Loop: Header=BB4_5289 Depth=3
	s_xor_b64 s[40:41], exec, -1
; %bb.5648:                             ;   in Loop: Header=BB4_5289 Depth=3
	s_or_b64 exec, exec, s[38:39]
	s_and_b64 s[40:41], s[40:41], exec
	s_or_saveexec_b64 s[36:37], s[36:37]
	v_bfrev_b32_e32 v1, 1
	s_xor_b64 exec, exec, s[36:37]
	s_cbranch_execnz .LBB4_5734
.LBB4_5649:                             ;   in Loop: Header=BB4_5289 Depth=3
	s_or_b64 exec, exec, s[36:37]
	s_and_saveexec_b64 s[36:37], s[40:41]
	s_cbranch_execz .LBB4_5651
.LBB4_5650:                             ;   in Loop: Header=BB4_5289 Depth=3
	v_and_b32_e32 v1, 7, v2
	v_ffbh_u32_e32 v8, v1
	v_min_u32_e32 v50, 32, v8
	v_subrev_u32_e32 v8, 28, v50
	v_lshlrev_b64 v[8:9], v8, v[2:3]
	v_and_b32_e32 v13, 0x7f, v2
	v_bfe_u32 v23, v2, 3, 4
	v_sub_u32_e32 v9, 29, v50
	v_and_b32_e32 v8, 7, v8
	v_cmp_gt_u32_e64 s[28:29], 8, v13
	v_cndmask_b32_e64 v9, v23, v9, s[28:29]
	v_cndmask_b32_e64 v1, v1, v8, s[28:29]
	v_lshlrev_b32_e32 v2, 24, v2
	v_lshlrev_b32_e32 v1, 20, v1
	v_and_b32_e32 v2, 0x80000000, v2
	v_lshl_add_u32 v8, v9, 23, v0
	v_or3_b32 v1, v2, v8, v1
	v_cmp_ne_u32_e64 s[28:29], s71, v13
	v_mov_b32_e32 v2, 0x7f800001
	v_cndmask_b32_e64 v1, v2, v1, s[28:29]
.LBB4_5651:                             ;   in Loop: Header=BB4_5289 Depth=3
	s_or_b64 exec, exec, s[36:37]
	v_mul_f32_e32 v8, v12, v1
	v_and_b32_e32 v2, 0x7f800000, v8
	v_cmp_ne_u64_e64 s[28:29], s[62:63], v[2:3]
                                        ; implicit-def: $vgpr23
	s_and_saveexec_b64 s[40:41], s[28:29]
	s_xor_b64 s[36:37], exec, s[40:41]
	s_cbranch_execz .LBB4_5665
; %bb.5652:                             ;   in Loop: Header=BB4_5289 Depth=3
	v_and_b32_e32 v2, 0x7fffffff, v8
	v_cmp_gt_u64_e64 s[28:29], s[72:73], v[2:3]
	v_and_b32_sdwa v50, v8, s70 dst_sel:DWORD dst_unused:UNUSED_PAD src0_sel:BYTE_3 src1_sel:DWORD
                                        ; implicit-def: $vgpr23
	s_and_saveexec_b64 s[40:41], s[28:29]
	s_xor_b64 s[38:39], exec, s[40:41]
	s_cbranch_execz .LBB4_5662
; %bb.5653:                             ;   in Loop: Header=BB4_5289 Depth=3
	v_mov_b32_e32 v23, 0
	v_cmp_ne_u32_e64 s[28:29], 0, v8
	s_and_saveexec_b64 s[48:49], s[28:29]
	s_cbranch_execz .LBB4_5661
; %bb.5654:                             ;   in Loop: Header=BB4_5289 Depth=3
	v_bfe_u32 v23, v8, 23, 8
	v_cmp_gt_u32_e64 s[40:41], s80, v23
	v_sub_u32_e32 v2, 0x79, v23
	v_and_b32_e32 v1, 0x7fffff, v8
	v_cmp_eq_u32_e64 s[28:29], 0, v23
	v_cndmask_b32_e64 v2, 0, v2, s[40:41]
	v_mov_b32_e32 v9, 0x78
	v_or_b32_e32 v8, 0x800000, v1
	v_cndmask_b32_e64 v54, v2, v9, s[28:29]
	v_cndmask_b32_e64 v2, v8, v1, s[28:29]
	v_add_u32_e32 v1, 20, v54
	v_lshlrev_b64 v[8:9], v1, -1
	v_add_u32_e32 v1, 19, v54
	v_lshlrev_b64 v[12:13], v1, 1
	v_bfi_b32 v9, v9, 0, 0
	v_bfi_b32 v8, v8, 0, v2
	v_cmp_eq_u64_e64 s[40:41], v[8:9], v[12:13]
	v_lshrrev_b64 v[8:9], v54, v[2:3]
	v_mov_b32_e32 v13, v9
	v_mov_b32_e32 v12, v8
	s_and_saveexec_b64 s[50:51], s[40:41]
; %bb.5655:                             ;   in Loop: Header=BB4_5289 Depth=3
	v_bfe_u32 v1, v8, 20, 1
	v_add_co_u32_e64 v1, s[40:41], v8, v1
	v_add_co_u32_e64 v12, s[40:41], -1, v1
; %bb.5656:                             ;   in Loop: Header=BB4_5289 Depth=3
	s_or_b64 exec, exec, s[50:51]
	v_add_u32_e32 v1, 0xffffff81, v23
	v_mov_b32_e32 v2, 0xffffff82
	v_cndmask_b32_e64 v1, v1, v2, s[28:29]
	v_lshrrev_b32_e32 v2, 23, v8
	v_add3_u32 v13, v54, v1, v2
	v_add_u32_e32 v1, 6, v13
	v_and_b32_e32 v2, 0xfffff, v12
	v_add_u32_e32 v2, v2, v8
	v_cmp_ne_u32_e64 s[28:29], 0, v1
                                        ; implicit-def: $vgpr8_vgpr9
                                        ; implicit-def: $vgpr12
	s_and_saveexec_b64 s[40:41], s[28:29]
	s_xor_b64 s[40:41], exec, s[40:41]
; %bb.5657:                             ;   in Loop: Header=BB4_5289 Depth=3
	v_cmp_lt_u64_e64 s[28:29], s[88:89], v[2:3]
	v_add_u32_e32 v8, 7, v13
	v_cndmask_b32_e64 v12, v1, v8, s[28:29]
	v_cndmask_b32_e64 v1, 0, 1, s[28:29]
	v_lshrrev_b64 v[8:9], v1, v[2:3]
; %bb.5658:                             ;   in Loop: Header=BB4_5289 Depth=3
	s_andn2_saveexec_b64 s[28:29], s[40:41]
; %bb.5659:                             ;   in Loop: Header=BB4_5289 Depth=3
	v_mov_b32_e32 v9, v3
	v_bfe_u32 v12, v2, 23, 1
	v_mov_b32_e32 v8, v2
; %bb.5660:                             ;   in Loop: Header=BB4_5289 Depth=3
	s_or_b64 exec, exec, s[28:29]
	v_lshrrev_b64 v[1:2], 20, v[8:9]
	v_cmp_gt_i32_e64 s[28:29], 16, v12
	v_cndmask_b32_e64 v2, 0, v2, s[28:29]
	v_cndmask_b32_e64 v1, 7, v1, s[28:29]
	v_cmp_eq_u64_e64 s[40:41], 0, v[1:2]
	v_min_i32_e32 v2, 15, v12
	v_lshlrev_b32_e32 v2, 3, v2
	v_cmp_eq_u32_e64 s[28:29], 0, v12
	v_and_b32_e32 v2, 0xf8, v2
	v_and_or_b32 v1, v1, 7, v2
	s_and_b64 s[28:29], s[28:29], s[40:41]
	v_cndmask_b32_e64 v1, v1, 0, s[28:29]
	v_or_b32_e32 v23, v1, v50
.LBB4_5661:                             ;   in Loop: Header=BB4_5289 Depth=3
	s_or_b64 exec, exec, s[48:49]
                                        ; implicit-def: $vgpr50
.LBB4_5662:                             ;   in Loop: Header=BB4_5289 Depth=3
	s_andn2_saveexec_b64 s[28:29], s[38:39]
; %bb.5663:                             ;   in Loop: Header=BB4_5289 Depth=3
	v_or_b32_e32 v23, 0x7e, v50
; %bb.5664:                             ;   in Loop: Header=BB4_5289 Depth=3
	s_or_b64 exec, exec, s[28:29]
                                        ; implicit-def: $vgpr8
.LBB4_5665:                             ;   in Loop: Header=BB4_5289 Depth=3
	s_andn2_saveexec_b64 s[28:29], s[36:37]
; %bb.5666:                             ;   in Loop: Header=BB4_5289 Depth=3
	v_or_b32_sdwa v23, v8, s71 dst_sel:DWORD dst_unused:UNUSED_PAD src0_sel:BYTE_3 src1_sel:DWORD
; %bb.5667:                             ;   in Loop: Header=BB4_5289 Depth=3
	s_or_b64 exec, exec, s[28:29]
	v_lshrrev_b32_e32 v2, 16, v15
	v_cmp_ne_u16_sdwa s[28:29], v2, v3 src0_sel:BYTE_0 src1_sel:DWORD
	v_mov_b32_e32 v8, 0
	s_and_saveexec_b64 s[40:41], s[28:29]
	s_cbranch_execz .LBB4_5673
; %bb.5668:                             ;   in Loop: Header=BB4_5289 Depth=3
	v_cmp_ne_u16_sdwa s[28:29], v2, s70 src0_sel:BYTE_0 src1_sel:DWORD
	v_bfrev_b32_e32 v8, 1
	s_and_saveexec_b64 s[36:37], s[28:29]
	s_cbranch_execz .LBB4_5672
; %bb.5669:                             ;   in Loop: Header=BB4_5289 Depth=3
	v_bfe_u32 v1, v15, 16, 7
	v_cmp_ne_u32_e64 s[28:29], s71, v1
	v_mov_b32_e32 v8, 0x7f800001
	s_and_saveexec_b64 s[38:39], s[28:29]
	s_cbranch_execz .LBB4_5671
; %bb.5670:                             ;   in Loop: Header=BB4_5289 Depth=3
	v_and_b32_e32 v12, 7, v2
	v_lshrrev_b32_e32 v13, 3, v1
	v_cmp_gt_u32_e64 s[28:29], 8, v1
	v_ffbh_u32_e32 v1, v12
	v_min_u32_e32 v1, 32, v1
	v_subrev_u32_e32 v8, 28, v1
	v_lshlrev_b64 v[8:9], v8, v[2:3]
	v_sub_u32_e32 v1, 29, v1
	v_and_b32_e32 v8, 7, v8
	v_cndmask_b32_e64 v1, v13, v1, s[28:29]
	v_cndmask_b32_e64 v8, v12, v8, s[28:29]
	v_lshlrev_b32_e32 v2, 24, v2
	v_lshlrev_b32_e32 v8, 20, v8
	v_and_b32_e32 v2, 0x80000000, v2
	v_lshl_add_u32 v1, v1, 23, v0
	v_or3_b32 v8, v2, v1, v8
.LBB4_5671:                             ;   in Loop: Header=BB4_5289 Depth=3
	s_or_b64 exec, exec, s[38:39]
.LBB4_5672:                             ;   in Loop: Header=BB4_5289 Depth=3
	s_or_b64 exec, exec, s[36:37]
.LBB4_5673:                             ;   in Loop: Header=BB4_5289 Depth=3
	s_or_b64 exec, exec, s[40:41]
	v_lshrrev_b32_e32 v2, 16, v11
	v_cmp_gt_i16_sdwa s[40:41], v2, s71 src0_sel:BYTE_0 src1_sel:DWORD
	s_mov_b64 s[28:29], 0
	s_and_saveexec_b64 s[44:45], s[40:41]
	s_xor_b64 s[40:41], exec, s[44:45]
	s_cbranch_execz .LBB4_5735
; %bb.5674:                             ;   in Loop: Header=BB4_5289 Depth=3
	v_cmp_eq_u16_sdwa s[44:45], v2, s70 src0_sel:BYTE_0 src1_sel:DWORD
	s_mov_b64 s[28:29], -1
	s_and_saveexec_b64 s[36:37], s[44:45]
; %bb.5675:                             ;   in Loop: Header=BB4_5289 Depth=3
	s_xor_b64 s[28:29], exec, -1
; %bb.5676:                             ;   in Loop: Header=BB4_5289 Depth=3
	s_or_b64 exec, exec, s[36:37]
	s_and_b64 s[28:29], s[28:29], exec
	s_or_saveexec_b64 s[40:41], s[40:41]
	v_bfrev_b32_e32 v1, 1
	s_xor_b64 exec, exec, s[40:41]
	s_cbranch_execnz .LBB4_5736
.LBB4_5677:                             ;   in Loop: Header=BB4_5289 Depth=3
	s_or_b64 exec, exec, s[40:41]
	s_and_saveexec_b64 s[40:41], s[28:29]
	s_cbranch_execz .LBB4_5679
.LBB4_5678:                             ;   in Loop: Header=BB4_5289 Depth=3
	v_and_b32_e32 v1, 7, v2
	v_ffbh_u32_e32 v12, v1
	v_min_u32_e32 v54, 32, v12
	v_subrev_u32_e32 v12, 28, v54
	v_lshlrev_b64 v[12:13], v12, v[2:3]
	v_and_b32_e32 v9, 0x7f, v2
	v_bfe_u32 v50, v2, 3, 4
	v_sub_u32_e32 v13, 29, v54
	v_and_b32_e32 v12, 7, v12
	v_cmp_gt_u32_e64 s[28:29], 8, v9
	v_cndmask_b32_e64 v13, v50, v13, s[28:29]
	v_cndmask_b32_e64 v1, v1, v12, s[28:29]
	v_lshlrev_b32_e32 v2, 24, v2
	v_lshlrev_b32_e32 v1, 20, v1
	v_and_b32_e32 v2, 0x80000000, v2
	v_lshl_add_u32 v12, v13, 23, v0
	v_or3_b32 v1, v2, v12, v1
	v_cmp_ne_u32_e64 s[28:29], s71, v9
	v_mov_b32_e32 v2, 0x7f800001
	v_cndmask_b32_e64 v1, v2, v1, s[28:29]
.LBB4_5679:                             ;   in Loop: Header=BB4_5289 Depth=3
	s_or_b64 exec, exec, s[40:41]
	v_mul_f32_e32 v8, v8, v1
	v_and_b32_e32 v2, 0x7f800000, v8
	v_cmp_ne_u64_e64 s[28:29], s[62:63], v[2:3]
                                        ; implicit-def: $vgpr12
	s_and_saveexec_b64 s[40:41], s[28:29]
	s_xor_b64 s[36:37], exec, s[40:41]
	s_cbranch_execz .LBB4_5693
; %bb.5680:                             ;   in Loop: Header=BB4_5289 Depth=3
	v_and_b32_e32 v2, 0x7fffffff, v8
	v_cmp_gt_u64_e64 s[28:29], s[72:73], v[2:3]
	v_and_b32_sdwa v50, v8, s70 dst_sel:DWORD dst_unused:UNUSED_PAD src0_sel:BYTE_3 src1_sel:DWORD
                                        ; implicit-def: $vgpr12
	s_and_saveexec_b64 s[40:41], s[28:29]
	s_xor_b64 s[38:39], exec, s[40:41]
	s_cbranch_execz .LBB4_5690
; %bb.5681:                             ;   in Loop: Header=BB4_5289 Depth=3
	v_mov_b32_e32 v12, 0
	v_cmp_ne_u32_e64 s[28:29], 0, v8
	s_and_saveexec_b64 s[48:49], s[28:29]
	s_cbranch_execz .LBB4_5689
; %bb.5682:                             ;   in Loop: Header=BB4_5289 Depth=3
	v_bfe_u32 v54, v8, 23, 8
	v_cmp_gt_u32_e64 s[40:41], s80, v54
	v_sub_u32_e32 v2, 0x79, v54
	v_and_b32_e32 v1, 0x7fffff, v8
	v_cmp_eq_u32_e64 s[28:29], 0, v54
	v_cndmask_b32_e64 v2, 0, v2, s[40:41]
	v_mov_b32_e32 v9, 0x78
	v_or_b32_e32 v8, 0x800000, v1
	v_cndmask_b32_e64 v55, v2, v9, s[28:29]
	v_cndmask_b32_e64 v2, v8, v1, s[28:29]
	v_add_u32_e32 v1, 20, v55
	v_lshlrev_b64 v[8:9], v1, -1
	v_add_u32_e32 v1, 19, v55
	v_lshlrev_b64 v[12:13], v1, 1
	v_bfi_b32 v9, v9, 0, 0
	v_bfi_b32 v8, v8, 0, v2
	v_cmp_eq_u64_e64 s[40:41], v[8:9], v[12:13]
	v_lshrrev_b64 v[8:9], v55, v[2:3]
	v_mov_b32_e32 v13, v9
	v_mov_b32_e32 v12, v8
	s_and_saveexec_b64 s[50:51], s[40:41]
; %bb.5683:                             ;   in Loop: Header=BB4_5289 Depth=3
	v_bfe_u32 v1, v8, 20, 1
	v_add_co_u32_e64 v1, s[40:41], v8, v1
	v_add_co_u32_e64 v12, s[40:41], -1, v1
; %bb.5684:                             ;   in Loop: Header=BB4_5289 Depth=3
	s_or_b64 exec, exec, s[50:51]
	v_add_u32_e32 v1, 0xffffff81, v54
	v_mov_b32_e32 v2, 0xffffff82
	v_cndmask_b32_e64 v1, v1, v2, s[28:29]
	v_lshrrev_b32_e32 v2, 23, v8
	v_add3_u32 v13, v55, v1, v2
	v_add_u32_e32 v1, 6, v13
	v_and_b32_e32 v2, 0xfffff, v12
	v_add_u32_e32 v2, v2, v8
	v_cmp_ne_u32_e64 s[28:29], 0, v1
                                        ; implicit-def: $vgpr8_vgpr9
                                        ; implicit-def: $vgpr12
	s_and_saveexec_b64 s[40:41], s[28:29]
	s_xor_b64 s[40:41], exec, s[40:41]
; %bb.5685:                             ;   in Loop: Header=BB4_5289 Depth=3
	v_cmp_lt_u64_e64 s[28:29], s[88:89], v[2:3]
	v_add_u32_e32 v8, 7, v13
	v_cndmask_b32_e64 v12, v1, v8, s[28:29]
	v_cndmask_b32_e64 v1, 0, 1, s[28:29]
	v_lshrrev_b64 v[8:9], v1, v[2:3]
; %bb.5686:                             ;   in Loop: Header=BB4_5289 Depth=3
	s_andn2_saveexec_b64 s[28:29], s[40:41]
; %bb.5687:                             ;   in Loop: Header=BB4_5289 Depth=3
	v_mov_b32_e32 v9, v3
	v_bfe_u32 v12, v2, 23, 1
	v_mov_b32_e32 v8, v2
; %bb.5688:                             ;   in Loop: Header=BB4_5289 Depth=3
	s_or_b64 exec, exec, s[28:29]
	v_lshrrev_b64 v[1:2], 20, v[8:9]
	v_cmp_gt_i32_e64 s[28:29], 16, v12
	v_cndmask_b32_e64 v2, 0, v2, s[28:29]
	v_cndmask_b32_e64 v1, 7, v1, s[28:29]
	v_cmp_eq_u64_e64 s[40:41], 0, v[1:2]
	v_min_i32_e32 v2, 15, v12
	v_lshlrev_b32_e32 v2, 3, v2
	v_cmp_eq_u32_e64 s[28:29], 0, v12
	v_and_b32_e32 v2, 0xf8, v2
	v_and_or_b32 v1, v1, 7, v2
	s_and_b64 s[28:29], s[28:29], s[40:41]
	v_cndmask_b32_e64 v1, v1, 0, s[28:29]
	v_or_b32_e32 v12, v1, v50
.LBB4_5689:                             ;   in Loop: Header=BB4_5289 Depth=3
	s_or_b64 exec, exec, s[48:49]
                                        ; implicit-def: $vgpr50
.LBB4_5690:                             ;   in Loop: Header=BB4_5289 Depth=3
	s_andn2_saveexec_b64 s[28:29], s[38:39]
; %bb.5691:                             ;   in Loop: Header=BB4_5289 Depth=3
	v_or_b32_e32 v12, 0x7e, v50
; %bb.5692:                             ;   in Loop: Header=BB4_5289 Depth=3
	s_or_b64 exec, exec, s[28:29]
                                        ; implicit-def: $vgpr8
.LBB4_5693:                             ;   in Loop: Header=BB4_5289 Depth=3
	s_andn2_saveexec_b64 s[28:29], s[36:37]
; %bb.5694:                             ;   in Loop: Header=BB4_5289 Depth=3
	v_or_b32_sdwa v12, v8, s71 dst_sel:DWORD dst_unused:UNUSED_PAD src0_sel:BYTE_3 src1_sel:DWORD
; %bb.5695:                             ;   in Loop: Header=BB4_5289 Depth=3
	s_or_b64 exec, exec, s[28:29]
	v_cmp_lt_u64_e64 s[28:29], s[56:57], v[14:15]
	v_mov_b32_e32 v8, 0
	s_and_saveexec_b64 s[40:41], s[28:29]
	s_cbranch_execz .LBB4_5701
; %bb.5696:                             ;   in Loop: Header=BB4_5289 Depth=3
	v_lshrrev_b32_e32 v2, 24, v15
	v_cmp_ne_u32_e64 s[28:29], s70, v2
	v_bfrev_b32_e32 v8, 1
	s_and_saveexec_b64 s[36:37], s[28:29]
	s_cbranch_execz .LBB4_5700
; %bb.5697:                             ;   in Loop: Header=BB4_5289 Depth=3
	v_bfe_u32 v1, v15, 24, 7
	v_cmp_ne_u32_e64 s[28:29], s71, v1
	v_mov_b32_e32 v8, 0x7f800001
	s_and_saveexec_b64 s[38:39], s[28:29]
	s_cbranch_execz .LBB4_5699
; %bb.5698:                             ;   in Loop: Header=BB4_5289 Depth=3
	v_and_b32_e32 v13, 7, v2
	v_lshrrev_b32_e32 v14, 3, v1
	v_cmp_gt_u32_e64 s[28:29], 8, v1
	v_ffbh_u32_e32 v1, v13
	v_min_u32_e32 v1, 32, v1
	v_subrev_u32_e32 v8, 28, v1
	v_lshlrev_b64 v[8:9], v8, v[2:3]
	v_sub_u32_e32 v1, 29, v1
	v_and_b32_e32 v8, 7, v8
	v_cndmask_b32_e64 v1, v14, v1, s[28:29]
	v_cndmask_b32_e64 v8, v13, v8, s[28:29]
	v_lshlrev_b32_e32 v2, 24, v2
	v_lshlrev_b32_e32 v8, 20, v8
	v_and_b32_e32 v2, 0x80000000, v2
	v_lshl_add_u32 v1, v1, 23, v0
	v_or3_b32 v8, v2, v1, v8
.LBB4_5699:                             ;   in Loop: Header=BB4_5289 Depth=3
	s_or_b64 exec, exec, s[38:39]
.LBB4_5700:                             ;   in Loop: Header=BB4_5289 Depth=3
	s_or_b64 exec, exec, s[36:37]
.LBB4_5701:                             ;   in Loop: Header=BB4_5289 Depth=3
	s_or_b64 exec, exec, s[40:41]
	v_bfe_u32 v2, v11, 24, 3
	v_ffbh_u32_e32 v13, v2
	v_min_u32_e32 v50, 32, v13
	v_lshrrev_b32_e32 v1, 24, v11
	v_subrev_u32_e32 v13, 28, v50
	v_lshlrev_b64 v[13:14], v13, v[1:2]
	v_bfe_u32 v9, v11, 24, 7
	v_bfe_u32 v15, v1, 3, 4
	v_sub_u32_e32 v14, 29, v50
	v_and_b32_e32 v13, 7, v13
	v_cmp_gt_u32_e64 s[28:29], 8, v9
	v_cndmask_b32_e64 v14, v15, v14, s[28:29]
	v_cndmask_b32_e64 v2, v2, v13, s[28:29]
	v_lshlrev_b32_e32 v2, 20, v2
	v_and_b32_e32 v13, 0x80000000, v11
	v_lshl_add_u32 v14, v14, 23, v0
	v_or3_b32 v2, v13, v14, v2
	v_cmp_ne_u32_e64 s[28:29], s71, v9
	v_mov_b32_e32 v9, 0x7f800001
	v_cndmask_b32_e64 v2, v9, v2, s[28:29]
	v_cmp_ne_u32_e64 s[28:29], s70, v1
	v_bfrev_b32_e32 v1, 1
	v_cndmask_b32_e64 v1, v1, v2, s[28:29]
	v_cmp_lt_u64_e64 s[28:29], s[56:57], v[10:11]
	v_cndmask_b32_e64 v1, 0, v1, s[28:29]
	v_mul_f32_e32 v8, v1, v8
	v_and_b32_e32 v2, 0x7f800000, v8
	v_cmp_ne_u64_e64 s[28:29], s[62:63], v[2:3]
                                        ; implicit-def: $vgpr2
	s_and_saveexec_b64 s[40:41], s[28:29]
	s_xor_b64 s[36:37], exec, s[40:41]
	s_cbranch_execz .LBB4_5715
; %bb.5702:                             ;   in Loop: Header=BB4_5289 Depth=3
	v_and_b32_e32 v2, 0x7fffffff, v8
	v_cmp_gt_u64_e64 s[28:29], s[72:73], v[2:3]
	v_and_b32_sdwa v11, v8, s70 dst_sel:DWORD dst_unused:UNUSED_PAD src0_sel:BYTE_3 src1_sel:DWORD
                                        ; implicit-def: $vgpr2
	s_and_saveexec_b64 s[40:41], s[28:29]
	s_xor_b64 s[38:39], exec, s[40:41]
	s_cbranch_execz .LBB4_5712
; %bb.5703:                             ;   in Loop: Header=BB4_5289 Depth=3
	v_mov_b32_e32 v2, 0
	v_cmp_ne_u32_e64 s[28:29], 0, v8
	s_and_saveexec_b64 s[48:49], s[28:29]
	s_cbranch_execz .LBB4_5711
; %bb.5704:                             ;   in Loop: Header=BB4_5289 Depth=3
	v_bfe_u32 v13, v8, 23, 8
	v_cmp_gt_u32_e64 s[40:41], s80, v13
	v_sub_u32_e32 v2, 0x79, v13
	v_and_b32_e32 v1, 0x7fffff, v8
	v_cmp_eq_u32_e64 s[28:29], 0, v13
	v_cndmask_b32_e64 v2, 0, v2, s[40:41]
	v_mov_b32_e32 v9, 0x78
	v_or_b32_e32 v8, 0x800000, v1
	v_cndmask_b32_e64 v14, v2, v9, s[28:29]
	v_cndmask_b32_e64 v2, v8, v1, s[28:29]
	v_add_u32_e32 v1, 20, v14
	v_lshlrev_b64 v[8:9], v1, -1
	v_add_u32_e32 v1, 19, v14
	v_lshlrev_b64 v[54:55], v1, 1
	v_bfi_b32 v9, v9, 0, 0
	v_bfi_b32 v8, v8, 0, v2
	v_cmp_eq_u64_e64 s[40:41], v[8:9], v[54:55]
	v_lshrrev_b64 v[8:9], v14, v[2:3]
	v_mov_b32_e32 v10, v9
	v_mov_b32_e32 v9, v8
	s_and_saveexec_b64 s[50:51], s[40:41]
; %bb.5705:                             ;   in Loop: Header=BB4_5289 Depth=3
	v_bfe_u32 v1, v8, 20, 1
	v_add_co_u32_e64 v1, s[40:41], v8, v1
	v_add_co_u32_e64 v9, s[40:41], -1, v1
; %bb.5706:                             ;   in Loop: Header=BB4_5289 Depth=3
	s_or_b64 exec, exec, s[50:51]
	v_add_u32_e32 v1, 0xffffff81, v13
	v_mov_b32_e32 v2, 0xffffff82
	v_cndmask_b32_e64 v1, v1, v2, s[28:29]
	v_lshrrev_b32_e32 v2, 23, v8
	v_add3_u32 v13, v14, v1, v2
	v_add_u32_e32 v1, 6, v13
	v_and_b32_e32 v2, 0xfffff, v9
	v_add_u32_e32 v2, v2, v8
	v_cmp_ne_u32_e64 s[28:29], 0, v1
                                        ; implicit-def: $vgpr8_vgpr9
                                        ; implicit-def: $vgpr10
	s_and_saveexec_b64 s[40:41], s[28:29]
	s_xor_b64 s[40:41], exec, s[40:41]
; %bb.5707:                             ;   in Loop: Header=BB4_5289 Depth=3
	v_cmp_lt_u64_e64 s[28:29], s[88:89], v[2:3]
	v_add_u32_e32 v8, 7, v13
	v_cndmask_b32_e64 v10, v1, v8, s[28:29]
	v_cndmask_b32_e64 v1, 0, 1, s[28:29]
	v_lshrrev_b64 v[8:9], v1, v[2:3]
; %bb.5708:                             ;   in Loop: Header=BB4_5289 Depth=3
	s_andn2_saveexec_b64 s[28:29], s[40:41]
; %bb.5709:                             ;   in Loop: Header=BB4_5289 Depth=3
	v_mov_b32_e32 v9, v3
	v_bfe_u32 v10, v2, 23, 1
	v_mov_b32_e32 v8, v2
; %bb.5710:                             ;   in Loop: Header=BB4_5289 Depth=3
	s_or_b64 exec, exec, s[28:29]
	v_lshrrev_b64 v[1:2], 20, v[8:9]
	v_cmp_gt_i32_e64 s[28:29], 16, v10
	v_cndmask_b32_e64 v2, 0, v2, s[28:29]
	v_cndmask_b32_e64 v1, 7, v1, s[28:29]
	v_cmp_eq_u64_e64 s[40:41], 0, v[1:2]
	v_min_i32_e32 v2, 15, v10
	v_lshlrev_b32_e32 v2, 3, v2
	v_cmp_eq_u32_e64 s[28:29], 0, v10
	v_and_b32_e32 v2, 0xf8, v2
	v_and_or_b32 v1, v1, 7, v2
	s_and_b64 s[28:29], s[28:29], s[40:41]
	v_cndmask_b32_e64 v1, v1, 0, s[28:29]
	v_or_b32_e32 v2, v1, v11
.LBB4_5711:                             ;   in Loop: Header=BB4_5289 Depth=3
	s_or_b64 exec, exec, s[48:49]
                                        ; implicit-def: $vgpr11
.LBB4_5712:                             ;   in Loop: Header=BB4_5289 Depth=3
	s_andn2_saveexec_b64 s[28:29], s[38:39]
; %bb.5713:                             ;   in Loop: Header=BB4_5289 Depth=3
	v_or_b32_e32 v2, 0x7e, v11
; %bb.5714:                             ;   in Loop: Header=BB4_5289 Depth=3
	s_or_b64 exec, exec, s[28:29]
                                        ; implicit-def: $vgpr8
.LBB4_5715:                             ;   in Loop: Header=BB4_5289 Depth=3
	s_andn2_saveexec_b64 s[28:29], s[36:37]
	s_cbranch_execz .LBB4_5288
; %bb.5716:                             ;   in Loop: Header=BB4_5289 Depth=3
	v_or_b32_sdwa v2, v8, s71 dst_sel:DWORD dst_unused:UNUSED_PAD src0_sel:BYTE_3 src1_sel:DWORD
	s_branch .LBB4_5288
.LBB4_5717:                             ;   in Loop: Header=BB4_5289 Depth=3
	s_or_saveexec_b64 s[40:41], s[40:41]
	v_bfrev_b32_e32 v1, 1
	s_xor_b64 exec, exec, s[40:41]
	s_cbranch_execz .LBB4_5299
.LBB4_5718:                             ;   in Loop: Header=BB4_5289 Depth=3
	v_cmp_ne_u16_sdwa s[44:45], v8, v3 src0_sel:BYTE_0 src1_sel:DWORD
	s_andn2_b64 s[28:29], s[28:29], exec
	s_and_b64 s[44:45], s[44:45], exec
	v_mov_b32_e32 v1, 0
	s_or_b64 s[28:29], s[28:29], s[44:45]
	s_or_b64 exec, exec, s[40:41]
	s_and_saveexec_b64 s[40:41], s[28:29]
	s_cbranch_execnz .LBB4_5300
	s_branch .LBB4_5301
.LBB4_5719:                             ;   in Loop: Header=BB4_5289 Depth=3
	s_or_saveexec_b64 s[36:37], s[36:37]
	v_bfrev_b32_e32 v1, 1
	s_xor_b64 exec, exec, s[36:37]
	s_cbranch_execz .LBB4_5327
.LBB4_5720:                             ;   in Loop: Header=BB4_5289 Depth=3
	v_cmp_ne_u16_e64 s[28:29], 0, v2
	s_andn2_b64 s[40:41], s[40:41], exec
	s_and_b64 s[28:29], s[28:29], exec
	v_mov_b32_e32 v1, 0
	s_or_b64 s[40:41], s[40:41], s[28:29]
	s_or_b64 exec, exec, s[36:37]
	s_and_saveexec_b64 s[36:37], s[40:41]
	s_cbranch_execnz .LBB4_5328
	s_branch .LBB4_5329
.LBB4_5721:                             ;   in Loop: Header=BB4_5289 Depth=3
	s_or_saveexec_b64 s[40:41], s[40:41]
	v_bfrev_b32_e32 v1, 1
	s_xor_b64 exec, exec, s[40:41]
	s_cbranch_execz .LBB4_5355
.LBB4_5722:                             ;   in Loop: Header=BB4_5289 Depth=3
	v_cmp_ne_u16_sdwa s[44:45], v2, v3 src0_sel:BYTE_0 src1_sel:DWORD
	s_andn2_b64 s[28:29], s[28:29], exec
	s_and_b64 s[44:45], s[44:45], exec
	v_mov_b32_e32 v1, 0
	s_or_b64 s[28:29], s[28:29], s[44:45]
	s_or_b64 exec, exec, s[40:41]
	s_and_saveexec_b64 s[40:41], s[28:29]
	s_cbranch_execnz .LBB4_5356
	s_branch .LBB4_5357
.LBB4_5723:                             ;   in Loop: Header=BB4_5289 Depth=3
	s_or_saveexec_b64 s[36:37], s[36:37]
	v_bfrev_b32_e32 v1, 1
	s_xor_b64 exec, exec, s[36:37]
	s_cbranch_execz .LBB4_5435
.LBB4_5724:                             ;   in Loop: Header=BB4_5289 Depth=3
	v_cmp_ne_u16_e64 s[28:29], 0, v2
	s_andn2_b64 s[40:41], s[40:41], exec
	s_and_b64 s[28:29], s[28:29], exec
	v_mov_b32_e32 v1, 0
	s_or_b64 s[40:41], s[40:41], s[28:29]
	s_or_b64 exec, exec, s[36:37]
	s_and_saveexec_b64 s[36:37], s[40:41]
	s_cbranch_execnz .LBB4_5436
	s_branch .LBB4_5437
.LBB4_5725:                             ;   in Loop: Header=BB4_5289 Depth=3
	s_or_saveexec_b64 s[40:41], s[40:41]
	v_bfrev_b32_e32 v1, 1
	s_xor_b64 exec, exec, s[40:41]
	s_cbranch_execz .LBB4_5463
.LBB4_5726:                             ;   in Loop: Header=BB4_5289 Depth=3
	v_cmp_ne_u16_sdwa s[44:45], v2, v3 src0_sel:BYTE_0 src1_sel:DWORD
	s_andn2_b64 s[28:29], s[28:29], exec
	s_and_b64 s[44:45], s[44:45], exec
	v_mov_b32_e32 v1, 0
	s_or_b64 s[28:29], s[28:29], s[44:45]
	s_or_b64 exec, exec, s[40:41]
	s_and_saveexec_b64 s[40:41], s[28:29]
	s_cbranch_execnz .LBB4_5464
	s_branch .LBB4_5465
.LBB4_5727:                             ;   in Loop: Header=BB4_5289 Depth=3
	s_or_saveexec_b64 s[40:41], s[40:41]
	v_bfrev_b32_e32 v1, 1
	s_xor_b64 exec, exec, s[40:41]
	s_cbranch_execz .LBB4_5513
.LBB4_5728:                             ;   in Loop: Header=BB4_5289 Depth=3
	v_cmp_ne_u16_sdwa s[44:45], v10, v3 src0_sel:BYTE_0 src1_sel:DWORD
	s_andn2_b64 s[28:29], s[28:29], exec
	s_and_b64 s[44:45], s[44:45], exec
	v_mov_b32_e32 v1, 0
	s_or_b64 s[28:29], s[28:29], s[44:45]
	s_or_b64 exec, exec, s[40:41]
	s_and_saveexec_b64 s[40:41], s[28:29]
	s_cbranch_execnz .LBB4_5514
	s_branch .LBB4_5515
.LBB4_5729:                             ;   in Loop: Header=BB4_5289 Depth=3
	s_or_saveexec_b64 s[36:37], s[36:37]
	v_bfrev_b32_e32 v1, 1
	s_xor_b64 exec, exec, s[36:37]
	s_cbranch_execz .LBB4_5541
.LBB4_5730:                             ;   in Loop: Header=BB4_5289 Depth=3
	v_cmp_ne_u16_e64 s[28:29], 0, v2
	s_andn2_b64 s[40:41], s[40:41], exec
	s_and_b64 s[28:29], s[28:29], exec
	v_mov_b32_e32 v1, 0
	s_or_b64 s[40:41], s[40:41], s[28:29]
	s_or_b64 exec, exec, s[36:37]
	s_and_saveexec_b64 s[36:37], s[40:41]
	s_cbranch_execnz .LBB4_5542
	s_branch .LBB4_5543
.LBB4_5731:                             ;   in Loop: Header=BB4_5289 Depth=3
	s_or_saveexec_b64 s[40:41], s[40:41]
	v_bfrev_b32_e32 v1, 1
	s_xor_b64 exec, exec, s[40:41]
	s_cbranch_execz .LBB4_5569
.LBB4_5732:                             ;   in Loop: Header=BB4_5289 Depth=3
	v_cmp_ne_u16_sdwa s[44:45], v2, v3 src0_sel:BYTE_0 src1_sel:DWORD
	s_andn2_b64 s[28:29], s[28:29], exec
	s_and_b64 s[44:45], s[44:45], exec
	v_mov_b32_e32 v1, 0
	s_or_b64 s[28:29], s[28:29], s[44:45]
	s_or_b64 exec, exec, s[40:41]
	s_and_saveexec_b64 s[40:41], s[28:29]
	s_cbranch_execnz .LBB4_5570
	s_branch .LBB4_5571
.LBB4_5733:                             ;   in Loop: Header=BB4_5289 Depth=3
	s_or_saveexec_b64 s[36:37], s[36:37]
	v_bfrev_b32_e32 v1, 1
	s_xor_b64 exec, exec, s[36:37]
	s_cbranch_execz .LBB4_5649
.LBB4_5734:                             ;   in Loop: Header=BB4_5289 Depth=3
	v_cmp_ne_u16_e64 s[28:29], 0, v2
	s_andn2_b64 s[40:41], s[40:41], exec
	s_and_b64 s[28:29], s[28:29], exec
	v_mov_b32_e32 v1, 0
	s_or_b64 s[40:41], s[40:41], s[28:29]
	s_or_b64 exec, exec, s[36:37]
	s_and_saveexec_b64 s[36:37], s[40:41]
	s_cbranch_execnz .LBB4_5650
	s_branch .LBB4_5651
.LBB4_5735:                             ;   in Loop: Header=BB4_5289 Depth=3
	s_or_saveexec_b64 s[40:41], s[40:41]
	v_bfrev_b32_e32 v1, 1
	s_xor_b64 exec, exec, s[40:41]
	s_cbranch_execz .LBB4_5677
.LBB4_5736:                             ;   in Loop: Header=BB4_5289 Depth=3
	v_cmp_ne_u16_sdwa s[44:45], v2, v3 src0_sel:BYTE_0 src1_sel:DWORD
	s_andn2_b64 s[28:29], s[28:29], exec
	s_and_b64 s[44:45], s[44:45], exec
	v_mov_b32_e32 v1, 0
	s_or_b64 s[28:29], s[28:29], s[44:45]
	s_or_b64 exec, exec, s[40:41]
	s_and_saveexec_b64 s[40:41], s[28:29]
	s_cbranch_execnz .LBB4_5678
	s_branch .LBB4_5679
.LBB4_5737:                             ;   in Loop: Header=BB4_2384 Depth=2
	s_or_b64 exec, exec, s[34:35]
.LBB4_5738:                             ;   in Loop: Header=BB4_2384 Depth=2
	s_or_b64 exec, exec, s[30:31]
	v_and_b32_e32 v1, 15, v40
	v_cndmask_b32_e32 v18, v34, v1, vcc
	v_mov_b32_e32 v61, 0
	v_cmp_ne_u32_e64 s[28:29], 0, v18
	s_mov_b64 s[30:31], 0
                                        ; implicit-def: $vgpr7
                                        ; implicit-def: $vgpr2
	s_and_saveexec_b64 s[40:41], s[28:29]
	s_cbranch_execz .LBB4_5740
; %bb.5739:                             ;   in Loop: Header=BB4_2384 Depth=2
	v_sub_u32_e32 v1, v34, v1
	v_cndmask_b32_e32 v1, 0, v1, vcc
	v_add3_u32 v61, v30, v28, v1
	buffer_load_dword v1, off, s[0:3], s33 offset:64 ; 4-byte Folded Reload
	v_cmp_lt_i32_e32 vcc, 0, v31
	s_mov_b64 s[30:31], exec
	s_waitcnt vmcnt(0)
	v_cndmask_b32_e32 v1, 0, v1, vcc
	v_sub_u32_e32 v1, v1, v31
	v_lshl_add_u32 v7, v1, 6, v29
	v_ashrrev_i32_e32 v1, 31, v7
	v_lshrrev_b32_e32 v1, 26, v1
	v_add_u32_e32 v1, v7, v1
	v_ashrrev_i32_e32 v2, 6, v1
.LBB4_5740:                             ;   in Loop: Header=BB4_2384 Depth=2
	s_or_b64 exec, exec, s[40:41]
	buffer_load_dword v22, off, s[0:3], s33 offset:208 ; 4-byte Folded Reload
	buffer_load_dword v23, off, s[0:3], s33 offset:248 ; 4-byte Folded Reload
	;; [unrolled: 1-line block ×3, first 2 shown]
	s_and_b64 s[28:29], s[30:31], exec
.LBB4_5741:                             ;   in Loop: Header=BB4_2384 Depth=2
	s_or_b64 exec, exec, s[42:43]
	buffer_load_dword v29, off, s[0:3], s33 offset:64 ; 4-byte Folded Reload
	s_and_saveexec_b64 s[40:41], s[28:29]
	s_cbranch_execz .LBB4_6294
.LBB4_5742:                             ;   in Loop: Header=BB4_2384 Depth=2
	v_ashrrev_i32_e32 v1, 31, v18
	v_lshrrev_b32_e32 v1, 22, v1
	v_add_u32_e32 v1, v18, v1
	v_ashrrev_i32_e32 v41, 10, v1
	s_waitcnt vmcnt(0)
	v_sub_u32_e32 v17, v41, v2
	v_cmp_lt_i32_e32 vcc, 0, v17
	s_and_saveexec_b64 s[42:43], vcc
	s_cbranch_execz .LBB4_6258
; %bb.5743:                             ;   in Loop: Header=BB4_2384 Depth=2
	v_ashrrev_i32_e32 v1, 31, v7
	v_lshrrev_b32_e32 v1, 26, v1
	v_add_u32_e32 v1, v7, v1
	v_and_b32_e32 v1, 0xffffffc0, v1
	v_sub_u32_e32 v1, v7, v1
	v_lshlrev_b32_e32 v2, 10, v2
	v_add3_u32 v5, v61, v1, v2
	s_trap 2
	ds_read_b64 v[1:2], v0
	buffer_load_dword v8, off, s[0:3], s33 offset:200 ; 4-byte Folded Reload
	buffer_load_dword v9, off, s[0:3], s33 offset:204 ; 4-byte Folded Reload
	v_ashrrev_i32_e32 v6, 31, v5
	s_mov_b64 s[30:31], 0
	s_waitcnt vmcnt(0)
	v_add_co_u32_e32 v8, vcc, v5, v8
	v_addc_co_u32_e32 v9, vcc, v6, v9, vcc
	s_waitcnt lgkmcnt(0)
	v_add_co_u32_e32 v10, vcc, v1, v5
	v_addc_co_u32_e32 v11, vcc, v2, v6, vcc
	buffer_load_dword v1, off, s[0:3], s33 offset:188 ; 4-byte Folded Reload
	buffer_load_dword v2, off, s[0:3], s33 offset:192 ; 4-byte Folded Reload
	s_waitcnt vmcnt(1)
	v_add_co_u32_e32 v1, vcc, 0x3c0, v1
	s_waitcnt vmcnt(0)
	v_addc_co_u32_e32 v2, vcc, 0, v2, vcc
	v_add_co_u32_e32 v12, vcc, v1, v5
	v_addc_co_u32_e32 v13, vcc, v2, v6, vcc
	s_branch .LBB4_5745
.LBB4_5744:                             ;   in Loop: Header=BB4_5745 Depth=3
	s_or_b64 exec, exec, s[28:29]
	v_add_co_u32_e32 v5, vcc, 0xfffffc40, v12
	v_addc_co_u32_e32 v6, vcc, -1, v13, vcc
	flat_store_byte v[5:6], v20 glc slc
	v_add_co_u32_e32 v5, vcc, 0xfffffc80, v12
	v_addc_co_u32_e32 v6, vcc, -1, v13, vcc
	flat_store_byte v[5:6], v23 glc slc
	;; [unrolled: 3-line block ×15, first 2 shown]
	flat_store_byte v[12:13], v2 glc slc
	buffer_load_dword v1, off, s[0:3], s33 offset:68 ; 4-byte Folded Reload
	buffer_load_dword v29, off, s[0:3], s33 offset:64 ; 4-byte Folded Reload
	s_waitcnt vmcnt(0)
	v_add_co_u32_e32 v8, vcc, v8, v1
	v_addc_co_u32_e32 v9, vcc, 0, v9, vcc
	v_add_co_u32_e32 v10, vcc, v10, v1
	v_addc_co_u32_e32 v11, vcc, 0, v11, vcc
	v_sub_u32_e32 v17, v17, v29
	v_cmp_gt_i32_e32 vcc, 1, v17
	s_or_b64 s[30:31], vcc, s[30:31]
	v_add_co_u32_e32 v12, vcc, v12, v1
	v_addc_co_u32_e32 v13, vcc, 0, v13, vcc
	s_andn2_b64 exec, exec, s[30:31]
	s_cbranch_execz .LBB4_6257
.LBB4_5745:                             ;   Parent Loop BB4_47 Depth=1
                                        ;     Parent Loop BB4_2384 Depth=2
                                        ; =>    This Inner Loop Header: Depth=3
	flat_load_ubyte v20, v[8:9] glc slc
	flat_load_ubyte v47, v[8:9] offset:64 glc slc
	flat_load_ubyte v43, v[8:9] offset:128 glc slc
	flat_load_ubyte v50, v[8:9] offset:192 glc slc
	flat_load_ubyte v51, v[8:9] offset:256 glc slc
	flat_load_ubyte v59, v[8:9] offset:320 glc slc
	flat_load_ubyte v58, v[8:9] offset:384 glc slc
	flat_load_ubyte v57, v[8:9] offset:448 glc slc
	flat_load_ubyte v56, v[8:9] offset:512 glc slc
	flat_load_ubyte v55, v[8:9] offset:576 glc slc
	flat_load_ubyte v52, v[8:9] offset:640 glc slc
	flat_load_ubyte v35, v[8:9] offset:704 glc slc
	flat_load_ubyte v30, v[8:9] offset:768 glc slc
	flat_load_ubyte v27, v[8:9] offset:832 glc slc
	flat_load_ubyte v24, v[8:9] offset:896 glc slc
	flat_load_ubyte v21, v[8:9] offset:960 glc slc
	flat_load_ubyte v14, v[10:11] glc slc
	flat_load_ubyte v23, v[10:11] offset:64 glc slc
	flat_load_ubyte v26, v[10:11] offset:128 glc slc
	;; [unrolled: 1-line block ×15, first 2 shown]
	v_mov_b32_e32 v15, 0
	v_mov_b32_e32 v16, 0
	s_waitcnt vmcnt(0) lgkmcnt(0)
	v_cmp_ne_u16_e32 vcc, 0, v20
	s_and_saveexec_b64 s[28:29], vcc
	s_cbranch_execz .LBB4_5751
; %bb.5746:                             ;   in Loop: Header=BB4_5745 Depth=3
	v_cmp_ne_u16_e32 vcc, s70, v20
	v_bfrev_b32_e32 v16, 1
	s_and_saveexec_b64 s[34:35], vcc
	s_cbranch_execz .LBB4_5750
; %bb.5747:                             ;   in Loop: Header=BB4_5745 Depth=3
	v_and_b32_e32 v2, 0xffff, v20
	v_and_b32_e32 v1, 0x7f, v2
	v_cmp_ne_u32_e32 vcc, s71, v1
	v_mov_b32_e32 v16, 0x7f800001
	s_and_saveexec_b64 s[36:37], vcc
	s_cbranch_execz .LBB4_5749
; %bb.5748:                             ;   in Loop: Header=BB4_5745 Depth=3
	v_and_b32_e32 v5, 7, v2
	v_lshrrev_b32_e32 v6, 3, v1
	v_cmp_gt_u32_e32 vcc, 8, v1
	v_ffbh_u32_e32 v1, v5
	v_min_u32_e32 v16, 32, v1
	v_subrev_u32_e32 v1, 28, v16
	v_lshlrev_b64 v[1:2], v1, v[2:3]
	v_sub_u32_e32 v2, 29, v16
	v_and_b32_e32 v1, 7, v1
	v_cndmask_b32_e32 v2, v6, v2, vcc
	v_cndmask_b32_e32 v1, v5, v1, vcc
	v_lshlrev_b32_e32 v5, 24, v20
	v_lshlrev_b32_e32 v1, 20, v1
	v_and_b32_e32 v5, 0x80000000, v5
	v_lshl_add_u32 v2, v2, 23, v0
	v_or3_b32 v16, v5, v2, v1
.LBB4_5749:                             ;   in Loop: Header=BB4_5745 Depth=3
	s_or_b64 exec, exec, s[36:37]
.LBB4_5750:                             ;   in Loop: Header=BB4_5745 Depth=3
	s_or_b64 exec, exec, s[34:35]
.LBB4_5751:                             ;   in Loop: Header=BB4_5745 Depth=3
	s_or_b64 exec, exec, s[28:29]
	v_and_b32_e32 v2, 0xff, v14
	v_cmp_ne_u16_e32 vcc, 0, v2
	s_and_saveexec_b64 s[28:29], vcc
	s_cbranch_execz .LBB4_5757
; %bb.5752:                             ;   in Loop: Header=BB4_5745 Depth=3
	v_cmp_ne_u16_e32 vcc, s70, v2
	v_bfrev_b32_e32 v15, 1
	s_and_saveexec_b64 s[34:35], vcc
	s_cbranch_execz .LBB4_5756
; %bb.5753:                             ;   in Loop: Header=BB4_5745 Depth=3
	v_and_b32_e32 v1, 0x7f, v14
	v_cmp_ne_u32_e32 vcc, s71, v1
	v_mov_b32_e32 v15, 0x7f800001
	s_and_saveexec_b64 s[36:37], vcc
	s_cbranch_execz .LBB4_5755
; %bb.5754:                             ;   in Loop: Header=BB4_5745 Depth=3
	v_and_b32_e32 v5, 7, v2
	v_lshrrev_b32_e32 v6, 3, v1
	v_cmp_gt_u32_e32 vcc, 8, v1
	v_ffbh_u32_e32 v1, v5
	v_min_u32_e32 v15, 32, v1
	v_subrev_u32_e32 v1, 28, v15
	v_lshlrev_b64 v[1:2], v1, v[2:3]
	v_sub_u32_e32 v2, 29, v15
	v_and_b32_e32 v1, 7, v1
	v_cndmask_b32_e32 v2, v6, v2, vcc
	v_cndmask_b32_e32 v1, v5, v1, vcc
	v_lshlrev_b32_e32 v5, 24, v14
	v_lshlrev_b32_e32 v1, 20, v1
	v_and_b32_e32 v5, 0x80000000, v5
	v_lshl_add_u32 v2, v2, 23, v0
	v_or3_b32 v15, v5, v2, v1
.LBB4_5755:                             ;   in Loop: Header=BB4_5745 Depth=3
	s_or_b64 exec, exec, s[36:37]
.LBB4_5756:                             ;   in Loop: Header=BB4_5745 Depth=3
	s_or_b64 exec, exec, s[34:35]
.LBB4_5757:                             ;   in Loop: Header=BB4_5745 Depth=3
	s_or_b64 exec, exec, s[28:29]
	v_mul_f32_e32 v14, v16, v15
	v_and_b32_e32 v2, 0x7f800000, v14
	v_cmp_ne_u64_e32 vcc, s[62:63], v[2:3]
                                        ; implicit-def: $vgpr20
	s_and_saveexec_b64 s[28:29], vcc
	s_xor_b64 s[34:35], exec, s[28:29]
	s_cbranch_execz .LBB4_5775
; %bb.5758:                             ;   in Loop: Header=BB4_5745 Depth=3
	v_and_b32_e32 v2, 0x7fffffff, v14
	v_cmp_gt_u64_e32 vcc, s[72:73], v[2:3]
	v_and_b32_sdwa v60, v14, s70 dst_sel:DWORD dst_unused:UNUSED_PAD src0_sel:BYTE_3 src1_sel:DWORD
                                        ; implicit-def: $vgpr20
	s_and_saveexec_b64 s[28:29], vcc
	s_xor_b64 s[36:37], exec, s[28:29]
	s_cbranch_execz .LBB4_5772
; %bb.5759:                             ;   in Loop: Header=BB4_5745 Depth=3
	v_cmp_ne_u32_e32 vcc, 0, v14
	v_mov_b32_e32 v20, 0
	s_and_saveexec_b64 s[38:39], vcc
	s_cbranch_execz .LBB4_5771
; %bb.5760:                             ;   in Loop: Header=BB4_5745 Depth=3
	v_bfe_u32 v20, v14, 23, 8
	v_cmp_gt_u32_e64 s[28:29], s80, v20
	v_sub_u32_e32 v2, 0x79, v20
	v_and_b32_e32 v1, 0x7fffff, v14
	v_cmp_eq_u32_e32 vcc, 0, v20
	v_cndmask_b32_e64 v2, 0, v2, s[28:29]
	v_mov_b32_e32 v6, 0x78
	v_or_b32_e32 v5, 0x800000, v1
	v_cndmask_b32_e32 v44, v2, v6, vcc
	v_cndmask_b32_e32 v2, v5, v1, vcc
	v_add_u32_e32 v1, 20, v44
	v_lshlrev_b64 v[14:15], v1, -1
	v_add_u32_e32 v1, 19, v44
	v_lshlrev_b64 v[5:6], v1, 1
	v_bfi_b32 v15, v15, 0, 0
	v_bfi_b32 v14, v14, 0, v2
	v_cmp_eq_u64_e64 s[28:29], v[14:15], v[5:6]
	v_lshrrev_b64 v[14:15], v44, v[2:3]
	v_mov_b32_e32 v16, v15
	v_mov_b32_e32 v15, v14
	s_and_saveexec_b64 s[48:49], s[28:29]
; %bb.5761:                             ;   in Loop: Header=BB4_5745 Depth=3
	v_bfe_u32 v1, v14, 20, 1
	v_add_co_u32_e64 v1, s[28:29], v14, v1
	v_add_co_u32_e64 v15, s[28:29], -1, v1
; %bb.5762:                             ;   in Loop: Header=BB4_5745 Depth=3
	s_or_b64 exec, exec, s[48:49]
	v_add_u32_e32 v1, 0xffffff81, v20
	v_mov_b32_e32 v2, 0xffffff82
	v_cndmask_b32_e32 v1, v1, v2, vcc
	v_lshrrev_b32_e32 v2, 23, v14
	v_add3_u32 v20, v44, v1, v2
	v_add_u32_e32 v1, 6, v20
	v_and_b32_e32 v2, 0xfffff, v15
	v_add_u32_e32 v2, v2, v14
	v_cmp_ne_u32_e32 vcc, 0, v1
                                        ; implicit-def: $vgpr14_vgpr15
                                        ; implicit-def: $vgpr16
	s_and_saveexec_b64 s[28:29], vcc
	s_xor_b64 s[28:29], exec, s[28:29]
; %bb.5763:                             ;   in Loop: Header=BB4_5745 Depth=3
	v_cmp_lt_u64_e32 vcc, s[88:89], v[2:3]
	v_add_u32_e32 v5, 7, v20
	v_cndmask_b32_e32 v16, v1, v5, vcc
	v_cndmask_b32_e64 v1, 0, 1, vcc
	v_lshrrev_b64 v[14:15], v1, v[2:3]
; %bb.5764:                             ;   in Loop: Header=BB4_5745 Depth=3
	s_andn2_saveexec_b64 s[28:29], s[28:29]
; %bb.5765:                             ;   in Loop: Header=BB4_5745 Depth=3
	v_mov_b32_e32 v15, v3
	v_bfe_u32 v16, v2, 23, 1
	v_mov_b32_e32 v14, v2
; %bb.5766:                             ;   in Loop: Header=BB4_5745 Depth=3
	s_or_b64 exec, exec, s[28:29]
	v_lshrrev_b64 v[1:2], 20, v[14:15]
	v_cmp_gt_i32_e32 vcc, 16, v16
	v_cndmask_b32_e32 v15, 0, v2, vcc
	v_cndmask_b32_e32 v14, 7, v1, vcc
	v_cmp_ne_u64_e32 vcc, 0, v[14:15]
	v_cmp_ne_u32_e64 s[28:29], 0, v16
	s_or_b64 s[28:29], s[28:29], vcc
                                        ; implicit-def: $vgpr20
	s_and_saveexec_b64 s[44:45], s[28:29]
	s_xor_b64 s[28:29], exec, s[44:45]
; %bb.5767:                             ;   in Loop: Header=BB4_5745 Depth=3
	v_min_i32_e32 v1, 15, v16
	v_lshl_or_b32 v1, v1, 3, v60
	v_and_or_b32 v20, v14, 7, v1
                                        ; implicit-def: $vgpr60
; %bb.5768:                             ;   in Loop: Header=BB4_5745 Depth=3
	s_andn2_saveexec_b64 s[28:29], s[28:29]
; %bb.5769:                             ;   in Loop: Header=BB4_5745 Depth=3
	v_mov_b32_e32 v20, v60
; %bb.5770:                             ;   in Loop: Header=BB4_5745 Depth=3
	s_or_b64 exec, exec, s[28:29]
.LBB4_5771:                             ;   in Loop: Header=BB4_5745 Depth=3
	s_or_b64 exec, exec, s[38:39]
                                        ; implicit-def: $vgpr60
.LBB4_5772:                             ;   in Loop: Header=BB4_5745 Depth=3
	s_andn2_saveexec_b64 s[28:29], s[36:37]
; %bb.5773:                             ;   in Loop: Header=BB4_5745 Depth=3
	v_or_b32_e32 v20, 0x7e, v60
; %bb.5774:                             ;   in Loop: Header=BB4_5745 Depth=3
	s_or_b64 exec, exec, s[28:29]
                                        ; implicit-def: $vgpr14
.LBB4_5775:                             ;   in Loop: Header=BB4_5745 Depth=3
	s_andn2_saveexec_b64 s[28:29], s[34:35]
; %bb.5776:                             ;   in Loop: Header=BB4_5745 Depth=3
	v_or_b32_sdwa v20, v14, s71 dst_sel:DWORD dst_unused:UNUSED_PAD src0_sel:BYTE_3 src1_sel:DWORD
; %bb.5777:                             ;   in Loop: Header=BB4_5745 Depth=3
	s_or_b64 exec, exec, s[28:29]
	v_and_b32_e32 v2, 0xff, v47
	v_cmp_ne_u16_e32 vcc, 0, v2
	v_mov_b32_e32 v14, 0
	v_mov_b32_e32 v15, 0
	s_and_saveexec_b64 s[28:29], vcc
	s_cbranch_execz .LBB4_5783
; %bb.5778:                             ;   in Loop: Header=BB4_5745 Depth=3
	v_cmp_ne_u16_e32 vcc, s70, v2
	v_bfrev_b32_e32 v15, 1
	s_and_saveexec_b64 s[34:35], vcc
	s_cbranch_execz .LBB4_5782
; %bb.5779:                             ;   in Loop: Header=BB4_5745 Depth=3
	v_and_b32_e32 v1, 0x7f, v47
	v_cmp_ne_u32_e32 vcc, s71, v1
	v_mov_b32_e32 v15, 0x7f800001
	s_and_saveexec_b64 s[36:37], vcc
	s_cbranch_execz .LBB4_5781
; %bb.5780:                             ;   in Loop: Header=BB4_5745 Depth=3
	v_and_b32_e32 v5, 7, v2
	v_lshrrev_b32_e32 v6, 3, v1
	v_cmp_gt_u32_e32 vcc, 8, v1
	v_ffbh_u32_e32 v1, v5
	v_min_u32_e32 v15, 32, v1
	v_subrev_u32_e32 v1, 28, v15
	v_lshlrev_b64 v[1:2], v1, v[2:3]
	v_sub_u32_e32 v2, 29, v15
	v_and_b32_e32 v1, 7, v1
	v_cndmask_b32_e32 v2, v6, v2, vcc
	v_cndmask_b32_e32 v1, v5, v1, vcc
	v_lshlrev_b32_e32 v5, 24, v47
	v_lshlrev_b32_e32 v1, 20, v1
	v_and_b32_e32 v5, 0x80000000, v5
	v_lshl_add_u32 v2, v2, 23, v0
	v_or3_b32 v15, v5, v2, v1
.LBB4_5781:                             ;   in Loop: Header=BB4_5745 Depth=3
	s_or_b64 exec, exec, s[36:37]
.LBB4_5782:                             ;   in Loop: Header=BB4_5745 Depth=3
	s_or_b64 exec, exec, s[34:35]
.LBB4_5783:                             ;   in Loop: Header=BB4_5745 Depth=3
	s_or_b64 exec, exec, s[28:29]
	v_and_b32_e32 v2, 0xff, v23
	v_cmp_ne_u16_e32 vcc, 0, v2
	s_and_saveexec_b64 s[28:29], vcc
	s_cbranch_execz .LBB4_5789
; %bb.5784:                             ;   in Loop: Header=BB4_5745 Depth=3
	v_cmp_ne_u16_e32 vcc, s70, v2
	v_bfrev_b32_e32 v14, 1
	s_and_saveexec_b64 s[34:35], vcc
	s_cbranch_execz .LBB4_5788
; %bb.5785:                             ;   in Loop: Header=BB4_5745 Depth=3
	v_and_b32_e32 v1, 0x7f, v23
	v_cmp_ne_u32_e32 vcc, s71, v1
	v_mov_b32_e32 v14, 0x7f800001
	s_and_saveexec_b64 s[36:37], vcc
	s_cbranch_execz .LBB4_5787
; %bb.5786:                             ;   in Loop: Header=BB4_5745 Depth=3
	v_and_b32_e32 v5, 7, v2
	v_lshrrev_b32_e32 v6, 3, v1
	v_cmp_gt_u32_e32 vcc, 8, v1
	v_ffbh_u32_e32 v1, v5
	v_min_u32_e32 v14, 32, v1
	v_subrev_u32_e32 v1, 28, v14
	v_lshlrev_b64 v[1:2], v1, v[2:3]
	v_sub_u32_e32 v2, 29, v14
	v_and_b32_e32 v1, 7, v1
	v_cndmask_b32_e32 v2, v6, v2, vcc
	v_cndmask_b32_e32 v1, v5, v1, vcc
	v_lshlrev_b32_e32 v5, 24, v23
	v_lshlrev_b32_e32 v1, 20, v1
	v_and_b32_e32 v5, 0x80000000, v5
	v_lshl_add_u32 v2, v2, 23, v0
	v_or3_b32 v14, v5, v2, v1
.LBB4_5787:                             ;   in Loop: Header=BB4_5745 Depth=3
	s_or_b64 exec, exec, s[36:37]
.LBB4_5788:                             ;   in Loop: Header=BB4_5745 Depth=3
	s_or_b64 exec, exec, s[34:35]
.LBB4_5789:                             ;   in Loop: Header=BB4_5745 Depth=3
	s_or_b64 exec, exec, s[28:29]
	v_mul_f32_e32 v14, v15, v14
	v_and_b32_e32 v2, 0x7f800000, v14
	v_cmp_ne_u64_e32 vcc, s[62:63], v[2:3]
                                        ; implicit-def: $vgpr23
	s_and_saveexec_b64 s[28:29], vcc
	s_xor_b64 s[34:35], exec, s[28:29]
	s_cbranch_execz .LBB4_5807
; %bb.5790:                             ;   in Loop: Header=BB4_5745 Depth=3
	v_and_b32_e32 v2, 0x7fffffff, v14
	v_cmp_gt_u64_e32 vcc, s[72:73], v[2:3]
	v_and_b32_sdwa v47, v14, s70 dst_sel:DWORD dst_unused:UNUSED_PAD src0_sel:BYTE_3 src1_sel:DWORD
                                        ; implicit-def: $vgpr23
	s_and_saveexec_b64 s[28:29], vcc
	s_xor_b64 s[36:37], exec, s[28:29]
	s_cbranch_execz .LBB4_5804
; %bb.5791:                             ;   in Loop: Header=BB4_5745 Depth=3
	v_cmp_ne_u32_e32 vcc, 0, v14
	v_mov_b32_e32 v23, 0
	s_and_saveexec_b64 s[38:39], vcc
	s_cbranch_execz .LBB4_5803
; %bb.5792:                             ;   in Loop: Header=BB4_5745 Depth=3
	v_bfe_u32 v23, v14, 23, 8
	v_cmp_gt_u32_e64 s[28:29], s80, v23
	v_sub_u32_e32 v2, 0x79, v23
	v_and_b32_e32 v1, 0x7fffff, v14
	v_cmp_eq_u32_e32 vcc, 0, v23
	v_cndmask_b32_e64 v2, 0, v2, s[28:29]
	v_mov_b32_e32 v6, 0x78
	v_or_b32_e32 v5, 0x800000, v1
	v_cndmask_b32_e32 v44, v2, v6, vcc
	v_cndmask_b32_e32 v2, v5, v1, vcc
	v_add_u32_e32 v1, 20, v44
	v_lshlrev_b64 v[5:6], v1, -1
	v_add_u32_e32 v1, 19, v44
	v_lshlrev_b64 v[14:15], v1, 1
	v_bfi_b32 v6, v6, 0, 0
	v_bfi_b32 v5, v5, 0, v2
	v_cmp_eq_u64_e64 s[28:29], v[5:6], v[14:15]
	v_lshrrev_b64 v[14:15], v44, v[2:3]
	v_mov_b32_e32 v16, v15
	v_mov_b32_e32 v15, v14
	s_and_saveexec_b64 s[48:49], s[28:29]
; %bb.5793:                             ;   in Loop: Header=BB4_5745 Depth=3
	v_bfe_u32 v1, v14, 20, 1
	v_add_co_u32_e64 v1, s[28:29], v14, v1
	v_add_co_u32_e64 v15, s[28:29], -1, v1
; %bb.5794:                             ;   in Loop: Header=BB4_5745 Depth=3
	s_or_b64 exec, exec, s[48:49]
	v_add_u32_e32 v1, 0xffffff81, v23
	v_mov_b32_e32 v2, 0xffffff82
	v_cndmask_b32_e32 v1, v1, v2, vcc
	v_lshrrev_b32_e32 v2, 23, v14
	v_add3_u32 v23, v44, v1, v2
	v_add_u32_e32 v1, 6, v23
	v_and_b32_e32 v2, 0xfffff, v15
	v_add_u32_e32 v2, v2, v14
	v_cmp_ne_u32_e32 vcc, 0, v1
                                        ; implicit-def: $vgpr14_vgpr15
                                        ; implicit-def: $vgpr16
	s_and_saveexec_b64 s[28:29], vcc
	s_xor_b64 s[28:29], exec, s[28:29]
; %bb.5795:                             ;   in Loop: Header=BB4_5745 Depth=3
	v_cmp_lt_u64_e32 vcc, s[88:89], v[2:3]
	v_add_u32_e32 v5, 7, v23
	v_cndmask_b32_e32 v16, v1, v5, vcc
	v_cndmask_b32_e64 v1, 0, 1, vcc
	v_lshrrev_b64 v[14:15], v1, v[2:3]
; %bb.5796:                             ;   in Loop: Header=BB4_5745 Depth=3
	s_andn2_saveexec_b64 s[28:29], s[28:29]
; %bb.5797:                             ;   in Loop: Header=BB4_5745 Depth=3
	v_mov_b32_e32 v15, v3
	v_bfe_u32 v16, v2, 23, 1
	v_mov_b32_e32 v14, v2
; %bb.5798:                             ;   in Loop: Header=BB4_5745 Depth=3
	s_or_b64 exec, exec, s[28:29]
	v_lshrrev_b64 v[1:2], 20, v[14:15]
	v_cmp_gt_i32_e32 vcc, 16, v16
	v_cndmask_b32_e32 v15, 0, v2, vcc
	v_cndmask_b32_e32 v14, 7, v1, vcc
	v_cmp_ne_u64_e32 vcc, 0, v[14:15]
	v_cmp_ne_u32_e64 s[28:29], 0, v16
	s_or_b64 s[28:29], s[28:29], vcc
                                        ; implicit-def: $vgpr23
	s_and_saveexec_b64 s[44:45], s[28:29]
	s_xor_b64 s[28:29], exec, s[44:45]
; %bb.5799:                             ;   in Loop: Header=BB4_5745 Depth=3
	v_min_i32_e32 v1, 15, v16
	v_lshl_or_b32 v1, v1, 3, v47
	v_and_or_b32 v23, v14, 7, v1
                                        ; implicit-def: $vgpr47
; %bb.5800:                             ;   in Loop: Header=BB4_5745 Depth=3
	s_andn2_saveexec_b64 s[28:29], s[28:29]
; %bb.5801:                             ;   in Loop: Header=BB4_5745 Depth=3
	v_mov_b32_e32 v23, v47
; %bb.5802:                             ;   in Loop: Header=BB4_5745 Depth=3
	s_or_b64 exec, exec, s[28:29]
.LBB4_5803:                             ;   in Loop: Header=BB4_5745 Depth=3
	s_or_b64 exec, exec, s[38:39]
                                        ; implicit-def: $vgpr47
.LBB4_5804:                             ;   in Loop: Header=BB4_5745 Depth=3
	s_andn2_saveexec_b64 s[28:29], s[36:37]
; %bb.5805:                             ;   in Loop: Header=BB4_5745 Depth=3
	v_or_b32_e32 v23, 0x7e, v47
; %bb.5806:                             ;   in Loop: Header=BB4_5745 Depth=3
	s_or_b64 exec, exec, s[28:29]
                                        ; implicit-def: $vgpr14
.LBB4_5807:                             ;   in Loop: Header=BB4_5745 Depth=3
	s_andn2_saveexec_b64 s[28:29], s[34:35]
; %bb.5808:                             ;   in Loop: Header=BB4_5745 Depth=3
	v_or_b32_sdwa v23, v14, s71 dst_sel:DWORD dst_unused:UNUSED_PAD src0_sel:BYTE_3 src1_sel:DWORD
; %bb.5809:                             ;   in Loop: Header=BB4_5745 Depth=3
	s_or_b64 exec, exec, s[28:29]
	v_and_b32_e32 v2, 0xff, v43
	v_cmp_ne_u16_e32 vcc, 0, v2
	v_mov_b32_e32 v14, 0
	v_mov_b32_e32 v15, 0
	s_and_saveexec_b64 s[28:29], vcc
	s_cbranch_execz .LBB4_5815
; %bb.5810:                             ;   in Loop: Header=BB4_5745 Depth=3
	v_cmp_ne_u16_e32 vcc, s70, v2
	v_bfrev_b32_e32 v15, 1
	s_and_saveexec_b64 s[34:35], vcc
	s_cbranch_execz .LBB4_5814
; %bb.5811:                             ;   in Loop: Header=BB4_5745 Depth=3
	v_and_b32_e32 v1, 0x7f, v43
	v_cmp_ne_u32_e32 vcc, s71, v1
	v_mov_b32_e32 v15, 0x7f800001
	s_and_saveexec_b64 s[36:37], vcc
	s_cbranch_execz .LBB4_5813
; %bb.5812:                             ;   in Loop: Header=BB4_5745 Depth=3
	v_and_b32_e32 v5, 7, v2
	v_lshrrev_b32_e32 v6, 3, v1
	v_cmp_gt_u32_e32 vcc, 8, v1
	v_ffbh_u32_e32 v1, v5
	v_min_u32_e32 v15, 32, v1
	v_subrev_u32_e32 v1, 28, v15
	v_lshlrev_b64 v[1:2], v1, v[2:3]
	v_sub_u32_e32 v2, 29, v15
	v_and_b32_e32 v1, 7, v1
	v_cndmask_b32_e32 v2, v6, v2, vcc
	v_cndmask_b32_e32 v1, v5, v1, vcc
	v_lshlrev_b32_e32 v5, 24, v43
	v_lshlrev_b32_e32 v1, 20, v1
	v_and_b32_e32 v5, 0x80000000, v5
	v_lshl_add_u32 v2, v2, 23, v0
	v_or3_b32 v15, v5, v2, v1
.LBB4_5813:                             ;   in Loop: Header=BB4_5745 Depth=3
	s_or_b64 exec, exec, s[36:37]
.LBB4_5814:                             ;   in Loop: Header=BB4_5745 Depth=3
	s_or_b64 exec, exec, s[34:35]
.LBB4_5815:                             ;   in Loop: Header=BB4_5745 Depth=3
	s_or_b64 exec, exec, s[28:29]
	v_and_b32_e32 v2, 0xff, v26
	v_cmp_ne_u16_e32 vcc, 0, v2
	s_and_saveexec_b64 s[28:29], vcc
	s_cbranch_execz .LBB4_5821
; %bb.5816:                             ;   in Loop: Header=BB4_5745 Depth=3
	v_cmp_ne_u16_e32 vcc, s70, v2
	v_bfrev_b32_e32 v14, 1
	s_and_saveexec_b64 s[34:35], vcc
	s_cbranch_execz .LBB4_5820
; %bb.5817:                             ;   in Loop: Header=BB4_5745 Depth=3
	v_and_b32_e32 v1, 0x7f, v26
	v_cmp_ne_u32_e32 vcc, s71, v1
	v_mov_b32_e32 v14, 0x7f800001
	s_and_saveexec_b64 s[36:37], vcc
	s_cbranch_execz .LBB4_5819
; %bb.5818:                             ;   in Loop: Header=BB4_5745 Depth=3
	v_and_b32_e32 v5, 7, v2
	v_lshrrev_b32_e32 v6, 3, v1
	v_cmp_gt_u32_e32 vcc, 8, v1
	v_ffbh_u32_e32 v1, v5
	v_min_u32_e32 v14, 32, v1
	v_subrev_u32_e32 v1, 28, v14
	v_lshlrev_b64 v[1:2], v1, v[2:3]
	v_sub_u32_e32 v2, 29, v14
	v_and_b32_e32 v1, 7, v1
	v_cndmask_b32_e32 v2, v6, v2, vcc
	v_cndmask_b32_e32 v1, v5, v1, vcc
	v_lshlrev_b32_e32 v5, 24, v26
	v_lshlrev_b32_e32 v1, 20, v1
	v_and_b32_e32 v5, 0x80000000, v5
	v_lshl_add_u32 v2, v2, 23, v0
	v_or3_b32 v14, v5, v2, v1
.LBB4_5819:                             ;   in Loop: Header=BB4_5745 Depth=3
	s_or_b64 exec, exec, s[36:37]
.LBB4_5820:                             ;   in Loop: Header=BB4_5745 Depth=3
	s_or_b64 exec, exec, s[34:35]
.LBB4_5821:                             ;   in Loop: Header=BB4_5745 Depth=3
	s_or_b64 exec, exec, s[28:29]
	v_mul_f32_e32 v14, v15, v14
	v_and_b32_e32 v2, 0x7f800000, v14
	v_cmp_ne_u64_e32 vcc, s[62:63], v[2:3]
                                        ; implicit-def: $vgpr26
	s_and_saveexec_b64 s[28:29], vcc
	s_xor_b64 s[34:35], exec, s[28:29]
	s_cbranch_execz .LBB4_5839
; %bb.5822:                             ;   in Loop: Header=BB4_5745 Depth=3
	v_and_b32_e32 v2, 0x7fffffff, v14
	v_cmp_gt_u64_e32 vcc, s[72:73], v[2:3]
	v_and_b32_sdwa v43, v14, s70 dst_sel:DWORD dst_unused:UNUSED_PAD src0_sel:BYTE_3 src1_sel:DWORD
                                        ; implicit-def: $vgpr26
	s_and_saveexec_b64 s[28:29], vcc
	s_xor_b64 s[36:37], exec, s[28:29]
	s_cbranch_execz .LBB4_5836
; %bb.5823:                             ;   in Loop: Header=BB4_5745 Depth=3
	v_cmp_ne_u32_e32 vcc, 0, v14
	v_mov_b32_e32 v26, 0
	s_and_saveexec_b64 s[38:39], vcc
	s_cbranch_execz .LBB4_5835
; %bb.5824:                             ;   in Loop: Header=BB4_5745 Depth=3
	v_bfe_u32 v26, v14, 23, 8
	v_cmp_gt_u32_e64 s[28:29], s80, v26
	v_sub_u32_e32 v2, 0x79, v26
	v_and_b32_e32 v1, 0x7fffff, v14
	v_cmp_eq_u32_e32 vcc, 0, v26
	v_cndmask_b32_e64 v2, 0, v2, s[28:29]
	v_mov_b32_e32 v6, 0x78
	v_or_b32_e32 v5, 0x800000, v1
	v_cndmask_b32_e32 v44, v2, v6, vcc
	v_cndmask_b32_e32 v2, v5, v1, vcc
	v_add_u32_e32 v1, 20, v44
	v_lshlrev_b64 v[5:6], v1, -1
	v_add_u32_e32 v1, 19, v44
	v_lshlrev_b64 v[14:15], v1, 1
	v_bfi_b32 v6, v6, 0, 0
	v_bfi_b32 v5, v5, 0, v2
	v_cmp_eq_u64_e64 s[28:29], v[5:6], v[14:15]
	v_lshrrev_b64 v[14:15], v44, v[2:3]
	v_mov_b32_e32 v16, v15
	v_mov_b32_e32 v15, v14
	s_and_saveexec_b64 s[48:49], s[28:29]
; %bb.5825:                             ;   in Loop: Header=BB4_5745 Depth=3
	v_bfe_u32 v1, v14, 20, 1
	v_add_co_u32_e64 v1, s[28:29], v14, v1
	v_add_co_u32_e64 v15, s[28:29], -1, v1
; %bb.5826:                             ;   in Loop: Header=BB4_5745 Depth=3
	s_or_b64 exec, exec, s[48:49]
	v_add_u32_e32 v1, 0xffffff81, v26
	v_mov_b32_e32 v2, 0xffffff82
	v_cndmask_b32_e32 v1, v1, v2, vcc
	v_lshrrev_b32_e32 v2, 23, v14
	v_add3_u32 v26, v44, v1, v2
	v_add_u32_e32 v1, 6, v26
	v_and_b32_e32 v2, 0xfffff, v15
	v_add_u32_e32 v2, v2, v14
	v_cmp_ne_u32_e32 vcc, 0, v1
                                        ; implicit-def: $vgpr14_vgpr15
                                        ; implicit-def: $vgpr16
	s_and_saveexec_b64 s[28:29], vcc
	s_xor_b64 s[28:29], exec, s[28:29]
; %bb.5827:                             ;   in Loop: Header=BB4_5745 Depth=3
	v_cmp_lt_u64_e32 vcc, s[88:89], v[2:3]
	v_add_u32_e32 v5, 7, v26
	v_cndmask_b32_e32 v16, v1, v5, vcc
	v_cndmask_b32_e64 v1, 0, 1, vcc
	v_lshrrev_b64 v[14:15], v1, v[2:3]
; %bb.5828:                             ;   in Loop: Header=BB4_5745 Depth=3
	s_andn2_saveexec_b64 s[28:29], s[28:29]
; %bb.5829:                             ;   in Loop: Header=BB4_5745 Depth=3
	v_mov_b32_e32 v15, v3
	v_bfe_u32 v16, v2, 23, 1
	v_mov_b32_e32 v14, v2
; %bb.5830:                             ;   in Loop: Header=BB4_5745 Depth=3
	s_or_b64 exec, exec, s[28:29]
	v_lshrrev_b64 v[1:2], 20, v[14:15]
	v_cmp_gt_i32_e32 vcc, 16, v16
	v_cndmask_b32_e32 v15, 0, v2, vcc
	v_cndmask_b32_e32 v14, 7, v1, vcc
	v_cmp_ne_u64_e32 vcc, 0, v[14:15]
	v_cmp_ne_u32_e64 s[28:29], 0, v16
	s_or_b64 s[28:29], s[28:29], vcc
                                        ; implicit-def: $vgpr26
	s_and_saveexec_b64 s[44:45], s[28:29]
	s_xor_b64 s[28:29], exec, s[44:45]
; %bb.5831:                             ;   in Loop: Header=BB4_5745 Depth=3
	v_min_i32_e32 v1, 15, v16
	v_lshl_or_b32 v1, v1, 3, v43
	v_and_or_b32 v26, v14, 7, v1
                                        ; implicit-def: $vgpr43
; %bb.5832:                             ;   in Loop: Header=BB4_5745 Depth=3
	s_andn2_saveexec_b64 s[28:29], s[28:29]
; %bb.5833:                             ;   in Loop: Header=BB4_5745 Depth=3
	v_mov_b32_e32 v26, v43
; %bb.5834:                             ;   in Loop: Header=BB4_5745 Depth=3
	s_or_b64 exec, exec, s[28:29]
.LBB4_5835:                             ;   in Loop: Header=BB4_5745 Depth=3
	s_or_b64 exec, exec, s[38:39]
                                        ; implicit-def: $vgpr43
.LBB4_5836:                             ;   in Loop: Header=BB4_5745 Depth=3
	s_andn2_saveexec_b64 s[28:29], s[36:37]
; %bb.5837:                             ;   in Loop: Header=BB4_5745 Depth=3
	v_or_b32_e32 v26, 0x7e, v43
; %bb.5838:                             ;   in Loop: Header=BB4_5745 Depth=3
	s_or_b64 exec, exec, s[28:29]
                                        ; implicit-def: $vgpr14
.LBB4_5839:                             ;   in Loop: Header=BB4_5745 Depth=3
	s_andn2_saveexec_b64 s[28:29], s[34:35]
; %bb.5840:                             ;   in Loop: Header=BB4_5745 Depth=3
	v_or_b32_sdwa v26, v14, s71 dst_sel:DWORD dst_unused:UNUSED_PAD src0_sel:BYTE_3 src1_sel:DWORD
; %bb.5841:                             ;   in Loop: Header=BB4_5745 Depth=3
	s_or_b64 exec, exec, s[28:29]
	v_and_b32_e32 v2, 0xff, v50
	v_cmp_ne_u16_e32 vcc, 0, v2
	v_mov_b32_e32 v14, 0
	v_mov_b32_e32 v15, 0
	s_and_saveexec_b64 s[28:29], vcc
	s_cbranch_execz .LBB4_5847
; %bb.5842:                             ;   in Loop: Header=BB4_5745 Depth=3
	v_cmp_ne_u16_e32 vcc, s70, v2
	v_bfrev_b32_e32 v15, 1
	s_and_saveexec_b64 s[34:35], vcc
	s_cbranch_execz .LBB4_5846
; %bb.5843:                             ;   in Loop: Header=BB4_5745 Depth=3
	v_and_b32_e32 v1, 0x7f, v50
	v_cmp_ne_u32_e32 vcc, s71, v1
	v_mov_b32_e32 v15, 0x7f800001
	s_and_saveexec_b64 s[36:37], vcc
	s_cbranch_execz .LBB4_5845
; %bb.5844:                             ;   in Loop: Header=BB4_5745 Depth=3
	v_and_b32_e32 v5, 7, v2
	v_lshrrev_b32_e32 v6, 3, v1
	v_cmp_gt_u32_e32 vcc, 8, v1
	v_ffbh_u32_e32 v1, v5
	v_min_u32_e32 v15, 32, v1
	v_subrev_u32_e32 v1, 28, v15
	v_lshlrev_b64 v[1:2], v1, v[2:3]
	v_sub_u32_e32 v2, 29, v15
	v_and_b32_e32 v1, 7, v1
	v_cndmask_b32_e32 v2, v6, v2, vcc
	v_cndmask_b32_e32 v1, v5, v1, vcc
	v_lshlrev_b32_e32 v5, 24, v50
	v_lshlrev_b32_e32 v1, 20, v1
	v_and_b32_e32 v5, 0x80000000, v5
	v_lshl_add_u32 v2, v2, 23, v0
	v_or3_b32 v15, v5, v2, v1
.LBB4_5845:                             ;   in Loop: Header=BB4_5745 Depth=3
	s_or_b64 exec, exec, s[36:37]
.LBB4_5846:                             ;   in Loop: Header=BB4_5745 Depth=3
	s_or_b64 exec, exec, s[34:35]
.LBB4_5847:                             ;   in Loop: Header=BB4_5745 Depth=3
	s_or_b64 exec, exec, s[28:29]
	v_and_b32_e32 v2, 0xff, v28
	v_cmp_ne_u16_e32 vcc, 0, v2
	s_and_saveexec_b64 s[28:29], vcc
	s_cbranch_execz .LBB4_5853
; %bb.5848:                             ;   in Loop: Header=BB4_5745 Depth=3
	v_cmp_ne_u16_e32 vcc, s70, v2
	v_bfrev_b32_e32 v14, 1
	s_and_saveexec_b64 s[34:35], vcc
	s_cbranch_execz .LBB4_5852
; %bb.5849:                             ;   in Loop: Header=BB4_5745 Depth=3
	v_and_b32_e32 v1, 0x7f, v28
	v_cmp_ne_u32_e32 vcc, s71, v1
	v_mov_b32_e32 v14, 0x7f800001
	s_and_saveexec_b64 s[36:37], vcc
	s_cbranch_execz .LBB4_5851
; %bb.5850:                             ;   in Loop: Header=BB4_5745 Depth=3
	v_and_b32_e32 v5, 7, v2
	v_lshrrev_b32_e32 v6, 3, v1
	v_cmp_gt_u32_e32 vcc, 8, v1
	v_ffbh_u32_e32 v1, v5
	v_min_u32_e32 v14, 32, v1
	v_subrev_u32_e32 v1, 28, v14
	v_lshlrev_b64 v[1:2], v1, v[2:3]
	v_sub_u32_e32 v2, 29, v14
	v_and_b32_e32 v1, 7, v1
	v_cndmask_b32_e32 v2, v6, v2, vcc
	v_cndmask_b32_e32 v1, v5, v1, vcc
	v_lshlrev_b32_e32 v5, 24, v28
	v_lshlrev_b32_e32 v1, 20, v1
	v_and_b32_e32 v5, 0x80000000, v5
	v_lshl_add_u32 v2, v2, 23, v0
	v_or3_b32 v14, v5, v2, v1
.LBB4_5851:                             ;   in Loop: Header=BB4_5745 Depth=3
	s_or_b64 exec, exec, s[36:37]
.LBB4_5852:                             ;   in Loop: Header=BB4_5745 Depth=3
	s_or_b64 exec, exec, s[34:35]
.LBB4_5853:                             ;   in Loop: Header=BB4_5745 Depth=3
	s_or_b64 exec, exec, s[28:29]
	v_mul_f32_e32 v14, v15, v14
	v_and_b32_e32 v2, 0x7f800000, v14
	v_cmp_ne_u64_e32 vcc, s[62:63], v[2:3]
                                        ; implicit-def: $vgpr28
	s_and_saveexec_b64 s[28:29], vcc
	s_xor_b64 s[34:35], exec, s[28:29]
	s_cbranch_execz .LBB4_5871
; %bb.5854:                             ;   in Loop: Header=BB4_5745 Depth=3
	v_and_b32_e32 v2, 0x7fffffff, v14
	v_cmp_gt_u64_e32 vcc, s[72:73], v[2:3]
	v_and_b32_sdwa v50, v14, s70 dst_sel:DWORD dst_unused:UNUSED_PAD src0_sel:BYTE_3 src1_sel:DWORD
                                        ; implicit-def: $vgpr28
	s_and_saveexec_b64 s[28:29], vcc
	s_xor_b64 s[36:37], exec, s[28:29]
	s_cbranch_execz .LBB4_5868
; %bb.5855:                             ;   in Loop: Header=BB4_5745 Depth=3
	v_cmp_ne_u32_e32 vcc, 0, v14
	v_mov_b32_e32 v28, 0
	s_and_saveexec_b64 s[38:39], vcc
	s_cbranch_execz .LBB4_5867
; %bb.5856:                             ;   in Loop: Header=BB4_5745 Depth=3
	v_bfe_u32 v28, v14, 23, 8
	v_cmp_gt_u32_e64 s[28:29], s80, v28
	v_sub_u32_e32 v2, 0x79, v28
	v_and_b32_e32 v1, 0x7fffff, v14
	v_cmp_eq_u32_e32 vcc, 0, v28
	v_cndmask_b32_e64 v2, 0, v2, s[28:29]
	v_mov_b32_e32 v6, 0x78
	v_or_b32_e32 v5, 0x800000, v1
	v_cndmask_b32_e32 v43, v2, v6, vcc
	v_cndmask_b32_e32 v2, v5, v1, vcc
	v_add_u32_e32 v1, 20, v43
	v_lshlrev_b64 v[5:6], v1, -1
	v_add_u32_e32 v1, 19, v43
	v_lshlrev_b64 v[14:15], v1, 1
	v_bfi_b32 v6, v6, 0, 0
	v_bfi_b32 v5, v5, 0, v2
	v_cmp_eq_u64_e64 s[28:29], v[5:6], v[14:15]
	v_lshrrev_b64 v[14:15], v43, v[2:3]
	v_mov_b32_e32 v16, v15
	v_mov_b32_e32 v15, v14
	s_and_saveexec_b64 s[48:49], s[28:29]
; %bb.5857:                             ;   in Loop: Header=BB4_5745 Depth=3
	v_bfe_u32 v1, v14, 20, 1
	v_add_co_u32_e64 v1, s[28:29], v14, v1
	v_add_co_u32_e64 v15, s[28:29], -1, v1
; %bb.5858:                             ;   in Loop: Header=BB4_5745 Depth=3
	s_or_b64 exec, exec, s[48:49]
	v_add_u32_e32 v1, 0xffffff81, v28
	v_mov_b32_e32 v2, 0xffffff82
	v_cndmask_b32_e32 v1, v1, v2, vcc
	v_lshrrev_b32_e32 v2, 23, v14
	v_add3_u32 v28, v43, v1, v2
	v_add_u32_e32 v1, 6, v28
	v_and_b32_e32 v2, 0xfffff, v15
	v_add_u32_e32 v2, v2, v14
	v_cmp_ne_u32_e32 vcc, 0, v1
                                        ; implicit-def: $vgpr14_vgpr15
                                        ; implicit-def: $vgpr16
	s_and_saveexec_b64 s[28:29], vcc
	s_xor_b64 s[28:29], exec, s[28:29]
; %bb.5859:                             ;   in Loop: Header=BB4_5745 Depth=3
	v_cmp_lt_u64_e32 vcc, s[88:89], v[2:3]
	v_add_u32_e32 v5, 7, v28
	v_cndmask_b32_e32 v16, v1, v5, vcc
	v_cndmask_b32_e64 v1, 0, 1, vcc
	v_lshrrev_b64 v[14:15], v1, v[2:3]
; %bb.5860:                             ;   in Loop: Header=BB4_5745 Depth=3
	s_andn2_saveexec_b64 s[28:29], s[28:29]
; %bb.5861:                             ;   in Loop: Header=BB4_5745 Depth=3
	v_mov_b32_e32 v15, v3
	v_bfe_u32 v16, v2, 23, 1
	v_mov_b32_e32 v14, v2
; %bb.5862:                             ;   in Loop: Header=BB4_5745 Depth=3
	s_or_b64 exec, exec, s[28:29]
	v_lshrrev_b64 v[1:2], 20, v[14:15]
	v_cmp_gt_i32_e32 vcc, 16, v16
	v_cndmask_b32_e32 v15, 0, v2, vcc
	v_cndmask_b32_e32 v14, 7, v1, vcc
	v_cmp_ne_u64_e32 vcc, 0, v[14:15]
	v_cmp_ne_u32_e64 s[28:29], 0, v16
	s_or_b64 s[28:29], s[28:29], vcc
                                        ; implicit-def: $vgpr28
	s_and_saveexec_b64 s[44:45], s[28:29]
	s_xor_b64 s[28:29], exec, s[44:45]
; %bb.5863:                             ;   in Loop: Header=BB4_5745 Depth=3
	v_min_i32_e32 v1, 15, v16
	v_lshl_or_b32 v1, v1, 3, v50
	v_and_or_b32 v28, v14, 7, v1
                                        ; implicit-def: $vgpr50
; %bb.5864:                             ;   in Loop: Header=BB4_5745 Depth=3
	s_andn2_saveexec_b64 s[28:29], s[28:29]
; %bb.5865:                             ;   in Loop: Header=BB4_5745 Depth=3
	v_mov_b32_e32 v28, v50
; %bb.5866:                             ;   in Loop: Header=BB4_5745 Depth=3
	s_or_b64 exec, exec, s[28:29]
.LBB4_5867:                             ;   in Loop: Header=BB4_5745 Depth=3
	s_or_b64 exec, exec, s[38:39]
                                        ; implicit-def: $vgpr50
.LBB4_5868:                             ;   in Loop: Header=BB4_5745 Depth=3
	s_andn2_saveexec_b64 s[28:29], s[36:37]
; %bb.5869:                             ;   in Loop: Header=BB4_5745 Depth=3
	v_or_b32_e32 v28, 0x7e, v50
; %bb.5870:                             ;   in Loop: Header=BB4_5745 Depth=3
	s_or_b64 exec, exec, s[28:29]
                                        ; implicit-def: $vgpr14
.LBB4_5871:                             ;   in Loop: Header=BB4_5745 Depth=3
	s_andn2_saveexec_b64 s[28:29], s[34:35]
; %bb.5872:                             ;   in Loop: Header=BB4_5745 Depth=3
	v_or_b32_sdwa v28, v14, s71 dst_sel:DWORD dst_unused:UNUSED_PAD src0_sel:BYTE_3 src1_sel:DWORD
; %bb.5873:                             ;   in Loop: Header=BB4_5745 Depth=3
	s_or_b64 exec, exec, s[28:29]
	v_and_b32_e32 v2, 0xff, v51
	v_cmp_ne_u16_e32 vcc, 0, v2
	v_mov_b32_e32 v14, 0
	v_mov_b32_e32 v15, 0
	s_and_saveexec_b64 s[28:29], vcc
	s_cbranch_execz .LBB4_5879
; %bb.5874:                             ;   in Loop: Header=BB4_5745 Depth=3
	v_cmp_ne_u16_e32 vcc, s70, v2
	v_bfrev_b32_e32 v15, 1
	s_and_saveexec_b64 s[34:35], vcc
	s_cbranch_execz .LBB4_5878
; %bb.5875:                             ;   in Loop: Header=BB4_5745 Depth=3
	v_and_b32_e32 v1, 0x7f, v51
	v_cmp_ne_u32_e32 vcc, s71, v1
	v_mov_b32_e32 v15, 0x7f800001
	s_and_saveexec_b64 s[36:37], vcc
	s_cbranch_execz .LBB4_5877
; %bb.5876:                             ;   in Loop: Header=BB4_5745 Depth=3
	v_and_b32_e32 v5, 7, v2
	v_lshrrev_b32_e32 v6, 3, v1
	v_cmp_gt_u32_e32 vcc, 8, v1
	v_ffbh_u32_e32 v1, v5
	v_min_u32_e32 v15, 32, v1
	v_subrev_u32_e32 v1, 28, v15
	v_lshlrev_b64 v[1:2], v1, v[2:3]
	v_sub_u32_e32 v2, 29, v15
	v_and_b32_e32 v1, 7, v1
	v_cndmask_b32_e32 v2, v6, v2, vcc
	v_cndmask_b32_e32 v1, v5, v1, vcc
	v_lshlrev_b32_e32 v5, 24, v51
	v_lshlrev_b32_e32 v1, 20, v1
	v_and_b32_e32 v5, 0x80000000, v5
	v_lshl_add_u32 v2, v2, 23, v0
	v_or3_b32 v15, v5, v2, v1
.LBB4_5877:                             ;   in Loop: Header=BB4_5745 Depth=3
	s_or_b64 exec, exec, s[36:37]
.LBB4_5878:                             ;   in Loop: Header=BB4_5745 Depth=3
	s_or_b64 exec, exec, s[34:35]
.LBB4_5879:                             ;   in Loop: Header=BB4_5745 Depth=3
	s_or_b64 exec, exec, s[28:29]
	v_and_b32_e32 v2, 0xff, v31
	v_cmp_ne_u16_e32 vcc, 0, v2
	s_and_saveexec_b64 s[28:29], vcc
	s_cbranch_execz .LBB4_5885
; %bb.5880:                             ;   in Loop: Header=BB4_5745 Depth=3
	v_cmp_ne_u16_e32 vcc, s70, v2
	v_bfrev_b32_e32 v14, 1
	s_and_saveexec_b64 s[34:35], vcc
	s_cbranch_execz .LBB4_5884
; %bb.5881:                             ;   in Loop: Header=BB4_5745 Depth=3
	v_and_b32_e32 v1, 0x7f, v31
	v_cmp_ne_u32_e32 vcc, s71, v1
	v_mov_b32_e32 v14, 0x7f800001
	s_and_saveexec_b64 s[36:37], vcc
	s_cbranch_execz .LBB4_5883
; %bb.5882:                             ;   in Loop: Header=BB4_5745 Depth=3
	v_and_b32_e32 v5, 7, v2
	v_lshrrev_b32_e32 v6, 3, v1
	v_cmp_gt_u32_e32 vcc, 8, v1
	v_ffbh_u32_e32 v1, v5
	v_min_u32_e32 v14, 32, v1
	v_subrev_u32_e32 v1, 28, v14
	v_lshlrev_b64 v[1:2], v1, v[2:3]
	v_sub_u32_e32 v2, 29, v14
	v_and_b32_e32 v1, 7, v1
	v_cndmask_b32_e32 v2, v6, v2, vcc
	v_cndmask_b32_e32 v1, v5, v1, vcc
	v_lshlrev_b32_e32 v5, 24, v31
	v_lshlrev_b32_e32 v1, 20, v1
	v_and_b32_e32 v5, 0x80000000, v5
	v_lshl_add_u32 v2, v2, 23, v0
	v_or3_b32 v14, v5, v2, v1
.LBB4_5883:                             ;   in Loop: Header=BB4_5745 Depth=3
	s_or_b64 exec, exec, s[36:37]
.LBB4_5884:                             ;   in Loop: Header=BB4_5745 Depth=3
	s_or_b64 exec, exec, s[34:35]
.LBB4_5885:                             ;   in Loop: Header=BB4_5745 Depth=3
	s_or_b64 exec, exec, s[28:29]
	v_mul_f32_e32 v14, v15, v14
	v_and_b32_e32 v2, 0x7f800000, v14
	v_cmp_ne_u64_e32 vcc, s[62:63], v[2:3]
                                        ; implicit-def: $vgpr31
	s_and_saveexec_b64 s[28:29], vcc
	s_xor_b64 s[34:35], exec, s[28:29]
	s_cbranch_execz .LBB4_5903
; %bb.5886:                             ;   in Loop: Header=BB4_5745 Depth=3
	v_and_b32_e32 v2, 0x7fffffff, v14
	v_cmp_gt_u64_e32 vcc, s[72:73], v[2:3]
	v_and_b32_sdwa v50, v14, s70 dst_sel:DWORD dst_unused:UNUSED_PAD src0_sel:BYTE_3 src1_sel:DWORD
                                        ; implicit-def: $vgpr31
	s_and_saveexec_b64 s[28:29], vcc
	s_xor_b64 s[36:37], exec, s[28:29]
	s_cbranch_execz .LBB4_5900
; %bb.5887:                             ;   in Loop: Header=BB4_5745 Depth=3
	v_cmp_ne_u32_e32 vcc, 0, v14
	v_mov_b32_e32 v31, 0
	s_and_saveexec_b64 s[38:39], vcc
	s_cbranch_execz .LBB4_5899
; %bb.5888:                             ;   in Loop: Header=BB4_5745 Depth=3
	v_bfe_u32 v31, v14, 23, 8
	v_cmp_gt_u32_e64 s[28:29], s80, v31
	v_sub_u32_e32 v2, 0x79, v31
	v_and_b32_e32 v1, 0x7fffff, v14
	v_cmp_eq_u32_e32 vcc, 0, v31
	v_cndmask_b32_e64 v2, 0, v2, s[28:29]
	v_mov_b32_e32 v6, 0x78
	v_or_b32_e32 v5, 0x800000, v1
	v_cndmask_b32_e32 v51, v2, v6, vcc
	v_cndmask_b32_e32 v2, v5, v1, vcc
	v_add_u32_e32 v1, 20, v51
	v_lshlrev_b64 v[5:6], v1, -1
	v_add_u32_e32 v1, 19, v51
	v_lshlrev_b64 v[14:15], v1, 1
	v_bfi_b32 v6, v6, 0, 0
	v_bfi_b32 v5, v5, 0, v2
	v_cmp_eq_u64_e64 s[28:29], v[5:6], v[14:15]
	v_lshrrev_b64 v[14:15], v51, v[2:3]
	v_mov_b32_e32 v16, v15
	v_mov_b32_e32 v15, v14
	s_and_saveexec_b64 s[48:49], s[28:29]
; %bb.5889:                             ;   in Loop: Header=BB4_5745 Depth=3
	v_bfe_u32 v1, v14, 20, 1
	v_add_co_u32_e64 v1, s[28:29], v14, v1
	v_add_co_u32_e64 v15, s[28:29], -1, v1
; %bb.5890:                             ;   in Loop: Header=BB4_5745 Depth=3
	s_or_b64 exec, exec, s[48:49]
	v_add_u32_e32 v1, 0xffffff81, v31
	v_mov_b32_e32 v2, 0xffffff82
	v_cndmask_b32_e32 v1, v1, v2, vcc
	v_lshrrev_b32_e32 v2, 23, v14
	v_add3_u32 v31, v51, v1, v2
	v_add_u32_e32 v1, 6, v31
	v_and_b32_e32 v2, 0xfffff, v15
	v_add_u32_e32 v2, v2, v14
	v_cmp_ne_u32_e32 vcc, 0, v1
                                        ; implicit-def: $vgpr14_vgpr15
                                        ; implicit-def: $vgpr16
	s_and_saveexec_b64 s[28:29], vcc
	s_xor_b64 s[28:29], exec, s[28:29]
; %bb.5891:                             ;   in Loop: Header=BB4_5745 Depth=3
	v_cmp_lt_u64_e32 vcc, s[88:89], v[2:3]
	v_add_u32_e32 v5, 7, v31
	v_cndmask_b32_e32 v16, v1, v5, vcc
	v_cndmask_b32_e64 v1, 0, 1, vcc
	v_lshrrev_b64 v[14:15], v1, v[2:3]
; %bb.5892:                             ;   in Loop: Header=BB4_5745 Depth=3
	s_andn2_saveexec_b64 s[28:29], s[28:29]
; %bb.5893:                             ;   in Loop: Header=BB4_5745 Depth=3
	v_mov_b32_e32 v15, v3
	v_bfe_u32 v16, v2, 23, 1
	v_mov_b32_e32 v14, v2
; %bb.5894:                             ;   in Loop: Header=BB4_5745 Depth=3
	s_or_b64 exec, exec, s[28:29]
	v_lshrrev_b64 v[1:2], 20, v[14:15]
	v_cmp_gt_i32_e32 vcc, 16, v16
	v_cndmask_b32_e32 v15, 0, v2, vcc
	v_cndmask_b32_e32 v14, 7, v1, vcc
	v_cmp_ne_u64_e32 vcc, 0, v[14:15]
	v_cmp_ne_u32_e64 s[28:29], 0, v16
	s_or_b64 s[28:29], s[28:29], vcc
                                        ; implicit-def: $vgpr31
	s_and_saveexec_b64 s[44:45], s[28:29]
	s_xor_b64 s[28:29], exec, s[44:45]
; %bb.5895:                             ;   in Loop: Header=BB4_5745 Depth=3
	v_min_i32_e32 v1, 15, v16
	v_lshl_or_b32 v1, v1, 3, v50
	v_and_or_b32 v31, v14, 7, v1
                                        ; implicit-def: $vgpr50
; %bb.5896:                             ;   in Loop: Header=BB4_5745 Depth=3
	s_andn2_saveexec_b64 s[28:29], s[28:29]
; %bb.5897:                             ;   in Loop: Header=BB4_5745 Depth=3
	v_mov_b32_e32 v31, v50
; %bb.5898:                             ;   in Loop: Header=BB4_5745 Depth=3
	s_or_b64 exec, exec, s[28:29]
.LBB4_5899:                             ;   in Loop: Header=BB4_5745 Depth=3
	s_or_b64 exec, exec, s[38:39]
                                        ; implicit-def: $vgpr50
.LBB4_5900:                             ;   in Loop: Header=BB4_5745 Depth=3
	s_andn2_saveexec_b64 s[28:29], s[36:37]
; %bb.5901:                             ;   in Loop: Header=BB4_5745 Depth=3
	v_or_b32_e32 v31, 0x7e, v50
; %bb.5902:                             ;   in Loop: Header=BB4_5745 Depth=3
	s_or_b64 exec, exec, s[28:29]
                                        ; implicit-def: $vgpr14
.LBB4_5903:                             ;   in Loop: Header=BB4_5745 Depth=3
	s_andn2_saveexec_b64 s[28:29], s[34:35]
; %bb.5904:                             ;   in Loop: Header=BB4_5745 Depth=3
	v_or_b32_sdwa v31, v14, s71 dst_sel:DWORD dst_unused:UNUSED_PAD src0_sel:BYTE_3 src1_sel:DWORD
; %bb.5905:                             ;   in Loop: Header=BB4_5745 Depth=3
	s_or_b64 exec, exec, s[28:29]
	v_and_b32_e32 v2, 0xff, v59
	v_cmp_ne_u16_e32 vcc, 0, v2
	v_mov_b32_e32 v14, 0
	v_mov_b32_e32 v15, 0
	s_and_saveexec_b64 s[28:29], vcc
	s_cbranch_execz .LBB4_5911
; %bb.5906:                             ;   in Loop: Header=BB4_5745 Depth=3
	v_cmp_ne_u16_e32 vcc, s70, v2
	v_bfrev_b32_e32 v15, 1
	s_and_saveexec_b64 s[34:35], vcc
	s_cbranch_execz .LBB4_5910
; %bb.5907:                             ;   in Loop: Header=BB4_5745 Depth=3
	v_and_b32_e32 v1, 0x7f, v59
	v_cmp_ne_u32_e32 vcc, s71, v1
	v_mov_b32_e32 v15, 0x7f800001
	s_and_saveexec_b64 s[36:37], vcc
	s_cbranch_execz .LBB4_5909
; %bb.5908:                             ;   in Loop: Header=BB4_5745 Depth=3
	v_and_b32_e32 v5, 7, v2
	v_lshrrev_b32_e32 v6, 3, v1
	v_cmp_gt_u32_e32 vcc, 8, v1
	v_ffbh_u32_e32 v1, v5
	v_min_u32_e32 v15, 32, v1
	v_subrev_u32_e32 v1, 28, v15
	v_lshlrev_b64 v[1:2], v1, v[2:3]
	v_sub_u32_e32 v2, 29, v15
	v_and_b32_e32 v1, 7, v1
	v_cndmask_b32_e32 v2, v6, v2, vcc
	v_cndmask_b32_e32 v1, v5, v1, vcc
	v_lshlrev_b32_e32 v5, 24, v59
	v_lshlrev_b32_e32 v1, 20, v1
	v_and_b32_e32 v5, 0x80000000, v5
	v_lshl_add_u32 v2, v2, 23, v0
	v_or3_b32 v15, v5, v2, v1
.LBB4_5909:                             ;   in Loop: Header=BB4_5745 Depth=3
	s_or_b64 exec, exec, s[36:37]
.LBB4_5910:                             ;   in Loop: Header=BB4_5745 Depth=3
	s_or_b64 exec, exec, s[34:35]
.LBB4_5911:                             ;   in Loop: Header=BB4_5745 Depth=3
	s_or_b64 exec, exec, s[28:29]
	v_and_b32_e32 v2, 0xff, v36
	v_cmp_ne_u16_e32 vcc, 0, v2
	s_and_saveexec_b64 s[28:29], vcc
	s_cbranch_execz .LBB4_5917
; %bb.5912:                             ;   in Loop: Header=BB4_5745 Depth=3
	v_cmp_ne_u16_e32 vcc, s70, v2
	v_bfrev_b32_e32 v14, 1
	s_and_saveexec_b64 s[34:35], vcc
	s_cbranch_execz .LBB4_5916
; %bb.5913:                             ;   in Loop: Header=BB4_5745 Depth=3
	v_and_b32_e32 v1, 0x7f, v36
	v_cmp_ne_u32_e32 vcc, s71, v1
	v_mov_b32_e32 v14, 0x7f800001
	s_and_saveexec_b64 s[36:37], vcc
	s_cbranch_execz .LBB4_5915
; %bb.5914:                             ;   in Loop: Header=BB4_5745 Depth=3
	v_and_b32_e32 v5, 7, v2
	v_lshrrev_b32_e32 v6, 3, v1
	v_cmp_gt_u32_e32 vcc, 8, v1
	v_ffbh_u32_e32 v1, v5
	v_min_u32_e32 v14, 32, v1
	v_subrev_u32_e32 v1, 28, v14
	v_lshlrev_b64 v[1:2], v1, v[2:3]
	v_sub_u32_e32 v2, 29, v14
	v_and_b32_e32 v1, 7, v1
	v_cndmask_b32_e32 v2, v6, v2, vcc
	v_cndmask_b32_e32 v1, v5, v1, vcc
	v_lshlrev_b32_e32 v5, 24, v36
	v_lshlrev_b32_e32 v1, 20, v1
	v_and_b32_e32 v5, 0x80000000, v5
	v_lshl_add_u32 v2, v2, 23, v0
	v_or3_b32 v14, v5, v2, v1
.LBB4_5915:                             ;   in Loop: Header=BB4_5745 Depth=3
	s_or_b64 exec, exec, s[36:37]
.LBB4_5916:                             ;   in Loop: Header=BB4_5745 Depth=3
	s_or_b64 exec, exec, s[34:35]
.LBB4_5917:                             ;   in Loop: Header=BB4_5745 Depth=3
	s_or_b64 exec, exec, s[28:29]
	v_mul_f32_e32 v14, v15, v14
	v_and_b32_e32 v2, 0x7f800000, v14
	v_cmp_ne_u64_e32 vcc, s[62:63], v[2:3]
                                        ; implicit-def: $vgpr36
	s_and_saveexec_b64 s[28:29], vcc
	s_xor_b64 s[34:35], exec, s[28:29]
	s_cbranch_execz .LBB4_5935
; %bb.5918:                             ;   in Loop: Header=BB4_5745 Depth=3
	v_and_b32_e32 v2, 0x7fffffff, v14
	v_cmp_gt_u64_e32 vcc, s[72:73], v[2:3]
	v_and_b32_sdwa v50, v14, s70 dst_sel:DWORD dst_unused:UNUSED_PAD src0_sel:BYTE_3 src1_sel:DWORD
                                        ; implicit-def: $vgpr36
	s_and_saveexec_b64 s[28:29], vcc
	s_xor_b64 s[36:37], exec, s[28:29]
	s_cbranch_execz .LBB4_5932
; %bb.5919:                             ;   in Loop: Header=BB4_5745 Depth=3
	v_cmp_ne_u32_e32 vcc, 0, v14
	v_mov_b32_e32 v36, 0
	s_and_saveexec_b64 s[38:39], vcc
	s_cbranch_execz .LBB4_5931
; %bb.5920:                             ;   in Loop: Header=BB4_5745 Depth=3
	v_bfe_u32 v36, v14, 23, 8
	v_cmp_gt_u32_e64 s[28:29], s80, v36
	v_sub_u32_e32 v2, 0x79, v36
	v_and_b32_e32 v1, 0x7fffff, v14
	v_cmp_eq_u32_e32 vcc, 0, v36
	v_cndmask_b32_e64 v2, 0, v2, s[28:29]
	v_mov_b32_e32 v6, 0x78
	v_or_b32_e32 v5, 0x800000, v1
	v_cndmask_b32_e32 v51, v2, v6, vcc
	v_cndmask_b32_e32 v2, v5, v1, vcc
	v_add_u32_e32 v1, 20, v51
	v_lshlrev_b64 v[5:6], v1, -1
	v_add_u32_e32 v1, 19, v51
	v_lshlrev_b64 v[14:15], v1, 1
	v_bfi_b32 v6, v6, 0, 0
	v_bfi_b32 v5, v5, 0, v2
	v_cmp_eq_u64_e64 s[28:29], v[5:6], v[14:15]
	v_lshrrev_b64 v[14:15], v51, v[2:3]
	v_mov_b32_e32 v16, v15
	v_mov_b32_e32 v15, v14
	s_and_saveexec_b64 s[48:49], s[28:29]
; %bb.5921:                             ;   in Loop: Header=BB4_5745 Depth=3
	v_bfe_u32 v1, v14, 20, 1
	v_add_co_u32_e64 v1, s[28:29], v14, v1
	v_add_co_u32_e64 v15, s[28:29], -1, v1
; %bb.5922:                             ;   in Loop: Header=BB4_5745 Depth=3
	s_or_b64 exec, exec, s[48:49]
	v_add_u32_e32 v1, 0xffffff81, v36
	v_mov_b32_e32 v2, 0xffffff82
	v_cndmask_b32_e32 v1, v1, v2, vcc
	v_lshrrev_b32_e32 v2, 23, v14
	v_add3_u32 v36, v51, v1, v2
	v_add_u32_e32 v1, 6, v36
	v_and_b32_e32 v2, 0xfffff, v15
	v_add_u32_e32 v2, v2, v14
	v_cmp_ne_u32_e32 vcc, 0, v1
                                        ; implicit-def: $vgpr14_vgpr15
                                        ; implicit-def: $vgpr16
	s_and_saveexec_b64 s[28:29], vcc
	s_xor_b64 s[28:29], exec, s[28:29]
; %bb.5923:                             ;   in Loop: Header=BB4_5745 Depth=3
	v_cmp_lt_u64_e32 vcc, s[88:89], v[2:3]
	v_add_u32_e32 v5, 7, v36
	v_cndmask_b32_e32 v16, v1, v5, vcc
	v_cndmask_b32_e64 v1, 0, 1, vcc
	v_lshrrev_b64 v[14:15], v1, v[2:3]
; %bb.5924:                             ;   in Loop: Header=BB4_5745 Depth=3
	s_andn2_saveexec_b64 s[28:29], s[28:29]
; %bb.5925:                             ;   in Loop: Header=BB4_5745 Depth=3
	v_mov_b32_e32 v15, v3
	v_bfe_u32 v16, v2, 23, 1
	v_mov_b32_e32 v14, v2
; %bb.5926:                             ;   in Loop: Header=BB4_5745 Depth=3
	s_or_b64 exec, exec, s[28:29]
	v_lshrrev_b64 v[1:2], 20, v[14:15]
	v_cmp_gt_i32_e32 vcc, 16, v16
	v_cndmask_b32_e32 v15, 0, v2, vcc
	v_cndmask_b32_e32 v14, 7, v1, vcc
	v_cmp_ne_u64_e32 vcc, 0, v[14:15]
	v_cmp_ne_u32_e64 s[28:29], 0, v16
	s_or_b64 s[28:29], s[28:29], vcc
                                        ; implicit-def: $vgpr36
	s_and_saveexec_b64 s[44:45], s[28:29]
	s_xor_b64 s[28:29], exec, s[44:45]
; %bb.5927:                             ;   in Loop: Header=BB4_5745 Depth=3
	v_min_i32_e32 v1, 15, v16
	v_lshl_or_b32 v1, v1, 3, v50
	v_and_or_b32 v36, v14, 7, v1
                                        ; implicit-def: $vgpr50
; %bb.5928:                             ;   in Loop: Header=BB4_5745 Depth=3
	s_andn2_saveexec_b64 s[28:29], s[28:29]
; %bb.5929:                             ;   in Loop: Header=BB4_5745 Depth=3
	v_mov_b32_e32 v36, v50
; %bb.5930:                             ;   in Loop: Header=BB4_5745 Depth=3
	s_or_b64 exec, exec, s[28:29]
.LBB4_5931:                             ;   in Loop: Header=BB4_5745 Depth=3
	s_or_b64 exec, exec, s[38:39]
                                        ; implicit-def: $vgpr50
.LBB4_5932:                             ;   in Loop: Header=BB4_5745 Depth=3
	s_andn2_saveexec_b64 s[28:29], s[36:37]
; %bb.5933:                             ;   in Loop: Header=BB4_5745 Depth=3
	v_or_b32_e32 v36, 0x7e, v50
; %bb.5934:                             ;   in Loop: Header=BB4_5745 Depth=3
	s_or_b64 exec, exec, s[28:29]
                                        ; implicit-def: $vgpr14
.LBB4_5935:                             ;   in Loop: Header=BB4_5745 Depth=3
	s_andn2_saveexec_b64 s[28:29], s[34:35]
; %bb.5936:                             ;   in Loop: Header=BB4_5745 Depth=3
	v_or_b32_sdwa v36, v14, s71 dst_sel:DWORD dst_unused:UNUSED_PAD src0_sel:BYTE_3 src1_sel:DWORD
; %bb.5937:                             ;   in Loop: Header=BB4_5745 Depth=3
	s_or_b64 exec, exec, s[28:29]
	v_and_b32_e32 v2, 0xff, v58
	v_cmp_ne_u16_e32 vcc, 0, v2
	v_mov_b32_e32 v14, 0
	v_mov_b32_e32 v15, 0
	s_and_saveexec_b64 s[28:29], vcc
	s_cbranch_execz .LBB4_5943
; %bb.5938:                             ;   in Loop: Header=BB4_5745 Depth=3
	v_cmp_ne_u16_e32 vcc, s70, v2
	v_bfrev_b32_e32 v15, 1
	s_and_saveexec_b64 s[34:35], vcc
	s_cbranch_execz .LBB4_5942
; %bb.5939:                             ;   in Loop: Header=BB4_5745 Depth=3
	v_and_b32_e32 v1, 0x7f, v58
	v_cmp_ne_u32_e32 vcc, s71, v1
	v_mov_b32_e32 v15, 0x7f800001
	s_and_saveexec_b64 s[36:37], vcc
	s_cbranch_execz .LBB4_5941
; %bb.5940:                             ;   in Loop: Header=BB4_5745 Depth=3
	v_and_b32_e32 v5, 7, v2
	v_lshrrev_b32_e32 v6, 3, v1
	v_cmp_gt_u32_e32 vcc, 8, v1
	v_ffbh_u32_e32 v1, v5
	v_min_u32_e32 v15, 32, v1
	v_subrev_u32_e32 v1, 28, v15
	v_lshlrev_b64 v[1:2], v1, v[2:3]
	v_sub_u32_e32 v2, 29, v15
	v_and_b32_e32 v1, 7, v1
	v_cndmask_b32_e32 v2, v6, v2, vcc
	v_cndmask_b32_e32 v1, v5, v1, vcc
	v_lshlrev_b32_e32 v5, 24, v58
	v_lshlrev_b32_e32 v1, 20, v1
	v_and_b32_e32 v5, 0x80000000, v5
	v_lshl_add_u32 v2, v2, 23, v0
	v_or3_b32 v15, v5, v2, v1
.LBB4_5941:                             ;   in Loop: Header=BB4_5745 Depth=3
	s_or_b64 exec, exec, s[36:37]
.LBB4_5942:                             ;   in Loop: Header=BB4_5745 Depth=3
	s_or_b64 exec, exec, s[34:35]
.LBB4_5943:                             ;   in Loop: Header=BB4_5745 Depth=3
	s_or_b64 exec, exec, s[28:29]
	v_and_b32_e32 v2, 0xff, v53
	v_cmp_ne_u16_e32 vcc, 0, v2
	s_and_saveexec_b64 s[28:29], vcc
	s_cbranch_execz .LBB4_5949
; %bb.5944:                             ;   in Loop: Header=BB4_5745 Depth=3
	v_cmp_ne_u16_e32 vcc, s70, v2
	v_bfrev_b32_e32 v14, 1
	s_and_saveexec_b64 s[34:35], vcc
	s_cbranch_execz .LBB4_5948
; %bb.5945:                             ;   in Loop: Header=BB4_5745 Depth=3
	v_and_b32_e32 v1, 0x7f, v53
	v_cmp_ne_u32_e32 vcc, s71, v1
	v_mov_b32_e32 v14, 0x7f800001
	s_and_saveexec_b64 s[36:37], vcc
	s_cbranch_execz .LBB4_5947
; %bb.5946:                             ;   in Loop: Header=BB4_5745 Depth=3
	v_and_b32_e32 v5, 7, v2
	v_lshrrev_b32_e32 v6, 3, v1
	v_cmp_gt_u32_e32 vcc, 8, v1
	v_ffbh_u32_e32 v1, v5
	v_min_u32_e32 v14, 32, v1
	v_subrev_u32_e32 v1, 28, v14
	v_lshlrev_b64 v[1:2], v1, v[2:3]
	v_sub_u32_e32 v2, 29, v14
	v_and_b32_e32 v1, 7, v1
	v_cndmask_b32_e32 v2, v6, v2, vcc
	v_cndmask_b32_e32 v1, v5, v1, vcc
	v_lshlrev_b32_e32 v5, 24, v53
	v_lshlrev_b32_e32 v1, 20, v1
	v_and_b32_e32 v5, 0x80000000, v5
	v_lshl_add_u32 v2, v2, 23, v0
	v_or3_b32 v14, v5, v2, v1
.LBB4_5947:                             ;   in Loop: Header=BB4_5745 Depth=3
	s_or_b64 exec, exec, s[36:37]
.LBB4_5948:                             ;   in Loop: Header=BB4_5745 Depth=3
	s_or_b64 exec, exec, s[34:35]
.LBB4_5949:                             ;   in Loop: Header=BB4_5745 Depth=3
	s_or_b64 exec, exec, s[28:29]
	v_mul_f32_e32 v14, v15, v14
	v_and_b32_e32 v2, 0x7f800000, v14
	v_cmp_ne_u64_e32 vcc, s[62:63], v[2:3]
                                        ; implicit-def: $vgpr53
	s_and_saveexec_b64 s[28:29], vcc
	s_xor_b64 s[34:35], exec, s[28:29]
	s_cbranch_execz .LBB4_5967
; %bb.5950:                             ;   in Loop: Header=BB4_5745 Depth=3
	v_and_b32_e32 v2, 0x7fffffff, v14
	v_cmp_gt_u64_e32 vcc, s[72:73], v[2:3]
	v_and_b32_sdwa v50, v14, s70 dst_sel:DWORD dst_unused:UNUSED_PAD src0_sel:BYTE_3 src1_sel:DWORD
                                        ; implicit-def: $vgpr53
	s_and_saveexec_b64 s[28:29], vcc
	s_xor_b64 s[36:37], exec, s[28:29]
	s_cbranch_execz .LBB4_5964
; %bb.5951:                             ;   in Loop: Header=BB4_5745 Depth=3
	v_cmp_ne_u32_e32 vcc, 0, v14
	v_mov_b32_e32 v53, 0
	s_and_saveexec_b64 s[38:39], vcc
	s_cbranch_execz .LBB4_5963
; %bb.5952:                             ;   in Loop: Header=BB4_5745 Depth=3
	v_bfe_u32 v51, v14, 23, 8
	v_cmp_gt_u32_e64 s[28:29], s80, v51
	v_sub_u32_e32 v2, 0x79, v51
	v_and_b32_e32 v1, 0x7fffff, v14
	v_cmp_eq_u32_e32 vcc, 0, v51
	v_cndmask_b32_e64 v2, 0, v2, s[28:29]
	v_mov_b32_e32 v6, 0x78
	v_or_b32_e32 v5, 0x800000, v1
	v_cndmask_b32_e32 v53, v2, v6, vcc
	v_cndmask_b32_e32 v2, v5, v1, vcc
	v_add_u32_e32 v1, 20, v53
	v_lshlrev_b64 v[5:6], v1, -1
	v_add_u32_e32 v1, 19, v53
	v_lshlrev_b64 v[14:15], v1, 1
	v_bfi_b32 v6, v6, 0, 0
	v_bfi_b32 v5, v5, 0, v2
	v_cmp_eq_u64_e64 s[28:29], v[5:6], v[14:15]
	v_lshrrev_b64 v[14:15], v53, v[2:3]
	v_mov_b32_e32 v16, v15
	v_mov_b32_e32 v15, v14
	s_and_saveexec_b64 s[48:49], s[28:29]
; %bb.5953:                             ;   in Loop: Header=BB4_5745 Depth=3
	v_bfe_u32 v1, v14, 20, 1
	v_add_co_u32_e64 v1, s[28:29], v14, v1
	v_add_co_u32_e64 v15, s[28:29], -1, v1
; %bb.5954:                             ;   in Loop: Header=BB4_5745 Depth=3
	s_or_b64 exec, exec, s[48:49]
	v_add_u32_e32 v1, 0xffffff81, v51
	v_mov_b32_e32 v2, 0xffffff82
	v_cndmask_b32_e32 v1, v1, v2, vcc
	v_lshrrev_b32_e32 v2, 23, v14
	v_add3_u32 v51, v53, v1, v2
	v_add_u32_e32 v1, 6, v51
	v_and_b32_e32 v2, 0xfffff, v15
	v_add_u32_e32 v2, v2, v14
	v_cmp_ne_u32_e32 vcc, 0, v1
                                        ; implicit-def: $vgpr14_vgpr15
                                        ; implicit-def: $vgpr16
	s_and_saveexec_b64 s[28:29], vcc
	s_xor_b64 s[28:29], exec, s[28:29]
; %bb.5955:                             ;   in Loop: Header=BB4_5745 Depth=3
	v_cmp_lt_u64_e32 vcc, s[88:89], v[2:3]
	v_add_u32_e32 v5, 7, v51
	v_cndmask_b32_e32 v16, v1, v5, vcc
	v_cndmask_b32_e64 v1, 0, 1, vcc
	v_lshrrev_b64 v[14:15], v1, v[2:3]
; %bb.5956:                             ;   in Loop: Header=BB4_5745 Depth=3
	s_andn2_saveexec_b64 s[28:29], s[28:29]
; %bb.5957:                             ;   in Loop: Header=BB4_5745 Depth=3
	v_mov_b32_e32 v15, v3
	v_bfe_u32 v16, v2, 23, 1
	v_mov_b32_e32 v14, v2
; %bb.5958:                             ;   in Loop: Header=BB4_5745 Depth=3
	s_or_b64 exec, exec, s[28:29]
	v_lshrrev_b64 v[1:2], 20, v[14:15]
	v_cmp_gt_i32_e32 vcc, 16, v16
	v_cndmask_b32_e32 v15, 0, v2, vcc
	v_cndmask_b32_e32 v14, 7, v1, vcc
	v_cmp_ne_u64_e32 vcc, 0, v[14:15]
	v_cmp_ne_u32_e64 s[28:29], 0, v16
	s_or_b64 s[28:29], s[28:29], vcc
                                        ; implicit-def: $vgpr53
	s_and_saveexec_b64 s[44:45], s[28:29]
	s_xor_b64 s[28:29], exec, s[44:45]
; %bb.5959:                             ;   in Loop: Header=BB4_5745 Depth=3
	v_min_i32_e32 v1, 15, v16
	v_lshl_or_b32 v1, v1, 3, v50
	v_and_or_b32 v53, v14, 7, v1
                                        ; implicit-def: $vgpr50
; %bb.5960:                             ;   in Loop: Header=BB4_5745 Depth=3
	s_andn2_saveexec_b64 s[28:29], s[28:29]
; %bb.5961:                             ;   in Loop: Header=BB4_5745 Depth=3
	v_mov_b32_e32 v53, v50
; %bb.5962:                             ;   in Loop: Header=BB4_5745 Depth=3
	s_or_b64 exec, exec, s[28:29]
.LBB4_5963:                             ;   in Loop: Header=BB4_5745 Depth=3
	s_or_b64 exec, exec, s[38:39]
                                        ; implicit-def: $vgpr50
.LBB4_5964:                             ;   in Loop: Header=BB4_5745 Depth=3
	s_andn2_saveexec_b64 s[28:29], s[36:37]
; %bb.5965:                             ;   in Loop: Header=BB4_5745 Depth=3
	v_or_b32_e32 v53, 0x7e, v50
; %bb.5966:                             ;   in Loop: Header=BB4_5745 Depth=3
	s_or_b64 exec, exec, s[28:29]
                                        ; implicit-def: $vgpr14
.LBB4_5967:                             ;   in Loop: Header=BB4_5745 Depth=3
	s_andn2_saveexec_b64 s[28:29], s[34:35]
; %bb.5968:                             ;   in Loop: Header=BB4_5745 Depth=3
	v_or_b32_sdwa v53, v14, s71 dst_sel:DWORD dst_unused:UNUSED_PAD src0_sel:BYTE_3 src1_sel:DWORD
; %bb.5969:                             ;   in Loop: Header=BB4_5745 Depth=3
	s_or_b64 exec, exec, s[28:29]
	v_and_b32_e32 v2, 0xff, v57
	v_cmp_ne_u16_e32 vcc, 0, v2
	v_mov_b32_e32 v14, 0
	v_mov_b32_e32 v15, 0
	s_and_saveexec_b64 s[28:29], vcc
	s_cbranch_execz .LBB4_5975
; %bb.5970:                             ;   in Loop: Header=BB4_5745 Depth=3
	v_cmp_ne_u16_e32 vcc, s70, v2
	v_bfrev_b32_e32 v15, 1
	s_and_saveexec_b64 s[34:35], vcc
	s_cbranch_execz .LBB4_5974
; %bb.5971:                             ;   in Loop: Header=BB4_5745 Depth=3
	v_and_b32_e32 v1, 0x7f, v57
	v_cmp_ne_u32_e32 vcc, s71, v1
	v_mov_b32_e32 v15, 0x7f800001
	s_and_saveexec_b64 s[36:37], vcc
	s_cbranch_execz .LBB4_5973
; %bb.5972:                             ;   in Loop: Header=BB4_5745 Depth=3
	v_and_b32_e32 v5, 7, v2
	v_lshrrev_b32_e32 v6, 3, v1
	v_cmp_gt_u32_e32 vcc, 8, v1
	v_ffbh_u32_e32 v1, v5
	v_min_u32_e32 v15, 32, v1
	v_subrev_u32_e32 v1, 28, v15
	v_lshlrev_b64 v[1:2], v1, v[2:3]
	v_sub_u32_e32 v2, 29, v15
	v_and_b32_e32 v1, 7, v1
	v_cndmask_b32_e32 v2, v6, v2, vcc
	v_cndmask_b32_e32 v1, v5, v1, vcc
	v_lshlrev_b32_e32 v5, 24, v57
	v_lshlrev_b32_e32 v1, 20, v1
	v_and_b32_e32 v5, 0x80000000, v5
	v_lshl_add_u32 v2, v2, 23, v0
	v_or3_b32 v15, v5, v2, v1
.LBB4_5973:                             ;   in Loop: Header=BB4_5745 Depth=3
	s_or_b64 exec, exec, s[36:37]
.LBB4_5974:                             ;   in Loop: Header=BB4_5745 Depth=3
	s_or_b64 exec, exec, s[34:35]
.LBB4_5975:                             ;   in Loop: Header=BB4_5745 Depth=3
	s_or_b64 exec, exec, s[28:29]
	v_and_b32_e32 v2, 0xff, v42
	v_cmp_ne_u16_e32 vcc, 0, v2
	s_and_saveexec_b64 s[28:29], vcc
	s_cbranch_execz .LBB4_5981
; %bb.5976:                             ;   in Loop: Header=BB4_5745 Depth=3
	v_cmp_ne_u16_e32 vcc, s70, v2
	v_bfrev_b32_e32 v14, 1
	s_and_saveexec_b64 s[34:35], vcc
	s_cbranch_execz .LBB4_5980
; %bb.5977:                             ;   in Loop: Header=BB4_5745 Depth=3
	v_and_b32_e32 v1, 0x7f, v42
	v_cmp_ne_u32_e32 vcc, s71, v1
	v_mov_b32_e32 v14, 0x7f800001
	s_and_saveexec_b64 s[36:37], vcc
	s_cbranch_execz .LBB4_5979
; %bb.5978:                             ;   in Loop: Header=BB4_5745 Depth=3
	v_and_b32_e32 v5, 7, v2
	v_lshrrev_b32_e32 v6, 3, v1
	v_cmp_gt_u32_e32 vcc, 8, v1
	v_ffbh_u32_e32 v1, v5
	v_min_u32_e32 v14, 32, v1
	v_subrev_u32_e32 v1, 28, v14
	v_lshlrev_b64 v[1:2], v1, v[2:3]
	v_sub_u32_e32 v2, 29, v14
	v_and_b32_e32 v1, 7, v1
	v_cndmask_b32_e32 v2, v6, v2, vcc
	v_cndmask_b32_e32 v1, v5, v1, vcc
	v_lshlrev_b32_e32 v5, 24, v42
	v_lshlrev_b32_e32 v1, 20, v1
	v_and_b32_e32 v5, 0x80000000, v5
	v_lshl_add_u32 v2, v2, 23, v0
	v_or3_b32 v14, v5, v2, v1
.LBB4_5979:                             ;   in Loop: Header=BB4_5745 Depth=3
	s_or_b64 exec, exec, s[36:37]
.LBB4_5980:                             ;   in Loop: Header=BB4_5745 Depth=3
	s_or_b64 exec, exec, s[34:35]
.LBB4_5981:                             ;   in Loop: Header=BB4_5745 Depth=3
	s_or_b64 exec, exec, s[28:29]
	v_mul_f32_e32 v14, v15, v14
	v_and_b32_e32 v2, 0x7f800000, v14
	v_cmp_ne_u64_e32 vcc, s[62:63], v[2:3]
                                        ; implicit-def: $vgpr42
	s_and_saveexec_b64 s[28:29], vcc
	s_xor_b64 s[34:35], exec, s[28:29]
	s_cbranch_execz .LBB4_5999
; %bb.5982:                             ;   in Loop: Header=BB4_5745 Depth=3
	v_and_b32_e32 v2, 0x7fffffff, v14
	v_cmp_gt_u64_e32 vcc, s[72:73], v[2:3]
	v_and_b32_sdwa v50, v14, s70 dst_sel:DWORD dst_unused:UNUSED_PAD src0_sel:BYTE_3 src1_sel:DWORD
                                        ; implicit-def: $vgpr42
	s_and_saveexec_b64 s[28:29], vcc
	s_xor_b64 s[36:37], exec, s[28:29]
	s_cbranch_execz .LBB4_5996
; %bb.5983:                             ;   in Loop: Header=BB4_5745 Depth=3
	v_cmp_ne_u32_e32 vcc, 0, v14
	v_mov_b32_e32 v42, 0
	s_and_saveexec_b64 s[38:39], vcc
	s_cbranch_execz .LBB4_5995
; %bb.5984:                             ;   in Loop: Header=BB4_5745 Depth=3
	v_bfe_u32 v51, v14, 23, 8
	v_cmp_gt_u32_e64 s[28:29], s80, v51
	v_sub_u32_e32 v2, 0x79, v51
	v_and_b32_e32 v1, 0x7fffff, v14
	v_cmp_eq_u32_e32 vcc, 0, v51
	v_cndmask_b32_e64 v2, 0, v2, s[28:29]
	v_mov_b32_e32 v6, 0x78
	v_or_b32_e32 v5, 0x800000, v1
	v_cndmask_b32_e32 v42, v2, v6, vcc
	v_cndmask_b32_e32 v2, v5, v1, vcc
	v_add_u32_e32 v1, 20, v42
	v_lshlrev_b64 v[5:6], v1, -1
	v_add_u32_e32 v1, 19, v42
	v_lshlrev_b64 v[14:15], v1, 1
	v_bfi_b32 v6, v6, 0, 0
	v_bfi_b32 v5, v5, 0, v2
	v_cmp_eq_u64_e64 s[28:29], v[5:6], v[14:15]
	v_lshrrev_b64 v[14:15], v42, v[2:3]
	v_mov_b32_e32 v16, v15
	v_mov_b32_e32 v15, v14
	s_and_saveexec_b64 s[48:49], s[28:29]
; %bb.5985:                             ;   in Loop: Header=BB4_5745 Depth=3
	v_bfe_u32 v1, v14, 20, 1
	v_add_co_u32_e64 v1, s[28:29], v14, v1
	v_add_co_u32_e64 v15, s[28:29], -1, v1
; %bb.5986:                             ;   in Loop: Header=BB4_5745 Depth=3
	s_or_b64 exec, exec, s[48:49]
	v_add_u32_e32 v1, 0xffffff81, v51
	v_mov_b32_e32 v2, 0xffffff82
	v_cndmask_b32_e32 v1, v1, v2, vcc
	v_lshrrev_b32_e32 v2, 23, v14
	v_add3_u32 v51, v42, v1, v2
	v_add_u32_e32 v1, 6, v51
	v_and_b32_e32 v2, 0xfffff, v15
	v_add_u32_e32 v2, v2, v14
	v_cmp_ne_u32_e32 vcc, 0, v1
                                        ; implicit-def: $vgpr14_vgpr15
                                        ; implicit-def: $vgpr16
	s_and_saveexec_b64 s[28:29], vcc
	s_xor_b64 s[28:29], exec, s[28:29]
; %bb.5987:                             ;   in Loop: Header=BB4_5745 Depth=3
	v_cmp_lt_u64_e32 vcc, s[88:89], v[2:3]
	v_add_u32_e32 v5, 7, v51
	v_cndmask_b32_e32 v16, v1, v5, vcc
	v_cndmask_b32_e64 v1, 0, 1, vcc
	v_lshrrev_b64 v[14:15], v1, v[2:3]
; %bb.5988:                             ;   in Loop: Header=BB4_5745 Depth=3
	s_andn2_saveexec_b64 s[28:29], s[28:29]
; %bb.5989:                             ;   in Loop: Header=BB4_5745 Depth=3
	v_mov_b32_e32 v15, v3
	v_bfe_u32 v16, v2, 23, 1
	v_mov_b32_e32 v14, v2
; %bb.5990:                             ;   in Loop: Header=BB4_5745 Depth=3
	s_or_b64 exec, exec, s[28:29]
	v_lshrrev_b64 v[1:2], 20, v[14:15]
	v_cmp_gt_i32_e32 vcc, 16, v16
	v_cndmask_b32_e32 v15, 0, v2, vcc
	v_cndmask_b32_e32 v14, 7, v1, vcc
	v_cmp_ne_u64_e32 vcc, 0, v[14:15]
	v_cmp_ne_u32_e64 s[28:29], 0, v16
	s_or_b64 s[28:29], s[28:29], vcc
                                        ; implicit-def: $vgpr42
	s_and_saveexec_b64 s[44:45], s[28:29]
	s_xor_b64 s[28:29], exec, s[44:45]
; %bb.5991:                             ;   in Loop: Header=BB4_5745 Depth=3
	v_min_i32_e32 v1, 15, v16
	v_lshl_or_b32 v1, v1, 3, v50
	v_and_or_b32 v42, v14, 7, v1
                                        ; implicit-def: $vgpr50
; %bb.5992:                             ;   in Loop: Header=BB4_5745 Depth=3
	s_andn2_saveexec_b64 s[28:29], s[28:29]
; %bb.5993:                             ;   in Loop: Header=BB4_5745 Depth=3
	v_mov_b32_e32 v42, v50
; %bb.5994:                             ;   in Loop: Header=BB4_5745 Depth=3
	s_or_b64 exec, exec, s[28:29]
.LBB4_5995:                             ;   in Loop: Header=BB4_5745 Depth=3
	s_or_b64 exec, exec, s[38:39]
                                        ; implicit-def: $vgpr50
.LBB4_5996:                             ;   in Loop: Header=BB4_5745 Depth=3
	s_andn2_saveexec_b64 s[28:29], s[36:37]
; %bb.5997:                             ;   in Loop: Header=BB4_5745 Depth=3
	v_or_b32_e32 v42, 0x7e, v50
; %bb.5998:                             ;   in Loop: Header=BB4_5745 Depth=3
	s_or_b64 exec, exec, s[28:29]
                                        ; implicit-def: $vgpr14
.LBB4_5999:                             ;   in Loop: Header=BB4_5745 Depth=3
	s_andn2_saveexec_b64 s[28:29], s[34:35]
; %bb.6000:                             ;   in Loop: Header=BB4_5745 Depth=3
	v_or_b32_sdwa v42, v14, s71 dst_sel:DWORD dst_unused:UNUSED_PAD src0_sel:BYTE_3 src1_sel:DWORD
; %bb.6001:                             ;   in Loop: Header=BB4_5745 Depth=3
	s_or_b64 exec, exec, s[28:29]
	v_and_b32_e32 v2, 0xff, v56
	v_cmp_ne_u16_e32 vcc, 0, v2
	v_mov_b32_e32 v14, 0
	v_mov_b32_e32 v15, 0
	s_and_saveexec_b64 s[28:29], vcc
	s_cbranch_execz .LBB4_6007
; %bb.6002:                             ;   in Loop: Header=BB4_5745 Depth=3
	v_cmp_ne_u16_e32 vcc, s70, v2
	v_bfrev_b32_e32 v15, 1
	s_and_saveexec_b64 s[34:35], vcc
	s_cbranch_execz .LBB4_6006
; %bb.6003:                             ;   in Loop: Header=BB4_5745 Depth=3
	v_and_b32_e32 v1, 0x7f, v56
	v_cmp_ne_u32_e32 vcc, s71, v1
	v_mov_b32_e32 v15, 0x7f800001
	s_and_saveexec_b64 s[36:37], vcc
	s_cbranch_execz .LBB4_6005
; %bb.6004:                             ;   in Loop: Header=BB4_5745 Depth=3
	v_and_b32_e32 v5, 7, v2
	v_lshrrev_b32_e32 v6, 3, v1
	v_cmp_gt_u32_e32 vcc, 8, v1
	v_ffbh_u32_e32 v1, v5
	v_min_u32_e32 v15, 32, v1
	v_subrev_u32_e32 v1, 28, v15
	v_lshlrev_b64 v[1:2], v1, v[2:3]
	v_sub_u32_e32 v2, 29, v15
	v_and_b32_e32 v1, 7, v1
	v_cndmask_b32_e32 v2, v6, v2, vcc
	v_cndmask_b32_e32 v1, v5, v1, vcc
	v_lshlrev_b32_e32 v5, 24, v56
	v_lshlrev_b32_e32 v1, 20, v1
	v_and_b32_e32 v5, 0x80000000, v5
	v_lshl_add_u32 v2, v2, 23, v0
	v_or3_b32 v15, v5, v2, v1
.LBB4_6005:                             ;   in Loop: Header=BB4_5745 Depth=3
	s_or_b64 exec, exec, s[36:37]
.LBB4_6006:                             ;   in Loop: Header=BB4_5745 Depth=3
	s_or_b64 exec, exec, s[34:35]
.LBB4_6007:                             ;   in Loop: Header=BB4_5745 Depth=3
	s_or_b64 exec, exec, s[28:29]
	v_and_b32_e32 v2, 0xff, v45
	v_cmp_ne_u16_e32 vcc, 0, v2
	s_and_saveexec_b64 s[28:29], vcc
	s_cbranch_execz .LBB4_6013
; %bb.6008:                             ;   in Loop: Header=BB4_5745 Depth=3
	v_cmp_ne_u16_e32 vcc, s70, v2
	v_bfrev_b32_e32 v14, 1
	s_and_saveexec_b64 s[34:35], vcc
	s_cbranch_execz .LBB4_6012
; %bb.6009:                             ;   in Loop: Header=BB4_5745 Depth=3
	v_and_b32_e32 v1, 0x7f, v45
	v_cmp_ne_u32_e32 vcc, s71, v1
	v_mov_b32_e32 v14, 0x7f800001
	s_and_saveexec_b64 s[36:37], vcc
	s_cbranch_execz .LBB4_6011
; %bb.6010:                             ;   in Loop: Header=BB4_5745 Depth=3
	v_and_b32_e32 v5, 7, v2
	v_lshrrev_b32_e32 v6, 3, v1
	v_cmp_gt_u32_e32 vcc, 8, v1
	v_ffbh_u32_e32 v1, v5
	v_min_u32_e32 v14, 32, v1
	v_subrev_u32_e32 v1, 28, v14
	v_lshlrev_b64 v[1:2], v1, v[2:3]
	v_sub_u32_e32 v2, 29, v14
	v_and_b32_e32 v1, 7, v1
	v_cndmask_b32_e32 v2, v6, v2, vcc
	v_cndmask_b32_e32 v1, v5, v1, vcc
	v_lshlrev_b32_e32 v5, 24, v45
	v_lshlrev_b32_e32 v1, 20, v1
	v_and_b32_e32 v5, 0x80000000, v5
	v_lshl_add_u32 v2, v2, 23, v0
	v_or3_b32 v14, v5, v2, v1
.LBB4_6011:                             ;   in Loop: Header=BB4_5745 Depth=3
	s_or_b64 exec, exec, s[36:37]
.LBB4_6012:                             ;   in Loop: Header=BB4_5745 Depth=3
	s_or_b64 exec, exec, s[34:35]
.LBB4_6013:                             ;   in Loop: Header=BB4_5745 Depth=3
	s_or_b64 exec, exec, s[28:29]
	v_mul_f32_e32 v14, v15, v14
	v_and_b32_e32 v2, 0x7f800000, v14
	v_cmp_ne_u64_e32 vcc, s[62:63], v[2:3]
                                        ; implicit-def: $vgpr45
	s_and_saveexec_b64 s[28:29], vcc
	s_xor_b64 s[34:35], exec, s[28:29]
	s_cbranch_execz .LBB4_6031
; %bb.6014:                             ;   in Loop: Header=BB4_5745 Depth=3
	v_and_b32_e32 v2, 0x7fffffff, v14
	v_cmp_gt_u64_e32 vcc, s[72:73], v[2:3]
	v_and_b32_sdwa v50, v14, s70 dst_sel:DWORD dst_unused:UNUSED_PAD src0_sel:BYTE_3 src1_sel:DWORD
                                        ; implicit-def: $vgpr45
	s_and_saveexec_b64 s[28:29], vcc
	s_xor_b64 s[36:37], exec, s[28:29]
	s_cbranch_execz .LBB4_6028
; %bb.6015:                             ;   in Loop: Header=BB4_5745 Depth=3
	v_cmp_ne_u32_e32 vcc, 0, v14
	v_mov_b32_e32 v45, 0
	s_and_saveexec_b64 s[38:39], vcc
	s_cbranch_execz .LBB4_6027
; %bb.6016:                             ;   in Loop: Header=BB4_5745 Depth=3
	v_bfe_u32 v51, v14, 23, 8
	v_cmp_gt_u32_e64 s[28:29], s80, v51
	v_sub_u32_e32 v2, 0x79, v51
	v_and_b32_e32 v1, 0x7fffff, v14
	v_cmp_eq_u32_e32 vcc, 0, v51
	v_cndmask_b32_e64 v2, 0, v2, s[28:29]
	v_mov_b32_e32 v6, 0x78
	v_or_b32_e32 v5, 0x800000, v1
	v_cndmask_b32_e32 v43, v2, v6, vcc
	v_cndmask_b32_e32 v2, v5, v1, vcc
	v_add_u32_e32 v1, 20, v43
	v_lshlrev_b64 v[5:6], v1, -1
	v_add_u32_e32 v1, 19, v43
	v_lshlrev_b64 v[14:15], v1, 1
	v_bfi_b32 v6, v6, 0, 0
	v_bfi_b32 v5, v5, 0, v2
	v_cmp_eq_u64_e64 s[28:29], v[5:6], v[14:15]
	v_lshrrev_b64 v[14:15], v43, v[2:3]
	v_mov_b32_e32 v16, v15
	v_mov_b32_e32 v15, v14
	s_and_saveexec_b64 s[48:49], s[28:29]
; %bb.6017:                             ;   in Loop: Header=BB4_5745 Depth=3
	v_bfe_u32 v1, v14, 20, 1
	v_add_co_u32_e64 v1, s[28:29], v14, v1
	v_add_co_u32_e64 v15, s[28:29], -1, v1
; %bb.6018:                             ;   in Loop: Header=BB4_5745 Depth=3
	s_or_b64 exec, exec, s[48:49]
	v_add_u32_e32 v1, 0xffffff81, v51
	v_mov_b32_e32 v2, 0xffffff82
	v_cndmask_b32_e32 v1, v1, v2, vcc
	v_lshrrev_b32_e32 v2, 23, v14
	v_add3_u32 v51, v43, v1, v2
	v_add_u32_e32 v1, 6, v51
	v_and_b32_e32 v2, 0xfffff, v15
	v_add_u32_e32 v2, v2, v14
	v_cmp_ne_u32_e32 vcc, 0, v1
                                        ; implicit-def: $vgpr14_vgpr15
                                        ; implicit-def: $vgpr16
	s_and_saveexec_b64 s[28:29], vcc
	s_xor_b64 s[28:29], exec, s[28:29]
; %bb.6019:                             ;   in Loop: Header=BB4_5745 Depth=3
	v_cmp_lt_u64_e32 vcc, s[88:89], v[2:3]
	v_add_u32_e32 v5, 7, v51
	v_cndmask_b32_e32 v16, v1, v5, vcc
	v_cndmask_b32_e64 v1, 0, 1, vcc
	v_lshrrev_b64 v[14:15], v1, v[2:3]
; %bb.6020:                             ;   in Loop: Header=BB4_5745 Depth=3
	s_andn2_saveexec_b64 s[28:29], s[28:29]
; %bb.6021:                             ;   in Loop: Header=BB4_5745 Depth=3
	v_mov_b32_e32 v15, v3
	v_bfe_u32 v16, v2, 23, 1
	v_mov_b32_e32 v14, v2
; %bb.6022:                             ;   in Loop: Header=BB4_5745 Depth=3
	s_or_b64 exec, exec, s[28:29]
	v_lshrrev_b64 v[1:2], 20, v[14:15]
	v_cmp_gt_i32_e32 vcc, 16, v16
	v_cndmask_b32_e32 v15, 0, v2, vcc
	v_cndmask_b32_e32 v14, 7, v1, vcc
	v_cmp_ne_u64_e32 vcc, 0, v[14:15]
	v_cmp_ne_u32_e64 s[28:29], 0, v16
	s_or_b64 s[28:29], s[28:29], vcc
                                        ; implicit-def: $vgpr45
	s_and_saveexec_b64 s[44:45], s[28:29]
	s_xor_b64 s[28:29], exec, s[44:45]
; %bb.6023:                             ;   in Loop: Header=BB4_5745 Depth=3
	v_min_i32_e32 v1, 15, v16
	v_lshl_or_b32 v1, v1, 3, v50
	v_and_or_b32 v45, v14, 7, v1
                                        ; implicit-def: $vgpr50
; %bb.6024:                             ;   in Loop: Header=BB4_5745 Depth=3
	s_andn2_saveexec_b64 s[28:29], s[28:29]
; %bb.6025:                             ;   in Loop: Header=BB4_5745 Depth=3
	v_mov_b32_e32 v45, v50
; %bb.6026:                             ;   in Loop: Header=BB4_5745 Depth=3
	s_or_b64 exec, exec, s[28:29]
.LBB4_6027:                             ;   in Loop: Header=BB4_5745 Depth=3
	s_or_b64 exec, exec, s[38:39]
                                        ; implicit-def: $vgpr50
.LBB4_6028:                             ;   in Loop: Header=BB4_5745 Depth=3
	s_andn2_saveexec_b64 s[28:29], s[36:37]
; %bb.6029:                             ;   in Loop: Header=BB4_5745 Depth=3
	v_or_b32_e32 v45, 0x7e, v50
; %bb.6030:                             ;   in Loop: Header=BB4_5745 Depth=3
	s_or_b64 exec, exec, s[28:29]
                                        ; implicit-def: $vgpr14
.LBB4_6031:                             ;   in Loop: Header=BB4_5745 Depth=3
	s_andn2_saveexec_b64 s[28:29], s[34:35]
; %bb.6032:                             ;   in Loop: Header=BB4_5745 Depth=3
	v_or_b32_sdwa v45, v14, s71 dst_sel:DWORD dst_unused:UNUSED_PAD src0_sel:BYTE_3 src1_sel:DWORD
; %bb.6033:                             ;   in Loop: Header=BB4_5745 Depth=3
	s_or_b64 exec, exec, s[28:29]
	v_and_b32_e32 v2, 0xff, v55
	v_cmp_ne_u16_e32 vcc, 0, v2
	v_mov_b32_e32 v14, 0
	v_mov_b32_e32 v15, 0
	s_and_saveexec_b64 s[28:29], vcc
	s_cbranch_execz .LBB4_6039
; %bb.6034:                             ;   in Loop: Header=BB4_5745 Depth=3
	v_cmp_ne_u16_e32 vcc, s70, v2
	v_bfrev_b32_e32 v15, 1
	s_and_saveexec_b64 s[34:35], vcc
	s_cbranch_execz .LBB4_6038
; %bb.6035:                             ;   in Loop: Header=BB4_5745 Depth=3
	v_and_b32_e32 v1, 0x7f, v55
	v_cmp_ne_u32_e32 vcc, s71, v1
	v_mov_b32_e32 v15, 0x7f800001
	s_and_saveexec_b64 s[36:37], vcc
	s_cbranch_execz .LBB4_6037
; %bb.6036:                             ;   in Loop: Header=BB4_5745 Depth=3
	v_and_b32_e32 v5, 7, v2
	v_lshrrev_b32_e32 v6, 3, v1
	v_cmp_gt_u32_e32 vcc, 8, v1
	v_ffbh_u32_e32 v1, v5
	v_min_u32_e32 v15, 32, v1
	v_subrev_u32_e32 v1, 28, v15
	v_lshlrev_b64 v[1:2], v1, v[2:3]
	v_sub_u32_e32 v2, 29, v15
	v_and_b32_e32 v1, 7, v1
	v_cndmask_b32_e32 v2, v6, v2, vcc
	v_cndmask_b32_e32 v1, v5, v1, vcc
	v_lshlrev_b32_e32 v5, 24, v55
	v_lshlrev_b32_e32 v1, 20, v1
	v_and_b32_e32 v5, 0x80000000, v5
	v_lshl_add_u32 v2, v2, 23, v0
	v_or3_b32 v15, v5, v2, v1
.LBB4_6037:                             ;   in Loop: Header=BB4_5745 Depth=3
	s_or_b64 exec, exec, s[36:37]
.LBB4_6038:                             ;   in Loop: Header=BB4_5745 Depth=3
	s_or_b64 exec, exec, s[34:35]
.LBB4_6039:                             ;   in Loop: Header=BB4_5745 Depth=3
	s_or_b64 exec, exec, s[28:29]
	v_and_b32_e32 v2, 0xff, v54
	v_cmp_ne_u16_e32 vcc, 0, v2
	s_and_saveexec_b64 s[28:29], vcc
	s_cbranch_execz .LBB4_6045
; %bb.6040:                             ;   in Loop: Header=BB4_5745 Depth=3
	v_cmp_ne_u16_e32 vcc, s70, v2
	v_bfrev_b32_e32 v14, 1
	s_and_saveexec_b64 s[34:35], vcc
	s_cbranch_execz .LBB4_6044
; %bb.6041:                             ;   in Loop: Header=BB4_5745 Depth=3
	v_and_b32_e32 v1, 0x7f, v54
	v_cmp_ne_u32_e32 vcc, s71, v1
	v_mov_b32_e32 v14, 0x7f800001
	s_and_saveexec_b64 s[36:37], vcc
	s_cbranch_execz .LBB4_6043
; %bb.6042:                             ;   in Loop: Header=BB4_5745 Depth=3
	v_and_b32_e32 v5, 7, v2
	v_lshrrev_b32_e32 v6, 3, v1
	v_cmp_gt_u32_e32 vcc, 8, v1
	v_ffbh_u32_e32 v1, v5
	v_min_u32_e32 v14, 32, v1
	v_subrev_u32_e32 v1, 28, v14
	v_lshlrev_b64 v[1:2], v1, v[2:3]
	v_sub_u32_e32 v2, 29, v14
	v_and_b32_e32 v1, 7, v1
	v_cndmask_b32_e32 v2, v6, v2, vcc
	v_cndmask_b32_e32 v1, v5, v1, vcc
	v_lshlrev_b32_e32 v5, 24, v54
	v_lshlrev_b32_e32 v1, 20, v1
	v_and_b32_e32 v5, 0x80000000, v5
	v_lshl_add_u32 v2, v2, 23, v0
	v_or3_b32 v14, v5, v2, v1
.LBB4_6043:                             ;   in Loop: Header=BB4_5745 Depth=3
	s_or_b64 exec, exec, s[36:37]
.LBB4_6044:                             ;   in Loop: Header=BB4_5745 Depth=3
	s_or_b64 exec, exec, s[34:35]
.LBB4_6045:                             ;   in Loop: Header=BB4_5745 Depth=3
	s_or_b64 exec, exec, s[28:29]
	v_mul_f32_e32 v14, v15, v14
	v_and_b32_e32 v2, 0x7f800000, v14
	v_cmp_ne_u64_e32 vcc, s[62:63], v[2:3]
                                        ; implicit-def: $vgpr54
	s_and_saveexec_b64 s[28:29], vcc
	s_xor_b64 s[34:35], exec, s[28:29]
	s_cbranch_execz .LBB4_6063
; %bb.6046:                             ;   in Loop: Header=BB4_5745 Depth=3
	v_and_b32_e32 v2, 0x7fffffff, v14
	v_cmp_gt_u64_e32 vcc, s[72:73], v[2:3]
	v_and_b32_sdwa v50, v14, s70 dst_sel:DWORD dst_unused:UNUSED_PAD src0_sel:BYTE_3 src1_sel:DWORD
                                        ; implicit-def: $vgpr54
	s_and_saveexec_b64 s[28:29], vcc
	s_xor_b64 s[36:37], exec, s[28:29]
	s_cbranch_execz .LBB4_6060
; %bb.6047:                             ;   in Loop: Header=BB4_5745 Depth=3
	v_cmp_ne_u32_e32 vcc, 0, v14
	v_mov_b32_e32 v54, 0
	s_and_saveexec_b64 s[38:39], vcc
	s_cbranch_execz .LBB4_6059
; %bb.6048:                             ;   in Loop: Header=BB4_5745 Depth=3
	v_bfe_u32 v51, v14, 23, 8
	v_cmp_gt_u32_e64 s[28:29], s80, v51
	v_sub_u32_e32 v2, 0x79, v51
	v_and_b32_e32 v1, 0x7fffff, v14
	v_cmp_eq_u32_e32 vcc, 0, v51
	v_cndmask_b32_e64 v2, 0, v2, s[28:29]
	v_mov_b32_e32 v6, 0x78
	v_or_b32_e32 v5, 0x800000, v1
	v_cndmask_b32_e32 v54, v2, v6, vcc
	v_cndmask_b32_e32 v2, v5, v1, vcc
	v_add_u32_e32 v1, 20, v54
	v_lshlrev_b64 v[5:6], v1, -1
	v_add_u32_e32 v1, 19, v54
	v_lshlrev_b64 v[14:15], v1, 1
	v_bfi_b32 v6, v6, 0, 0
	v_bfi_b32 v5, v5, 0, v2
	v_cmp_eq_u64_e64 s[28:29], v[5:6], v[14:15]
	v_lshrrev_b64 v[14:15], v54, v[2:3]
	v_mov_b32_e32 v16, v15
	v_mov_b32_e32 v15, v14
	s_and_saveexec_b64 s[48:49], s[28:29]
; %bb.6049:                             ;   in Loop: Header=BB4_5745 Depth=3
	v_bfe_u32 v1, v14, 20, 1
	v_add_co_u32_e64 v1, s[28:29], v14, v1
	v_add_co_u32_e64 v15, s[28:29], -1, v1
; %bb.6050:                             ;   in Loop: Header=BB4_5745 Depth=3
	s_or_b64 exec, exec, s[48:49]
	v_add_u32_e32 v1, 0xffffff81, v51
	v_mov_b32_e32 v2, 0xffffff82
	v_cndmask_b32_e32 v1, v1, v2, vcc
	v_lshrrev_b32_e32 v2, 23, v14
	v_add3_u32 v51, v54, v1, v2
	v_add_u32_e32 v1, 6, v51
	v_and_b32_e32 v2, 0xfffff, v15
	v_add_u32_e32 v2, v2, v14
	v_cmp_ne_u32_e32 vcc, 0, v1
                                        ; implicit-def: $vgpr14_vgpr15
                                        ; implicit-def: $vgpr16
	s_and_saveexec_b64 s[28:29], vcc
	s_xor_b64 s[28:29], exec, s[28:29]
; %bb.6051:                             ;   in Loop: Header=BB4_5745 Depth=3
	v_cmp_lt_u64_e32 vcc, s[88:89], v[2:3]
	v_add_u32_e32 v5, 7, v51
	v_cndmask_b32_e32 v16, v1, v5, vcc
	v_cndmask_b32_e64 v1, 0, 1, vcc
	v_lshrrev_b64 v[14:15], v1, v[2:3]
; %bb.6052:                             ;   in Loop: Header=BB4_5745 Depth=3
	s_andn2_saveexec_b64 s[28:29], s[28:29]
; %bb.6053:                             ;   in Loop: Header=BB4_5745 Depth=3
	v_mov_b32_e32 v15, v3
	v_bfe_u32 v16, v2, 23, 1
	v_mov_b32_e32 v14, v2
; %bb.6054:                             ;   in Loop: Header=BB4_5745 Depth=3
	s_or_b64 exec, exec, s[28:29]
	v_lshrrev_b64 v[1:2], 20, v[14:15]
	v_cmp_gt_i32_e32 vcc, 16, v16
	v_cndmask_b32_e32 v15, 0, v2, vcc
	v_cndmask_b32_e32 v14, 7, v1, vcc
	v_cmp_ne_u64_e32 vcc, 0, v[14:15]
	v_cmp_ne_u32_e64 s[28:29], 0, v16
	s_or_b64 s[28:29], s[28:29], vcc
                                        ; implicit-def: $vgpr54
	s_and_saveexec_b64 s[44:45], s[28:29]
	s_xor_b64 s[28:29], exec, s[44:45]
; %bb.6055:                             ;   in Loop: Header=BB4_5745 Depth=3
	v_min_i32_e32 v1, 15, v16
	v_lshl_or_b32 v1, v1, 3, v50
	v_and_or_b32 v54, v14, 7, v1
                                        ; implicit-def: $vgpr50
; %bb.6056:                             ;   in Loop: Header=BB4_5745 Depth=3
	s_andn2_saveexec_b64 s[28:29], s[28:29]
; %bb.6057:                             ;   in Loop: Header=BB4_5745 Depth=3
	v_mov_b32_e32 v54, v50
; %bb.6058:                             ;   in Loop: Header=BB4_5745 Depth=3
	s_or_b64 exec, exec, s[28:29]
.LBB4_6059:                             ;   in Loop: Header=BB4_5745 Depth=3
	s_or_b64 exec, exec, s[38:39]
                                        ; implicit-def: $vgpr50
.LBB4_6060:                             ;   in Loop: Header=BB4_5745 Depth=3
	s_andn2_saveexec_b64 s[28:29], s[36:37]
; %bb.6061:                             ;   in Loop: Header=BB4_5745 Depth=3
	v_or_b32_e32 v54, 0x7e, v50
; %bb.6062:                             ;   in Loop: Header=BB4_5745 Depth=3
	s_or_b64 exec, exec, s[28:29]
                                        ; implicit-def: $vgpr14
.LBB4_6063:                             ;   in Loop: Header=BB4_5745 Depth=3
	s_andn2_saveexec_b64 s[28:29], s[34:35]
; %bb.6064:                             ;   in Loop: Header=BB4_5745 Depth=3
	v_or_b32_sdwa v54, v14, s71 dst_sel:DWORD dst_unused:UNUSED_PAD src0_sel:BYTE_3 src1_sel:DWORD
; %bb.6065:                             ;   in Loop: Header=BB4_5745 Depth=3
	s_or_b64 exec, exec, s[28:29]
	v_and_b32_e32 v2, 0xff, v52
	v_cmp_ne_u16_e32 vcc, 0, v2
	v_mov_b32_e32 v14, 0
	v_mov_b32_e32 v15, 0
	s_and_saveexec_b64 s[28:29], vcc
	s_cbranch_execz .LBB4_6071
; %bb.6066:                             ;   in Loop: Header=BB4_5745 Depth=3
	v_cmp_ne_u16_e32 vcc, s70, v2
	v_bfrev_b32_e32 v15, 1
	s_and_saveexec_b64 s[34:35], vcc
	s_cbranch_execz .LBB4_6070
; %bb.6067:                             ;   in Loop: Header=BB4_5745 Depth=3
	v_and_b32_e32 v1, 0x7f, v52
	v_cmp_ne_u32_e32 vcc, s71, v1
	v_mov_b32_e32 v15, 0x7f800001
	s_and_saveexec_b64 s[36:37], vcc
	s_cbranch_execz .LBB4_6069
; %bb.6068:                             ;   in Loop: Header=BB4_5745 Depth=3
	v_and_b32_e32 v5, 7, v2
	v_lshrrev_b32_e32 v6, 3, v1
	v_cmp_gt_u32_e32 vcc, 8, v1
	v_ffbh_u32_e32 v1, v5
	v_min_u32_e32 v15, 32, v1
	v_subrev_u32_e32 v1, 28, v15
	v_lshlrev_b64 v[1:2], v1, v[2:3]
	v_sub_u32_e32 v2, 29, v15
	v_and_b32_e32 v1, 7, v1
	v_cndmask_b32_e32 v2, v6, v2, vcc
	v_cndmask_b32_e32 v1, v5, v1, vcc
	v_lshlrev_b32_e32 v5, 24, v52
	v_lshlrev_b32_e32 v1, 20, v1
	v_and_b32_e32 v5, 0x80000000, v5
	v_lshl_add_u32 v2, v2, 23, v0
	v_or3_b32 v15, v5, v2, v1
.LBB4_6069:                             ;   in Loop: Header=BB4_5745 Depth=3
	s_or_b64 exec, exec, s[36:37]
.LBB4_6070:                             ;   in Loop: Header=BB4_5745 Depth=3
	s_or_b64 exec, exec, s[34:35]
.LBB4_6071:                             ;   in Loop: Header=BB4_5745 Depth=3
	s_or_b64 exec, exec, s[28:29]
	v_and_b32_e32 v2, 0xff, v37
	v_cmp_ne_u16_e32 vcc, 0, v2
	s_and_saveexec_b64 s[28:29], vcc
	s_cbranch_execz .LBB4_6077
; %bb.6072:                             ;   in Loop: Header=BB4_5745 Depth=3
	v_cmp_ne_u16_e32 vcc, s70, v2
	v_bfrev_b32_e32 v14, 1
	s_and_saveexec_b64 s[34:35], vcc
	s_cbranch_execz .LBB4_6076
; %bb.6073:                             ;   in Loop: Header=BB4_5745 Depth=3
	v_and_b32_e32 v1, 0x7f, v37
	v_cmp_ne_u32_e32 vcc, s71, v1
	v_mov_b32_e32 v14, 0x7f800001
	s_and_saveexec_b64 s[36:37], vcc
	s_cbranch_execz .LBB4_6075
; %bb.6074:                             ;   in Loop: Header=BB4_5745 Depth=3
	v_and_b32_e32 v5, 7, v2
	v_lshrrev_b32_e32 v6, 3, v1
	v_cmp_gt_u32_e32 vcc, 8, v1
	v_ffbh_u32_e32 v1, v5
	v_min_u32_e32 v14, 32, v1
	v_subrev_u32_e32 v1, 28, v14
	v_lshlrev_b64 v[1:2], v1, v[2:3]
	v_sub_u32_e32 v2, 29, v14
	v_and_b32_e32 v1, 7, v1
	v_cndmask_b32_e32 v2, v6, v2, vcc
	v_cndmask_b32_e32 v1, v5, v1, vcc
	v_lshlrev_b32_e32 v5, 24, v37
	v_lshlrev_b32_e32 v1, 20, v1
	v_and_b32_e32 v5, 0x80000000, v5
	v_lshl_add_u32 v2, v2, 23, v0
	v_or3_b32 v14, v5, v2, v1
.LBB4_6075:                             ;   in Loop: Header=BB4_5745 Depth=3
	s_or_b64 exec, exec, s[36:37]
.LBB4_6076:                             ;   in Loop: Header=BB4_5745 Depth=3
	s_or_b64 exec, exec, s[34:35]
.LBB4_6077:                             ;   in Loop: Header=BB4_5745 Depth=3
	s_or_b64 exec, exec, s[28:29]
	v_mul_f32_e32 v14, v15, v14
	v_and_b32_e32 v2, 0x7f800000, v14
	v_cmp_ne_u64_e32 vcc, s[62:63], v[2:3]
                                        ; implicit-def: $vgpr37
	s_and_saveexec_b64 s[28:29], vcc
	s_xor_b64 s[34:35], exec, s[28:29]
	s_cbranch_execz .LBB4_6095
; %bb.6078:                             ;   in Loop: Header=BB4_5745 Depth=3
	v_and_b32_e32 v2, 0x7fffffff, v14
	v_cmp_gt_u64_e32 vcc, s[72:73], v[2:3]
	v_and_b32_sdwa v50, v14, s70 dst_sel:DWORD dst_unused:UNUSED_PAD src0_sel:BYTE_3 src1_sel:DWORD
                                        ; implicit-def: $vgpr37
	s_and_saveexec_b64 s[28:29], vcc
	s_xor_b64 s[36:37], exec, s[28:29]
	s_cbranch_execz .LBB4_6092
; %bb.6079:                             ;   in Loop: Header=BB4_5745 Depth=3
	v_cmp_ne_u32_e32 vcc, 0, v14
	v_mov_b32_e32 v37, 0
	s_and_saveexec_b64 s[38:39], vcc
	s_cbranch_execz .LBB4_6091
; %bb.6080:                             ;   in Loop: Header=BB4_5745 Depth=3
	v_bfe_u32 v37, v14, 23, 8
	v_cmp_gt_u32_e64 s[28:29], s80, v37
	v_sub_u32_e32 v2, 0x79, v37
	v_and_b32_e32 v1, 0x7fffff, v14
	v_cmp_eq_u32_e32 vcc, 0, v37
	v_cndmask_b32_e64 v2, 0, v2, s[28:29]
	v_mov_b32_e32 v6, 0x78
	v_or_b32_e32 v5, 0x800000, v1
	v_cndmask_b32_e32 v51, v2, v6, vcc
	v_cndmask_b32_e32 v2, v5, v1, vcc
	v_add_u32_e32 v1, 20, v51
	v_lshlrev_b64 v[5:6], v1, -1
	v_add_u32_e32 v1, 19, v51
	v_lshlrev_b64 v[14:15], v1, 1
	v_bfi_b32 v6, v6, 0, 0
	v_bfi_b32 v5, v5, 0, v2
	v_cmp_eq_u64_e64 s[28:29], v[5:6], v[14:15]
	v_lshrrev_b64 v[14:15], v51, v[2:3]
	v_mov_b32_e32 v16, v15
	v_mov_b32_e32 v15, v14
	s_and_saveexec_b64 s[48:49], s[28:29]
; %bb.6081:                             ;   in Loop: Header=BB4_5745 Depth=3
	v_bfe_u32 v1, v14, 20, 1
	v_add_co_u32_e64 v1, s[28:29], v14, v1
	v_add_co_u32_e64 v15, s[28:29], -1, v1
; %bb.6082:                             ;   in Loop: Header=BB4_5745 Depth=3
	s_or_b64 exec, exec, s[48:49]
	v_add_u32_e32 v1, 0xffffff81, v37
	v_mov_b32_e32 v2, 0xffffff82
	v_cndmask_b32_e32 v1, v1, v2, vcc
	v_lshrrev_b32_e32 v2, 23, v14
	v_add3_u32 v37, v51, v1, v2
	v_add_u32_e32 v1, 6, v37
	v_and_b32_e32 v2, 0xfffff, v15
	v_add_u32_e32 v2, v2, v14
	v_cmp_ne_u32_e32 vcc, 0, v1
                                        ; implicit-def: $vgpr14_vgpr15
                                        ; implicit-def: $vgpr16
	s_and_saveexec_b64 s[28:29], vcc
	s_xor_b64 s[28:29], exec, s[28:29]
; %bb.6083:                             ;   in Loop: Header=BB4_5745 Depth=3
	v_cmp_lt_u64_e32 vcc, s[88:89], v[2:3]
	v_add_u32_e32 v5, 7, v37
	v_cndmask_b32_e32 v16, v1, v5, vcc
	v_cndmask_b32_e64 v1, 0, 1, vcc
	v_lshrrev_b64 v[14:15], v1, v[2:3]
; %bb.6084:                             ;   in Loop: Header=BB4_5745 Depth=3
	s_andn2_saveexec_b64 s[28:29], s[28:29]
; %bb.6085:                             ;   in Loop: Header=BB4_5745 Depth=3
	v_mov_b32_e32 v15, v3
	v_bfe_u32 v16, v2, 23, 1
	v_mov_b32_e32 v14, v2
; %bb.6086:                             ;   in Loop: Header=BB4_5745 Depth=3
	s_or_b64 exec, exec, s[28:29]
	v_lshrrev_b64 v[1:2], 20, v[14:15]
	v_cmp_gt_i32_e32 vcc, 16, v16
	v_cndmask_b32_e32 v15, 0, v2, vcc
	v_cndmask_b32_e32 v14, 7, v1, vcc
	v_cmp_ne_u64_e32 vcc, 0, v[14:15]
	v_cmp_ne_u32_e64 s[28:29], 0, v16
	s_or_b64 s[28:29], s[28:29], vcc
                                        ; implicit-def: $vgpr37
	s_and_saveexec_b64 s[44:45], s[28:29]
	s_xor_b64 s[28:29], exec, s[44:45]
; %bb.6087:                             ;   in Loop: Header=BB4_5745 Depth=3
	v_min_i32_e32 v1, 15, v16
	v_lshl_or_b32 v1, v1, 3, v50
	v_and_or_b32 v37, v14, 7, v1
                                        ; implicit-def: $vgpr50
; %bb.6088:                             ;   in Loop: Header=BB4_5745 Depth=3
	s_andn2_saveexec_b64 s[28:29], s[28:29]
; %bb.6089:                             ;   in Loop: Header=BB4_5745 Depth=3
	v_mov_b32_e32 v37, v50
; %bb.6090:                             ;   in Loop: Header=BB4_5745 Depth=3
	s_or_b64 exec, exec, s[28:29]
.LBB4_6091:                             ;   in Loop: Header=BB4_5745 Depth=3
	s_or_b64 exec, exec, s[38:39]
                                        ; implicit-def: $vgpr50
.LBB4_6092:                             ;   in Loop: Header=BB4_5745 Depth=3
	s_andn2_saveexec_b64 s[28:29], s[36:37]
; %bb.6093:                             ;   in Loop: Header=BB4_5745 Depth=3
	v_or_b32_e32 v37, 0x7e, v50
; %bb.6094:                             ;   in Loop: Header=BB4_5745 Depth=3
	s_or_b64 exec, exec, s[28:29]
                                        ; implicit-def: $vgpr14
.LBB4_6095:                             ;   in Loop: Header=BB4_5745 Depth=3
	s_andn2_saveexec_b64 s[28:29], s[34:35]
; %bb.6096:                             ;   in Loop: Header=BB4_5745 Depth=3
	v_or_b32_sdwa v37, v14, s71 dst_sel:DWORD dst_unused:UNUSED_PAD src0_sel:BYTE_3 src1_sel:DWORD
; %bb.6097:                             ;   in Loop: Header=BB4_5745 Depth=3
	s_or_b64 exec, exec, s[28:29]
	v_and_b32_e32 v2, 0xff, v35
	v_cmp_ne_u16_e32 vcc, 0, v2
	v_mov_b32_e32 v14, 0
	v_mov_b32_e32 v15, 0
	s_and_saveexec_b64 s[28:29], vcc
	s_cbranch_execz .LBB4_6103
; %bb.6098:                             ;   in Loop: Header=BB4_5745 Depth=3
	v_cmp_ne_u16_e32 vcc, s70, v2
	v_bfrev_b32_e32 v15, 1
	s_and_saveexec_b64 s[34:35], vcc
	s_cbranch_execz .LBB4_6102
; %bb.6099:                             ;   in Loop: Header=BB4_5745 Depth=3
	v_and_b32_e32 v1, 0x7f, v35
	v_cmp_ne_u32_e32 vcc, s71, v1
	v_mov_b32_e32 v15, 0x7f800001
	s_and_saveexec_b64 s[36:37], vcc
	s_cbranch_execz .LBB4_6101
; %bb.6100:                             ;   in Loop: Header=BB4_5745 Depth=3
	v_and_b32_e32 v5, 7, v2
	v_lshrrev_b32_e32 v6, 3, v1
	v_cmp_gt_u32_e32 vcc, 8, v1
	v_ffbh_u32_e32 v1, v5
	v_min_u32_e32 v15, 32, v1
	v_subrev_u32_e32 v1, 28, v15
	v_lshlrev_b64 v[1:2], v1, v[2:3]
	v_sub_u32_e32 v2, 29, v15
	v_and_b32_e32 v1, 7, v1
	v_cndmask_b32_e32 v2, v6, v2, vcc
	v_cndmask_b32_e32 v1, v5, v1, vcc
	v_lshlrev_b32_e32 v5, 24, v35
	v_lshlrev_b32_e32 v1, 20, v1
	v_and_b32_e32 v5, 0x80000000, v5
	v_lshl_add_u32 v2, v2, 23, v0
	v_or3_b32 v15, v5, v2, v1
.LBB4_6101:                             ;   in Loop: Header=BB4_5745 Depth=3
	s_or_b64 exec, exec, s[36:37]
.LBB4_6102:                             ;   in Loop: Header=BB4_5745 Depth=3
	s_or_b64 exec, exec, s[34:35]
.LBB4_6103:                             ;   in Loop: Header=BB4_5745 Depth=3
	s_or_b64 exec, exec, s[28:29]
	v_and_b32_e32 v2, 0xff, v34
	v_cmp_ne_u16_e32 vcc, 0, v2
	s_and_saveexec_b64 s[28:29], vcc
	s_cbranch_execz .LBB4_6109
; %bb.6104:                             ;   in Loop: Header=BB4_5745 Depth=3
	v_cmp_ne_u16_e32 vcc, s70, v2
	v_bfrev_b32_e32 v14, 1
	s_and_saveexec_b64 s[34:35], vcc
	s_cbranch_execz .LBB4_6108
; %bb.6105:                             ;   in Loop: Header=BB4_5745 Depth=3
	v_and_b32_e32 v1, 0x7f, v34
	v_cmp_ne_u32_e32 vcc, s71, v1
	v_mov_b32_e32 v14, 0x7f800001
	s_and_saveexec_b64 s[36:37], vcc
	s_cbranch_execz .LBB4_6107
; %bb.6106:                             ;   in Loop: Header=BB4_5745 Depth=3
	v_and_b32_e32 v5, 7, v2
	v_lshrrev_b32_e32 v6, 3, v1
	v_cmp_gt_u32_e32 vcc, 8, v1
	v_ffbh_u32_e32 v1, v5
	v_min_u32_e32 v14, 32, v1
	v_subrev_u32_e32 v1, 28, v14
	v_lshlrev_b64 v[1:2], v1, v[2:3]
	v_sub_u32_e32 v2, 29, v14
	v_and_b32_e32 v1, 7, v1
	v_cndmask_b32_e32 v2, v6, v2, vcc
	v_cndmask_b32_e32 v1, v5, v1, vcc
	v_lshlrev_b32_e32 v5, 24, v34
	v_lshlrev_b32_e32 v1, 20, v1
	v_and_b32_e32 v5, 0x80000000, v5
	v_lshl_add_u32 v2, v2, 23, v0
	v_or3_b32 v14, v5, v2, v1
.LBB4_6107:                             ;   in Loop: Header=BB4_5745 Depth=3
	s_or_b64 exec, exec, s[36:37]
.LBB4_6108:                             ;   in Loop: Header=BB4_5745 Depth=3
	s_or_b64 exec, exec, s[34:35]
.LBB4_6109:                             ;   in Loop: Header=BB4_5745 Depth=3
	s_or_b64 exec, exec, s[28:29]
	v_mul_f32_e32 v14, v15, v14
	v_and_b32_e32 v2, 0x7f800000, v14
	v_cmp_ne_u64_e32 vcc, s[62:63], v[2:3]
                                        ; implicit-def: $vgpr34
	s_and_saveexec_b64 s[28:29], vcc
	s_xor_b64 s[34:35], exec, s[28:29]
	s_cbranch_execz .LBB4_6127
; %bb.6110:                             ;   in Loop: Header=BB4_5745 Depth=3
	v_and_b32_e32 v2, 0x7fffffff, v14
	v_cmp_gt_u64_e32 vcc, s[72:73], v[2:3]
	v_and_b32_sdwa v35, v14, s70 dst_sel:DWORD dst_unused:UNUSED_PAD src0_sel:BYTE_3 src1_sel:DWORD
                                        ; implicit-def: $vgpr34
	s_and_saveexec_b64 s[28:29], vcc
	s_xor_b64 s[36:37], exec, s[28:29]
	s_cbranch_execz .LBB4_6124
; %bb.6111:                             ;   in Loop: Header=BB4_5745 Depth=3
	v_cmp_ne_u32_e32 vcc, 0, v14
	v_mov_b32_e32 v34, 0
	s_and_saveexec_b64 s[38:39], vcc
	s_cbranch_execz .LBB4_6123
; %bb.6112:                             ;   in Loop: Header=BB4_5745 Depth=3
	v_bfe_u32 v34, v14, 23, 8
	v_cmp_gt_u32_e64 s[28:29], s80, v34
	v_sub_u32_e32 v2, 0x79, v34
	v_and_b32_e32 v1, 0x7fffff, v14
	v_cmp_eq_u32_e32 vcc, 0, v34
	v_cndmask_b32_e64 v2, 0, v2, s[28:29]
	v_mov_b32_e32 v6, 0x78
	v_or_b32_e32 v5, 0x800000, v1
	v_cndmask_b32_e32 v50, v2, v6, vcc
	v_cndmask_b32_e32 v2, v5, v1, vcc
	v_add_u32_e32 v1, 20, v50
	v_lshlrev_b64 v[5:6], v1, -1
	v_add_u32_e32 v1, 19, v50
	v_lshlrev_b64 v[14:15], v1, 1
	v_bfi_b32 v6, v6, 0, 0
	v_bfi_b32 v5, v5, 0, v2
	v_cmp_eq_u64_e64 s[28:29], v[5:6], v[14:15]
	v_lshrrev_b64 v[14:15], v50, v[2:3]
	v_mov_b32_e32 v16, v15
	v_mov_b32_e32 v15, v14
	s_and_saveexec_b64 s[48:49], s[28:29]
; %bb.6113:                             ;   in Loop: Header=BB4_5745 Depth=3
	v_bfe_u32 v1, v14, 20, 1
	v_add_co_u32_e64 v1, s[28:29], v14, v1
	v_add_co_u32_e64 v15, s[28:29], -1, v1
; %bb.6114:                             ;   in Loop: Header=BB4_5745 Depth=3
	s_or_b64 exec, exec, s[48:49]
	v_add_u32_e32 v1, 0xffffff81, v34
	v_mov_b32_e32 v2, 0xffffff82
	v_cndmask_b32_e32 v1, v1, v2, vcc
	v_lshrrev_b32_e32 v2, 23, v14
	v_add3_u32 v34, v50, v1, v2
	v_add_u32_e32 v1, 6, v34
	v_and_b32_e32 v2, 0xfffff, v15
	v_add_u32_e32 v2, v2, v14
	v_cmp_ne_u32_e32 vcc, 0, v1
                                        ; implicit-def: $vgpr14_vgpr15
                                        ; implicit-def: $vgpr16
	s_and_saveexec_b64 s[28:29], vcc
	s_xor_b64 s[28:29], exec, s[28:29]
; %bb.6115:                             ;   in Loop: Header=BB4_5745 Depth=3
	v_cmp_lt_u64_e32 vcc, s[88:89], v[2:3]
	v_add_u32_e32 v5, 7, v34
	v_cndmask_b32_e32 v16, v1, v5, vcc
	v_cndmask_b32_e64 v1, 0, 1, vcc
	v_lshrrev_b64 v[14:15], v1, v[2:3]
; %bb.6116:                             ;   in Loop: Header=BB4_5745 Depth=3
	s_andn2_saveexec_b64 s[28:29], s[28:29]
; %bb.6117:                             ;   in Loop: Header=BB4_5745 Depth=3
	v_mov_b32_e32 v15, v3
	v_bfe_u32 v16, v2, 23, 1
	v_mov_b32_e32 v14, v2
; %bb.6118:                             ;   in Loop: Header=BB4_5745 Depth=3
	s_or_b64 exec, exec, s[28:29]
	v_lshrrev_b64 v[1:2], 20, v[14:15]
	v_cmp_gt_i32_e32 vcc, 16, v16
	v_cndmask_b32_e32 v15, 0, v2, vcc
	v_cndmask_b32_e32 v14, 7, v1, vcc
	v_cmp_ne_u64_e32 vcc, 0, v[14:15]
	v_cmp_ne_u32_e64 s[28:29], 0, v16
	s_or_b64 s[28:29], s[28:29], vcc
                                        ; implicit-def: $vgpr34
	s_and_saveexec_b64 s[44:45], s[28:29]
	s_xor_b64 s[28:29], exec, s[44:45]
; %bb.6119:                             ;   in Loop: Header=BB4_5745 Depth=3
	v_min_i32_e32 v1, 15, v16
	v_lshl_or_b32 v1, v1, 3, v35
	v_and_or_b32 v34, v14, 7, v1
                                        ; implicit-def: $vgpr35
; %bb.6120:                             ;   in Loop: Header=BB4_5745 Depth=3
	s_andn2_saveexec_b64 s[28:29], s[28:29]
; %bb.6121:                             ;   in Loop: Header=BB4_5745 Depth=3
	v_mov_b32_e32 v34, v35
; %bb.6122:                             ;   in Loop: Header=BB4_5745 Depth=3
	s_or_b64 exec, exec, s[28:29]
.LBB4_6123:                             ;   in Loop: Header=BB4_5745 Depth=3
	s_or_b64 exec, exec, s[38:39]
                                        ; implicit-def: $vgpr35
.LBB4_6124:                             ;   in Loop: Header=BB4_5745 Depth=3
	s_andn2_saveexec_b64 s[28:29], s[36:37]
; %bb.6125:                             ;   in Loop: Header=BB4_5745 Depth=3
	v_or_b32_e32 v34, 0x7e, v35
; %bb.6126:                             ;   in Loop: Header=BB4_5745 Depth=3
	s_or_b64 exec, exec, s[28:29]
                                        ; implicit-def: $vgpr14
.LBB4_6127:                             ;   in Loop: Header=BB4_5745 Depth=3
	s_andn2_saveexec_b64 s[28:29], s[34:35]
; %bb.6128:                             ;   in Loop: Header=BB4_5745 Depth=3
	v_or_b32_sdwa v34, v14, s71 dst_sel:DWORD dst_unused:UNUSED_PAD src0_sel:BYTE_3 src1_sel:DWORD
; %bb.6129:                             ;   in Loop: Header=BB4_5745 Depth=3
	s_or_b64 exec, exec, s[28:29]
	v_and_b32_e32 v2, 0xff, v30
	v_cmp_ne_u16_e32 vcc, 0, v2
	v_mov_b32_e32 v14, 0
	v_mov_b32_e32 v15, 0
	s_and_saveexec_b64 s[28:29], vcc
	s_cbranch_execz .LBB4_6135
; %bb.6130:                             ;   in Loop: Header=BB4_5745 Depth=3
	v_cmp_ne_u16_e32 vcc, s70, v2
	v_bfrev_b32_e32 v15, 1
	s_and_saveexec_b64 s[34:35], vcc
	s_cbranch_execz .LBB4_6134
; %bb.6131:                             ;   in Loop: Header=BB4_5745 Depth=3
	v_and_b32_e32 v1, 0x7f, v30
	v_cmp_ne_u32_e32 vcc, s71, v1
	v_mov_b32_e32 v15, 0x7f800001
	s_and_saveexec_b64 s[36:37], vcc
	s_cbranch_execz .LBB4_6133
; %bb.6132:                             ;   in Loop: Header=BB4_5745 Depth=3
	v_and_b32_e32 v5, 7, v2
	v_lshrrev_b32_e32 v6, 3, v1
	v_cmp_gt_u32_e32 vcc, 8, v1
	v_ffbh_u32_e32 v1, v5
	v_min_u32_e32 v15, 32, v1
	v_subrev_u32_e32 v1, 28, v15
	v_lshlrev_b64 v[1:2], v1, v[2:3]
	v_sub_u32_e32 v2, 29, v15
	v_and_b32_e32 v1, 7, v1
	v_cndmask_b32_e32 v2, v6, v2, vcc
	v_cndmask_b32_e32 v1, v5, v1, vcc
	v_lshlrev_b32_e32 v5, 24, v30
	v_lshlrev_b32_e32 v1, 20, v1
	v_and_b32_e32 v5, 0x80000000, v5
	v_lshl_add_u32 v2, v2, 23, v0
	v_or3_b32 v15, v5, v2, v1
.LBB4_6133:                             ;   in Loop: Header=BB4_5745 Depth=3
	s_or_b64 exec, exec, s[36:37]
.LBB4_6134:                             ;   in Loop: Header=BB4_5745 Depth=3
	s_or_b64 exec, exec, s[34:35]
.LBB4_6135:                             ;   in Loop: Header=BB4_5745 Depth=3
	s_or_b64 exec, exec, s[28:29]
	v_and_b32_e32 v2, 0xff, v29
	v_cmp_ne_u16_e32 vcc, 0, v2
	s_and_saveexec_b64 s[28:29], vcc
	s_cbranch_execz .LBB4_6141
; %bb.6136:                             ;   in Loop: Header=BB4_5745 Depth=3
	v_cmp_ne_u16_e32 vcc, s70, v2
	v_bfrev_b32_e32 v14, 1
	s_and_saveexec_b64 s[34:35], vcc
	s_cbranch_execz .LBB4_6140
; %bb.6137:                             ;   in Loop: Header=BB4_5745 Depth=3
	v_and_b32_e32 v1, 0x7f, v29
	v_cmp_ne_u32_e32 vcc, s71, v1
	v_mov_b32_e32 v14, 0x7f800001
	s_and_saveexec_b64 s[36:37], vcc
	s_cbranch_execz .LBB4_6139
; %bb.6138:                             ;   in Loop: Header=BB4_5745 Depth=3
	v_and_b32_e32 v5, 7, v2
	v_lshrrev_b32_e32 v6, 3, v1
	v_cmp_gt_u32_e32 vcc, 8, v1
	v_ffbh_u32_e32 v1, v5
	v_min_u32_e32 v14, 32, v1
	v_subrev_u32_e32 v1, 28, v14
	v_lshlrev_b64 v[1:2], v1, v[2:3]
	v_sub_u32_e32 v2, 29, v14
	v_and_b32_e32 v1, 7, v1
	v_cndmask_b32_e32 v2, v6, v2, vcc
	v_cndmask_b32_e32 v1, v5, v1, vcc
	v_lshlrev_b32_e32 v5, 24, v29
	v_lshlrev_b32_e32 v1, 20, v1
	v_and_b32_e32 v5, 0x80000000, v5
	v_lshl_add_u32 v2, v2, 23, v0
	v_or3_b32 v14, v5, v2, v1
.LBB4_6139:                             ;   in Loop: Header=BB4_5745 Depth=3
	s_or_b64 exec, exec, s[36:37]
.LBB4_6140:                             ;   in Loop: Header=BB4_5745 Depth=3
	s_or_b64 exec, exec, s[34:35]
.LBB4_6141:                             ;   in Loop: Header=BB4_5745 Depth=3
	s_or_b64 exec, exec, s[28:29]
	v_mul_f32_e32 v14, v15, v14
	v_and_b32_e32 v2, 0x7f800000, v14
	v_cmp_ne_u64_e32 vcc, s[62:63], v[2:3]
                                        ; implicit-def: $vgpr29
	s_and_saveexec_b64 s[28:29], vcc
	s_xor_b64 s[34:35], exec, s[28:29]
	s_cbranch_execz .LBB4_6159
; %bb.6142:                             ;   in Loop: Header=BB4_5745 Depth=3
	v_and_b32_e32 v2, 0x7fffffff, v14
	v_cmp_gt_u64_e32 vcc, s[72:73], v[2:3]
	v_and_b32_sdwa v30, v14, s70 dst_sel:DWORD dst_unused:UNUSED_PAD src0_sel:BYTE_3 src1_sel:DWORD
                                        ; implicit-def: $vgpr29
	s_and_saveexec_b64 s[28:29], vcc
	s_xor_b64 s[36:37], exec, s[28:29]
	s_cbranch_execz .LBB4_6156
; %bb.6143:                             ;   in Loop: Header=BB4_5745 Depth=3
	v_cmp_ne_u32_e32 vcc, 0, v14
	v_mov_b32_e32 v29, 0
	s_and_saveexec_b64 s[38:39], vcc
	s_cbranch_execz .LBB4_6155
; %bb.6144:                             ;   in Loop: Header=BB4_5745 Depth=3
	v_bfe_u32 v29, v14, 23, 8
	v_cmp_gt_u32_e64 s[28:29], s80, v29
	v_sub_u32_e32 v2, 0x79, v29
	v_and_b32_e32 v1, 0x7fffff, v14
	v_cmp_eq_u32_e32 vcc, 0, v29
	v_cndmask_b32_e64 v2, 0, v2, s[28:29]
	v_mov_b32_e32 v6, 0x78
	v_or_b32_e32 v5, 0x800000, v1
	v_cndmask_b32_e32 v35, v2, v6, vcc
	v_cndmask_b32_e32 v2, v5, v1, vcc
	v_add_u32_e32 v1, 20, v35
	v_lshlrev_b64 v[5:6], v1, -1
	v_add_u32_e32 v1, 19, v35
	v_lshlrev_b64 v[14:15], v1, 1
	v_bfi_b32 v6, v6, 0, 0
	v_bfi_b32 v5, v5, 0, v2
	v_cmp_eq_u64_e64 s[28:29], v[5:6], v[14:15]
	v_lshrrev_b64 v[14:15], v35, v[2:3]
	v_mov_b32_e32 v16, v15
	v_mov_b32_e32 v15, v14
	s_and_saveexec_b64 s[48:49], s[28:29]
; %bb.6145:                             ;   in Loop: Header=BB4_5745 Depth=3
	v_bfe_u32 v1, v14, 20, 1
	v_add_co_u32_e64 v1, s[28:29], v14, v1
	v_add_co_u32_e64 v15, s[28:29], -1, v1
; %bb.6146:                             ;   in Loop: Header=BB4_5745 Depth=3
	s_or_b64 exec, exec, s[48:49]
	v_add_u32_e32 v1, 0xffffff81, v29
	v_mov_b32_e32 v2, 0xffffff82
	v_cndmask_b32_e32 v1, v1, v2, vcc
	v_lshrrev_b32_e32 v2, 23, v14
	v_add3_u32 v29, v35, v1, v2
	v_add_u32_e32 v1, 6, v29
	v_and_b32_e32 v2, 0xfffff, v15
	v_add_u32_e32 v2, v2, v14
	v_cmp_ne_u32_e32 vcc, 0, v1
                                        ; implicit-def: $vgpr14_vgpr15
                                        ; implicit-def: $vgpr16
	s_and_saveexec_b64 s[28:29], vcc
	s_xor_b64 s[28:29], exec, s[28:29]
; %bb.6147:                             ;   in Loop: Header=BB4_5745 Depth=3
	v_cmp_lt_u64_e32 vcc, s[88:89], v[2:3]
	v_add_u32_e32 v5, 7, v29
	v_cndmask_b32_e32 v16, v1, v5, vcc
	v_cndmask_b32_e64 v1, 0, 1, vcc
	v_lshrrev_b64 v[14:15], v1, v[2:3]
; %bb.6148:                             ;   in Loop: Header=BB4_5745 Depth=3
	s_andn2_saveexec_b64 s[28:29], s[28:29]
; %bb.6149:                             ;   in Loop: Header=BB4_5745 Depth=3
	v_mov_b32_e32 v15, v3
	v_bfe_u32 v16, v2, 23, 1
	v_mov_b32_e32 v14, v2
; %bb.6150:                             ;   in Loop: Header=BB4_5745 Depth=3
	s_or_b64 exec, exec, s[28:29]
	v_lshrrev_b64 v[1:2], 20, v[14:15]
	v_cmp_gt_i32_e32 vcc, 16, v16
	v_cndmask_b32_e32 v15, 0, v2, vcc
	v_cndmask_b32_e32 v14, 7, v1, vcc
	v_cmp_ne_u64_e32 vcc, 0, v[14:15]
	v_cmp_ne_u32_e64 s[28:29], 0, v16
	s_or_b64 s[28:29], s[28:29], vcc
                                        ; implicit-def: $vgpr29
	s_and_saveexec_b64 s[44:45], s[28:29]
	s_xor_b64 s[28:29], exec, s[44:45]
; %bb.6151:                             ;   in Loop: Header=BB4_5745 Depth=3
	v_min_i32_e32 v1, 15, v16
	v_lshl_or_b32 v1, v1, 3, v30
	v_and_or_b32 v29, v14, 7, v1
                                        ; implicit-def: $vgpr30
; %bb.6152:                             ;   in Loop: Header=BB4_5745 Depth=3
	s_andn2_saveexec_b64 s[28:29], s[28:29]
; %bb.6153:                             ;   in Loop: Header=BB4_5745 Depth=3
	v_mov_b32_e32 v29, v30
; %bb.6154:                             ;   in Loop: Header=BB4_5745 Depth=3
	s_or_b64 exec, exec, s[28:29]
.LBB4_6155:                             ;   in Loop: Header=BB4_5745 Depth=3
	s_or_b64 exec, exec, s[38:39]
                                        ; implicit-def: $vgpr30
.LBB4_6156:                             ;   in Loop: Header=BB4_5745 Depth=3
	s_andn2_saveexec_b64 s[28:29], s[36:37]
; %bb.6157:                             ;   in Loop: Header=BB4_5745 Depth=3
	v_or_b32_e32 v29, 0x7e, v30
; %bb.6158:                             ;   in Loop: Header=BB4_5745 Depth=3
	s_or_b64 exec, exec, s[28:29]
                                        ; implicit-def: $vgpr14
.LBB4_6159:                             ;   in Loop: Header=BB4_5745 Depth=3
	s_andn2_saveexec_b64 s[28:29], s[34:35]
; %bb.6160:                             ;   in Loop: Header=BB4_5745 Depth=3
	v_or_b32_sdwa v29, v14, s71 dst_sel:DWORD dst_unused:UNUSED_PAD src0_sel:BYTE_3 src1_sel:DWORD
; %bb.6161:                             ;   in Loop: Header=BB4_5745 Depth=3
	s_or_b64 exec, exec, s[28:29]
	v_and_b32_e32 v2, 0xff, v27
	v_cmp_ne_u16_e32 vcc, 0, v2
	v_mov_b32_e32 v14, 0
	v_mov_b32_e32 v15, 0
	s_and_saveexec_b64 s[28:29], vcc
	s_cbranch_execz .LBB4_6167
; %bb.6162:                             ;   in Loop: Header=BB4_5745 Depth=3
	v_cmp_ne_u16_e32 vcc, s70, v2
	v_bfrev_b32_e32 v15, 1
	s_and_saveexec_b64 s[34:35], vcc
	s_cbranch_execz .LBB4_6166
; %bb.6163:                             ;   in Loop: Header=BB4_5745 Depth=3
	v_and_b32_e32 v1, 0x7f, v27
	v_cmp_ne_u32_e32 vcc, s71, v1
	v_mov_b32_e32 v15, 0x7f800001
	s_and_saveexec_b64 s[36:37], vcc
	s_cbranch_execz .LBB4_6165
; %bb.6164:                             ;   in Loop: Header=BB4_5745 Depth=3
	v_and_b32_e32 v5, 7, v2
	v_lshrrev_b32_e32 v6, 3, v1
	v_cmp_gt_u32_e32 vcc, 8, v1
	v_ffbh_u32_e32 v1, v5
	v_min_u32_e32 v15, 32, v1
	v_subrev_u32_e32 v1, 28, v15
	v_lshlrev_b64 v[1:2], v1, v[2:3]
	v_sub_u32_e32 v2, 29, v15
	v_and_b32_e32 v1, 7, v1
	v_cndmask_b32_e32 v2, v6, v2, vcc
	v_cndmask_b32_e32 v1, v5, v1, vcc
	v_lshlrev_b32_e32 v5, 24, v27
	v_lshlrev_b32_e32 v1, 20, v1
	v_and_b32_e32 v5, 0x80000000, v5
	v_lshl_add_u32 v2, v2, 23, v0
	v_or3_b32 v15, v5, v2, v1
.LBB4_6165:                             ;   in Loop: Header=BB4_5745 Depth=3
	s_or_b64 exec, exec, s[36:37]
.LBB4_6166:                             ;   in Loop: Header=BB4_5745 Depth=3
	s_or_b64 exec, exec, s[34:35]
.LBB4_6167:                             ;   in Loop: Header=BB4_5745 Depth=3
	s_or_b64 exec, exec, s[28:29]
	v_and_b32_e32 v2, 0xff, v25
	v_cmp_ne_u16_e32 vcc, 0, v2
	s_and_saveexec_b64 s[28:29], vcc
	s_cbranch_execz .LBB4_6173
; %bb.6168:                             ;   in Loop: Header=BB4_5745 Depth=3
	v_cmp_ne_u16_e32 vcc, s70, v2
	v_bfrev_b32_e32 v14, 1
	s_and_saveexec_b64 s[34:35], vcc
	s_cbranch_execz .LBB4_6172
; %bb.6169:                             ;   in Loop: Header=BB4_5745 Depth=3
	v_and_b32_e32 v1, 0x7f, v25
	v_cmp_ne_u32_e32 vcc, s71, v1
	v_mov_b32_e32 v14, 0x7f800001
	s_and_saveexec_b64 s[36:37], vcc
	s_cbranch_execz .LBB4_6171
; %bb.6170:                             ;   in Loop: Header=BB4_5745 Depth=3
	v_and_b32_e32 v5, 7, v2
	v_lshrrev_b32_e32 v6, 3, v1
	v_cmp_gt_u32_e32 vcc, 8, v1
	v_ffbh_u32_e32 v1, v5
	v_min_u32_e32 v14, 32, v1
	v_subrev_u32_e32 v1, 28, v14
	v_lshlrev_b64 v[1:2], v1, v[2:3]
	v_sub_u32_e32 v2, 29, v14
	v_and_b32_e32 v1, 7, v1
	v_cndmask_b32_e32 v2, v6, v2, vcc
	v_cndmask_b32_e32 v1, v5, v1, vcc
	v_lshlrev_b32_e32 v5, 24, v25
	v_lshlrev_b32_e32 v1, 20, v1
	v_and_b32_e32 v5, 0x80000000, v5
	v_lshl_add_u32 v2, v2, 23, v0
	v_or3_b32 v14, v5, v2, v1
.LBB4_6171:                             ;   in Loop: Header=BB4_5745 Depth=3
	s_or_b64 exec, exec, s[36:37]
.LBB4_6172:                             ;   in Loop: Header=BB4_5745 Depth=3
	s_or_b64 exec, exec, s[34:35]
.LBB4_6173:                             ;   in Loop: Header=BB4_5745 Depth=3
	s_or_b64 exec, exec, s[28:29]
	v_mul_f32_e32 v14, v15, v14
	v_and_b32_e32 v2, 0x7f800000, v14
	v_cmp_ne_u64_e32 vcc, s[62:63], v[2:3]
                                        ; implicit-def: $vgpr25
	s_and_saveexec_b64 s[28:29], vcc
	s_xor_b64 s[34:35], exec, s[28:29]
	s_cbranch_execz .LBB4_6191
; %bb.6174:                             ;   in Loop: Header=BB4_5745 Depth=3
	v_and_b32_e32 v2, 0x7fffffff, v14
	v_cmp_gt_u64_e32 vcc, s[72:73], v[2:3]
	v_and_b32_sdwa v27, v14, s70 dst_sel:DWORD dst_unused:UNUSED_PAD src0_sel:BYTE_3 src1_sel:DWORD
                                        ; implicit-def: $vgpr25
	s_and_saveexec_b64 s[28:29], vcc
	s_xor_b64 s[36:37], exec, s[28:29]
	s_cbranch_execz .LBB4_6188
; %bb.6175:                             ;   in Loop: Header=BB4_5745 Depth=3
	v_cmp_ne_u32_e32 vcc, 0, v14
	v_mov_b32_e32 v25, 0
	s_and_saveexec_b64 s[38:39], vcc
	s_cbranch_execz .LBB4_6187
; %bb.6176:                             ;   in Loop: Header=BB4_5745 Depth=3
	v_bfe_u32 v25, v14, 23, 8
	v_cmp_gt_u32_e64 s[28:29], s80, v25
	v_sub_u32_e32 v2, 0x79, v25
	v_and_b32_e32 v1, 0x7fffff, v14
	v_cmp_eq_u32_e32 vcc, 0, v25
	v_cndmask_b32_e64 v2, 0, v2, s[28:29]
	v_mov_b32_e32 v6, 0x78
	v_or_b32_e32 v5, 0x800000, v1
	v_cndmask_b32_e32 v30, v2, v6, vcc
	v_cndmask_b32_e32 v2, v5, v1, vcc
	v_add_u32_e32 v1, 20, v30
	v_lshlrev_b64 v[5:6], v1, -1
	v_add_u32_e32 v1, 19, v30
	v_lshlrev_b64 v[14:15], v1, 1
	v_bfi_b32 v6, v6, 0, 0
	v_bfi_b32 v5, v5, 0, v2
	v_cmp_eq_u64_e64 s[28:29], v[5:6], v[14:15]
	v_lshrrev_b64 v[14:15], v30, v[2:3]
	v_mov_b32_e32 v16, v15
	v_mov_b32_e32 v15, v14
	s_and_saveexec_b64 s[48:49], s[28:29]
; %bb.6177:                             ;   in Loop: Header=BB4_5745 Depth=3
	v_bfe_u32 v1, v14, 20, 1
	v_add_co_u32_e64 v1, s[28:29], v14, v1
	v_add_co_u32_e64 v15, s[28:29], -1, v1
; %bb.6178:                             ;   in Loop: Header=BB4_5745 Depth=3
	s_or_b64 exec, exec, s[48:49]
	v_add_u32_e32 v1, 0xffffff81, v25
	v_mov_b32_e32 v2, 0xffffff82
	v_cndmask_b32_e32 v1, v1, v2, vcc
	v_lshrrev_b32_e32 v2, 23, v14
	v_add3_u32 v25, v30, v1, v2
	v_add_u32_e32 v1, 6, v25
	v_and_b32_e32 v2, 0xfffff, v15
	v_add_u32_e32 v2, v2, v14
	v_cmp_ne_u32_e32 vcc, 0, v1
                                        ; implicit-def: $vgpr14_vgpr15
                                        ; implicit-def: $vgpr16
	s_and_saveexec_b64 s[28:29], vcc
	s_xor_b64 s[28:29], exec, s[28:29]
; %bb.6179:                             ;   in Loop: Header=BB4_5745 Depth=3
	v_cmp_lt_u64_e32 vcc, s[88:89], v[2:3]
	v_add_u32_e32 v5, 7, v25
	v_cndmask_b32_e32 v16, v1, v5, vcc
	v_cndmask_b32_e64 v1, 0, 1, vcc
	v_lshrrev_b64 v[14:15], v1, v[2:3]
; %bb.6180:                             ;   in Loop: Header=BB4_5745 Depth=3
	s_andn2_saveexec_b64 s[28:29], s[28:29]
; %bb.6181:                             ;   in Loop: Header=BB4_5745 Depth=3
	v_mov_b32_e32 v15, v3
	v_bfe_u32 v16, v2, 23, 1
	v_mov_b32_e32 v14, v2
; %bb.6182:                             ;   in Loop: Header=BB4_5745 Depth=3
	s_or_b64 exec, exec, s[28:29]
	v_lshrrev_b64 v[1:2], 20, v[14:15]
	v_cmp_gt_i32_e32 vcc, 16, v16
	v_cndmask_b32_e32 v15, 0, v2, vcc
	v_cndmask_b32_e32 v14, 7, v1, vcc
	v_cmp_ne_u64_e32 vcc, 0, v[14:15]
	v_cmp_ne_u32_e64 s[28:29], 0, v16
	s_or_b64 s[28:29], s[28:29], vcc
                                        ; implicit-def: $vgpr25
	s_and_saveexec_b64 s[44:45], s[28:29]
	s_xor_b64 s[28:29], exec, s[44:45]
; %bb.6183:                             ;   in Loop: Header=BB4_5745 Depth=3
	v_min_i32_e32 v1, 15, v16
	v_lshl_or_b32 v1, v1, 3, v27
	v_and_or_b32 v25, v14, 7, v1
                                        ; implicit-def: $vgpr27
; %bb.6184:                             ;   in Loop: Header=BB4_5745 Depth=3
	s_andn2_saveexec_b64 s[28:29], s[28:29]
; %bb.6185:                             ;   in Loop: Header=BB4_5745 Depth=3
	v_mov_b32_e32 v25, v27
; %bb.6186:                             ;   in Loop: Header=BB4_5745 Depth=3
	s_or_b64 exec, exec, s[28:29]
.LBB4_6187:                             ;   in Loop: Header=BB4_5745 Depth=3
	s_or_b64 exec, exec, s[38:39]
                                        ; implicit-def: $vgpr27
.LBB4_6188:                             ;   in Loop: Header=BB4_5745 Depth=3
	s_andn2_saveexec_b64 s[28:29], s[36:37]
; %bb.6189:                             ;   in Loop: Header=BB4_5745 Depth=3
	v_or_b32_e32 v25, 0x7e, v27
; %bb.6190:                             ;   in Loop: Header=BB4_5745 Depth=3
	s_or_b64 exec, exec, s[28:29]
                                        ; implicit-def: $vgpr14
.LBB4_6191:                             ;   in Loop: Header=BB4_5745 Depth=3
	s_andn2_saveexec_b64 s[28:29], s[34:35]
; %bb.6192:                             ;   in Loop: Header=BB4_5745 Depth=3
	v_or_b32_sdwa v25, v14, s71 dst_sel:DWORD dst_unused:UNUSED_PAD src0_sel:BYTE_3 src1_sel:DWORD
; %bb.6193:                             ;   in Loop: Header=BB4_5745 Depth=3
	s_or_b64 exec, exec, s[28:29]
	v_and_b32_e32 v2, 0xff, v24
	v_cmp_ne_u16_e32 vcc, 0, v2
	v_mov_b32_e32 v14, 0
	v_mov_b32_e32 v15, 0
	s_and_saveexec_b64 s[28:29], vcc
	s_cbranch_execz .LBB4_6199
; %bb.6194:                             ;   in Loop: Header=BB4_5745 Depth=3
	v_cmp_ne_u16_e32 vcc, s70, v2
	v_bfrev_b32_e32 v15, 1
	s_and_saveexec_b64 s[34:35], vcc
	s_cbranch_execz .LBB4_6198
; %bb.6195:                             ;   in Loop: Header=BB4_5745 Depth=3
	v_and_b32_e32 v1, 0x7f, v24
	v_cmp_ne_u32_e32 vcc, s71, v1
	v_mov_b32_e32 v15, 0x7f800001
	s_and_saveexec_b64 s[36:37], vcc
	s_cbranch_execz .LBB4_6197
; %bb.6196:                             ;   in Loop: Header=BB4_5745 Depth=3
	v_and_b32_e32 v5, 7, v2
	v_lshrrev_b32_e32 v6, 3, v1
	v_cmp_gt_u32_e32 vcc, 8, v1
	v_ffbh_u32_e32 v1, v5
	v_min_u32_e32 v15, 32, v1
	v_subrev_u32_e32 v1, 28, v15
	v_lshlrev_b64 v[1:2], v1, v[2:3]
	v_sub_u32_e32 v2, 29, v15
	v_and_b32_e32 v1, 7, v1
	v_cndmask_b32_e32 v2, v6, v2, vcc
	v_cndmask_b32_e32 v1, v5, v1, vcc
	v_lshlrev_b32_e32 v5, 24, v24
	v_lshlrev_b32_e32 v1, 20, v1
	v_and_b32_e32 v5, 0x80000000, v5
	v_lshl_add_u32 v2, v2, 23, v0
	v_or3_b32 v15, v5, v2, v1
.LBB4_6197:                             ;   in Loop: Header=BB4_5745 Depth=3
	s_or_b64 exec, exec, s[36:37]
.LBB4_6198:                             ;   in Loop: Header=BB4_5745 Depth=3
	s_or_b64 exec, exec, s[34:35]
.LBB4_6199:                             ;   in Loop: Header=BB4_5745 Depth=3
	s_or_b64 exec, exec, s[28:29]
	v_and_b32_e32 v2, 0xff, v22
	v_cmp_ne_u16_e32 vcc, 0, v2
	s_and_saveexec_b64 s[28:29], vcc
	s_cbranch_execz .LBB4_6205
; %bb.6200:                             ;   in Loop: Header=BB4_5745 Depth=3
	v_cmp_ne_u16_e32 vcc, s70, v2
	v_bfrev_b32_e32 v14, 1
	s_and_saveexec_b64 s[34:35], vcc
	s_cbranch_execz .LBB4_6204
; %bb.6201:                             ;   in Loop: Header=BB4_5745 Depth=3
	v_and_b32_e32 v1, 0x7f, v22
	v_cmp_ne_u32_e32 vcc, s71, v1
	v_mov_b32_e32 v14, 0x7f800001
	s_and_saveexec_b64 s[36:37], vcc
	s_cbranch_execz .LBB4_6203
; %bb.6202:                             ;   in Loop: Header=BB4_5745 Depth=3
	v_and_b32_e32 v5, 7, v2
	v_lshrrev_b32_e32 v6, 3, v1
	v_cmp_gt_u32_e32 vcc, 8, v1
	v_ffbh_u32_e32 v1, v5
	v_min_u32_e32 v14, 32, v1
	v_subrev_u32_e32 v1, 28, v14
	v_lshlrev_b64 v[1:2], v1, v[2:3]
	v_sub_u32_e32 v2, 29, v14
	v_and_b32_e32 v1, 7, v1
	v_cndmask_b32_e32 v2, v6, v2, vcc
	v_cndmask_b32_e32 v1, v5, v1, vcc
	v_lshlrev_b32_e32 v5, 24, v22
	v_lshlrev_b32_e32 v1, 20, v1
	v_and_b32_e32 v5, 0x80000000, v5
	v_lshl_add_u32 v2, v2, 23, v0
	v_or3_b32 v14, v5, v2, v1
.LBB4_6203:                             ;   in Loop: Header=BB4_5745 Depth=3
	s_or_b64 exec, exec, s[36:37]
.LBB4_6204:                             ;   in Loop: Header=BB4_5745 Depth=3
	s_or_b64 exec, exec, s[34:35]
.LBB4_6205:                             ;   in Loop: Header=BB4_5745 Depth=3
	s_or_b64 exec, exec, s[28:29]
	v_mul_f32_e32 v14, v15, v14
	v_and_b32_e32 v2, 0x7f800000, v14
	v_cmp_ne_u64_e32 vcc, s[62:63], v[2:3]
                                        ; implicit-def: $vgpr22
	s_and_saveexec_b64 s[28:29], vcc
	s_xor_b64 s[34:35], exec, s[28:29]
	s_cbranch_execz .LBB4_6223
; %bb.6206:                             ;   in Loop: Header=BB4_5745 Depth=3
	v_and_b32_e32 v2, 0x7fffffff, v14
	v_cmp_gt_u64_e32 vcc, s[72:73], v[2:3]
	v_and_b32_sdwa v24, v14, s70 dst_sel:DWORD dst_unused:UNUSED_PAD src0_sel:BYTE_3 src1_sel:DWORD
                                        ; implicit-def: $vgpr22
	s_and_saveexec_b64 s[28:29], vcc
	s_xor_b64 s[36:37], exec, s[28:29]
	s_cbranch_execz .LBB4_6220
; %bb.6207:                             ;   in Loop: Header=BB4_5745 Depth=3
	v_cmp_ne_u32_e32 vcc, 0, v14
	v_mov_b32_e32 v22, 0
	s_and_saveexec_b64 s[38:39], vcc
	s_cbranch_execz .LBB4_6219
; %bb.6208:                             ;   in Loop: Header=BB4_5745 Depth=3
	v_bfe_u32 v22, v14, 23, 8
	v_cmp_gt_u32_e64 s[28:29], s80, v22
	v_sub_u32_e32 v2, 0x79, v22
	v_and_b32_e32 v1, 0x7fffff, v14
	v_cmp_eq_u32_e32 vcc, 0, v22
	v_cndmask_b32_e64 v2, 0, v2, s[28:29]
	v_mov_b32_e32 v6, 0x78
	v_or_b32_e32 v5, 0x800000, v1
	v_cndmask_b32_e32 v27, v2, v6, vcc
	v_cndmask_b32_e32 v2, v5, v1, vcc
	v_add_u32_e32 v1, 20, v27
	v_lshlrev_b64 v[5:6], v1, -1
	v_add_u32_e32 v1, 19, v27
	v_lshlrev_b64 v[14:15], v1, 1
	v_bfi_b32 v6, v6, 0, 0
	v_bfi_b32 v5, v5, 0, v2
	v_cmp_eq_u64_e64 s[28:29], v[5:6], v[14:15]
	v_lshrrev_b64 v[14:15], v27, v[2:3]
	v_mov_b32_e32 v16, v15
	v_mov_b32_e32 v15, v14
	s_and_saveexec_b64 s[48:49], s[28:29]
; %bb.6209:                             ;   in Loop: Header=BB4_5745 Depth=3
	v_bfe_u32 v1, v14, 20, 1
	v_add_co_u32_e64 v1, s[28:29], v14, v1
	v_add_co_u32_e64 v15, s[28:29], -1, v1
; %bb.6210:                             ;   in Loop: Header=BB4_5745 Depth=3
	s_or_b64 exec, exec, s[48:49]
	v_add_u32_e32 v1, 0xffffff81, v22
	v_mov_b32_e32 v2, 0xffffff82
	v_cndmask_b32_e32 v1, v1, v2, vcc
	v_lshrrev_b32_e32 v2, 23, v14
	v_add3_u32 v22, v27, v1, v2
	v_add_u32_e32 v1, 6, v22
	v_and_b32_e32 v2, 0xfffff, v15
	v_add_u32_e32 v2, v2, v14
	v_cmp_ne_u32_e32 vcc, 0, v1
                                        ; implicit-def: $vgpr14_vgpr15
                                        ; implicit-def: $vgpr16
	s_and_saveexec_b64 s[28:29], vcc
	s_xor_b64 s[28:29], exec, s[28:29]
; %bb.6211:                             ;   in Loop: Header=BB4_5745 Depth=3
	v_cmp_lt_u64_e32 vcc, s[88:89], v[2:3]
	v_add_u32_e32 v5, 7, v22
	v_cndmask_b32_e32 v16, v1, v5, vcc
	v_cndmask_b32_e64 v1, 0, 1, vcc
	v_lshrrev_b64 v[14:15], v1, v[2:3]
; %bb.6212:                             ;   in Loop: Header=BB4_5745 Depth=3
	s_andn2_saveexec_b64 s[28:29], s[28:29]
; %bb.6213:                             ;   in Loop: Header=BB4_5745 Depth=3
	v_mov_b32_e32 v15, v3
	v_bfe_u32 v16, v2, 23, 1
	v_mov_b32_e32 v14, v2
; %bb.6214:                             ;   in Loop: Header=BB4_5745 Depth=3
	s_or_b64 exec, exec, s[28:29]
	v_lshrrev_b64 v[1:2], 20, v[14:15]
	v_cmp_gt_i32_e32 vcc, 16, v16
	v_cndmask_b32_e32 v15, 0, v2, vcc
	v_cndmask_b32_e32 v14, 7, v1, vcc
	v_cmp_ne_u64_e32 vcc, 0, v[14:15]
	v_cmp_ne_u32_e64 s[28:29], 0, v16
	s_or_b64 s[28:29], s[28:29], vcc
                                        ; implicit-def: $vgpr22
	s_and_saveexec_b64 s[44:45], s[28:29]
	s_xor_b64 s[28:29], exec, s[44:45]
; %bb.6215:                             ;   in Loop: Header=BB4_5745 Depth=3
	v_min_i32_e32 v1, 15, v16
	v_lshl_or_b32 v1, v1, 3, v24
	v_and_or_b32 v22, v14, 7, v1
                                        ; implicit-def: $vgpr24
; %bb.6216:                             ;   in Loop: Header=BB4_5745 Depth=3
	s_andn2_saveexec_b64 s[28:29], s[28:29]
; %bb.6217:                             ;   in Loop: Header=BB4_5745 Depth=3
	v_mov_b32_e32 v22, v24
; %bb.6218:                             ;   in Loop: Header=BB4_5745 Depth=3
	s_or_b64 exec, exec, s[28:29]
.LBB4_6219:                             ;   in Loop: Header=BB4_5745 Depth=3
	s_or_b64 exec, exec, s[38:39]
                                        ; implicit-def: $vgpr24
.LBB4_6220:                             ;   in Loop: Header=BB4_5745 Depth=3
	s_andn2_saveexec_b64 s[28:29], s[36:37]
; %bb.6221:                             ;   in Loop: Header=BB4_5745 Depth=3
	v_or_b32_e32 v22, 0x7e, v24
; %bb.6222:                             ;   in Loop: Header=BB4_5745 Depth=3
	s_or_b64 exec, exec, s[28:29]
                                        ; implicit-def: $vgpr14
.LBB4_6223:                             ;   in Loop: Header=BB4_5745 Depth=3
	s_andn2_saveexec_b64 s[28:29], s[34:35]
; %bb.6224:                             ;   in Loop: Header=BB4_5745 Depth=3
	v_or_b32_sdwa v22, v14, s71 dst_sel:DWORD dst_unused:UNUSED_PAD src0_sel:BYTE_3 src1_sel:DWORD
; %bb.6225:                             ;   in Loop: Header=BB4_5745 Depth=3
	s_or_b64 exec, exec, s[28:29]
	v_and_b32_e32 v2, 0xff, v21
	v_cmp_ne_u16_e32 vcc, 0, v2
	v_mov_b32_e32 v14, 0
	v_mov_b32_e32 v15, 0
	s_and_saveexec_b64 s[28:29], vcc
	s_cbranch_execz .LBB4_6231
; %bb.6226:                             ;   in Loop: Header=BB4_5745 Depth=3
	v_cmp_ne_u16_e32 vcc, s70, v2
	v_bfrev_b32_e32 v15, 1
	s_and_saveexec_b64 s[34:35], vcc
	s_cbranch_execz .LBB4_6230
; %bb.6227:                             ;   in Loop: Header=BB4_5745 Depth=3
	v_and_b32_e32 v1, 0x7f, v21
	v_cmp_ne_u32_e32 vcc, s71, v1
	v_mov_b32_e32 v15, 0x7f800001
	s_and_saveexec_b64 s[36:37], vcc
	s_cbranch_execz .LBB4_6229
; %bb.6228:                             ;   in Loop: Header=BB4_5745 Depth=3
	v_and_b32_e32 v5, 7, v2
	v_lshrrev_b32_e32 v6, 3, v1
	v_cmp_gt_u32_e32 vcc, 8, v1
	v_ffbh_u32_e32 v1, v5
	v_min_u32_e32 v15, 32, v1
	v_subrev_u32_e32 v1, 28, v15
	v_lshlrev_b64 v[1:2], v1, v[2:3]
	v_sub_u32_e32 v2, 29, v15
	v_and_b32_e32 v1, 7, v1
	v_cndmask_b32_e32 v2, v6, v2, vcc
	v_cndmask_b32_e32 v1, v5, v1, vcc
	v_lshlrev_b32_e32 v5, 24, v21
	v_lshlrev_b32_e32 v1, 20, v1
	v_and_b32_e32 v5, 0x80000000, v5
	v_lshl_add_u32 v2, v2, 23, v0
	v_or3_b32 v15, v5, v2, v1
.LBB4_6229:                             ;   in Loop: Header=BB4_5745 Depth=3
	s_or_b64 exec, exec, s[36:37]
.LBB4_6230:                             ;   in Loop: Header=BB4_5745 Depth=3
	s_or_b64 exec, exec, s[34:35]
.LBB4_6231:                             ;   in Loop: Header=BB4_5745 Depth=3
	s_or_b64 exec, exec, s[28:29]
	v_and_b32_e32 v2, 0xff, v19
	v_cmp_ne_u16_e32 vcc, 0, v2
	s_and_saveexec_b64 s[28:29], vcc
	s_cbranch_execz .LBB4_6237
; %bb.6232:                             ;   in Loop: Header=BB4_5745 Depth=3
	v_cmp_ne_u16_e32 vcc, s70, v2
	v_bfrev_b32_e32 v14, 1
	s_and_saveexec_b64 s[34:35], vcc
	s_cbranch_execz .LBB4_6236
; %bb.6233:                             ;   in Loop: Header=BB4_5745 Depth=3
	v_and_b32_e32 v1, 0x7f, v19
	v_cmp_ne_u32_e32 vcc, s71, v1
	v_mov_b32_e32 v14, 0x7f800001
	s_and_saveexec_b64 s[36:37], vcc
	s_cbranch_execz .LBB4_6235
; %bb.6234:                             ;   in Loop: Header=BB4_5745 Depth=3
	v_and_b32_e32 v5, 7, v2
	v_lshrrev_b32_e32 v6, 3, v1
	v_cmp_gt_u32_e32 vcc, 8, v1
	v_ffbh_u32_e32 v1, v5
	v_min_u32_e32 v14, 32, v1
	v_subrev_u32_e32 v1, 28, v14
	v_lshlrev_b64 v[1:2], v1, v[2:3]
	v_sub_u32_e32 v2, 29, v14
	v_and_b32_e32 v1, 7, v1
	v_cndmask_b32_e32 v2, v6, v2, vcc
	v_cndmask_b32_e32 v1, v5, v1, vcc
	v_lshlrev_b32_e32 v5, 24, v19
	v_lshlrev_b32_e32 v1, 20, v1
	v_and_b32_e32 v5, 0x80000000, v5
	v_lshl_add_u32 v2, v2, 23, v0
	v_or3_b32 v14, v5, v2, v1
.LBB4_6235:                             ;   in Loop: Header=BB4_5745 Depth=3
	s_or_b64 exec, exec, s[36:37]
.LBB4_6236:                             ;   in Loop: Header=BB4_5745 Depth=3
	s_or_b64 exec, exec, s[34:35]
.LBB4_6237:                             ;   in Loop: Header=BB4_5745 Depth=3
	s_or_b64 exec, exec, s[28:29]
	v_mul_f32_e32 v14, v15, v14
	v_and_b32_e32 v2, 0x7f800000, v14
	v_cmp_ne_u64_e32 vcc, s[62:63], v[2:3]
                                        ; implicit-def: $vgpr2
	s_and_saveexec_b64 s[28:29], vcc
	s_xor_b64 s[34:35], exec, s[28:29]
	s_cbranch_execz .LBB4_6255
; %bb.6238:                             ;   in Loop: Header=BB4_5745 Depth=3
	v_and_b32_e32 v2, 0x7fffffff, v14
	v_cmp_gt_u64_e32 vcc, s[72:73], v[2:3]
	v_and_b32_sdwa v19, v14, s70 dst_sel:DWORD dst_unused:UNUSED_PAD src0_sel:BYTE_3 src1_sel:DWORD
                                        ; implicit-def: $vgpr2
	s_and_saveexec_b64 s[28:29], vcc
	s_xor_b64 s[36:37], exec, s[28:29]
	s_cbranch_execz .LBB4_6252
; %bb.6239:                             ;   in Loop: Header=BB4_5745 Depth=3
	v_cmp_ne_u32_e32 vcc, 0, v14
	v_mov_b32_e32 v2, 0
	s_and_saveexec_b64 s[38:39], vcc
	s_cbranch_execz .LBB4_6251
; %bb.6240:                             ;   in Loop: Header=BB4_5745 Depth=3
	v_bfe_u32 v21, v14, 23, 8
	v_cmp_gt_u32_e64 s[28:29], s80, v21
	v_sub_u32_e32 v2, 0x79, v21
	v_and_b32_e32 v1, 0x7fffff, v14
	v_cmp_eq_u32_e32 vcc, 0, v21
	v_cndmask_b32_e64 v2, 0, v2, s[28:29]
	v_mov_b32_e32 v6, 0x78
	v_or_b32_e32 v5, 0x800000, v1
	v_cndmask_b32_e32 v24, v2, v6, vcc
	v_cndmask_b32_e32 v2, v5, v1, vcc
	v_add_u32_e32 v1, 20, v24
	v_lshlrev_b64 v[5:6], v1, -1
	v_add_u32_e32 v1, 19, v24
	v_lshlrev_b64 v[14:15], v1, 1
	v_bfi_b32 v6, v6, 0, 0
	v_bfi_b32 v5, v5, 0, v2
	v_cmp_eq_u64_e64 s[28:29], v[5:6], v[14:15]
	v_lshrrev_b64 v[14:15], v24, v[2:3]
	v_mov_b32_e32 v16, v15
	v_mov_b32_e32 v15, v14
	s_and_saveexec_b64 s[48:49], s[28:29]
; %bb.6241:                             ;   in Loop: Header=BB4_5745 Depth=3
	v_bfe_u32 v1, v14, 20, 1
	v_add_co_u32_e64 v1, s[28:29], v14, v1
	v_add_co_u32_e64 v15, s[28:29], -1, v1
; %bb.6242:                             ;   in Loop: Header=BB4_5745 Depth=3
	s_or_b64 exec, exec, s[48:49]
	v_add_u32_e32 v1, 0xffffff81, v21
	v_mov_b32_e32 v2, 0xffffff82
	v_cndmask_b32_e32 v1, v1, v2, vcc
	v_lshrrev_b32_e32 v2, 23, v14
	v_add3_u32 v21, v24, v1, v2
	v_add_u32_e32 v1, 6, v21
	v_and_b32_e32 v2, 0xfffff, v15
	v_add_u32_e32 v2, v2, v14
	v_cmp_ne_u32_e32 vcc, 0, v1
                                        ; implicit-def: $vgpr14_vgpr15
                                        ; implicit-def: $vgpr16
	s_and_saveexec_b64 s[28:29], vcc
	s_xor_b64 s[28:29], exec, s[28:29]
; %bb.6243:                             ;   in Loop: Header=BB4_5745 Depth=3
	v_cmp_lt_u64_e32 vcc, s[88:89], v[2:3]
	v_add_u32_e32 v5, 7, v21
	v_cndmask_b32_e32 v16, v1, v5, vcc
	v_cndmask_b32_e64 v1, 0, 1, vcc
	v_lshrrev_b64 v[14:15], v1, v[2:3]
; %bb.6244:                             ;   in Loop: Header=BB4_5745 Depth=3
	s_andn2_saveexec_b64 s[28:29], s[28:29]
; %bb.6245:                             ;   in Loop: Header=BB4_5745 Depth=3
	v_mov_b32_e32 v15, v3
	v_bfe_u32 v16, v2, 23, 1
	v_mov_b32_e32 v14, v2
; %bb.6246:                             ;   in Loop: Header=BB4_5745 Depth=3
	s_or_b64 exec, exec, s[28:29]
	v_lshrrev_b64 v[1:2], 20, v[14:15]
	v_cmp_gt_i32_e32 vcc, 16, v16
	v_cndmask_b32_e32 v15, 0, v2, vcc
	v_cndmask_b32_e32 v14, 7, v1, vcc
	v_cmp_ne_u64_e32 vcc, 0, v[14:15]
	v_cmp_ne_u32_e64 s[28:29], 0, v16
	s_or_b64 s[28:29], s[28:29], vcc
                                        ; implicit-def: $vgpr2
	s_and_saveexec_b64 s[44:45], s[28:29]
	s_xor_b64 s[28:29], exec, s[44:45]
; %bb.6247:                             ;   in Loop: Header=BB4_5745 Depth=3
	v_min_i32_e32 v1, 15, v16
	v_lshl_or_b32 v1, v1, 3, v19
	v_and_or_b32 v2, v14, 7, v1
                                        ; implicit-def: $vgpr19
; %bb.6248:                             ;   in Loop: Header=BB4_5745 Depth=3
	s_andn2_saveexec_b64 s[28:29], s[28:29]
; %bb.6249:                             ;   in Loop: Header=BB4_5745 Depth=3
	v_mov_b32_e32 v2, v19
; %bb.6250:                             ;   in Loop: Header=BB4_5745 Depth=3
	s_or_b64 exec, exec, s[28:29]
.LBB4_6251:                             ;   in Loop: Header=BB4_5745 Depth=3
	s_or_b64 exec, exec, s[38:39]
                                        ; implicit-def: $vgpr19
.LBB4_6252:                             ;   in Loop: Header=BB4_5745 Depth=3
	s_andn2_saveexec_b64 s[28:29], s[36:37]
; %bb.6253:                             ;   in Loop: Header=BB4_5745 Depth=3
	v_or_b32_e32 v2, 0x7e, v19
; %bb.6254:                             ;   in Loop: Header=BB4_5745 Depth=3
	s_or_b64 exec, exec, s[28:29]
                                        ; implicit-def: $vgpr14
.LBB4_6255:                             ;   in Loop: Header=BB4_5745 Depth=3
	s_andn2_saveexec_b64 s[28:29], s[34:35]
	s_cbranch_execz .LBB4_5744
; %bb.6256:                             ;   in Loop: Header=BB4_5745 Depth=3
	v_or_b32_sdwa v2, v14, s71 dst_sel:DWORD dst_unused:UNUSED_PAD src0_sel:BYTE_3 src1_sel:DWORD
	s_branch .LBB4_5744
.LBB4_6257:                             ;   in Loop: Header=BB4_2384 Depth=2
	s_or_b64 exec, exec, s[30:31]
	buffer_load_dword v22, off, s[0:3], s33 offset:208 ; 4-byte Folded Reload
	buffer_load_dword v23, off, s[0:3], s33 offset:248 ; 4-byte Folded Reload
	;; [unrolled: 1-line block ×3, first 2 shown]
.LBB4_6258:                             ;   in Loop: Header=BB4_2384 Depth=2
	s_or_b64 exec, exec, s[42:43]
	v_lshlrev_b32_e32 v1, 10, v41
	v_cmp_ne_u32_e32 vcc, v18, v1
	s_and_b64 exec, exec, vcc
	s_cbranch_execz .LBB4_6294
; %bb.6259:                             ;   in Loop: Header=BB4_2384 Depth=2
	v_ashrrev_i32_e32 v2, 31, v7
	v_lshrrev_b32_e32 v2, 26, v2
	v_add_u32_e32 v2, v7, v2
	v_and_b32_e32 v2, 0xffffffc0, v2
	v_sub_u32_e32 v2, v7, v2
	v_lshlrev_b32_e32 v5, 6, v17
	v_sub_u32_e32 v2, v2, v5
	v_add_u32_e32 v1, v1, v2
	v_sub_u32_e32 v6, v18, v1
	v_cmp_lt_i32_e32 vcc, 0, v6
	s_and_b64 exec, exec, vcc
	s_cbranch_execz .LBB4_6294
; %bb.6260:                             ;   in Loop: Header=BB4_2384 Depth=2
	s_trap 2
	ds_read_b128 v[8:11], v0
	v_add_u32_e32 v5, v1, v61
	ds_read_b64 v[1:2], v0
	v_ashrrev_i32_e32 v7, 31, v5
	s_mov_b64 s[42:43], 0
	s_waitcnt lgkmcnt(0)
	v_add_co_u32_e32 v8, vcc, v8, v5
	v_addc_co_u32_e32 v9, vcc, v9, v7, vcc
	v_add_co_u32_e32 v10, vcc, v10, v5
	v_addc_co_u32_e32 v11, vcc, v11, v7, vcc
	;; [unrolled: 2-line block ×3, first 2 shown]
	s_branch .LBB4_6262
.LBB4_6261:                             ;   in Loop: Header=BB4_6262 Depth=3
	s_or_b64 exec, exec, s[28:29]
	s_waitcnt vmcnt(0)
	v_add_co_u32_e32 v8, vcc, v8, v20
	v_addc_co_u32_e32 v9, vcc, 0, v9, vcc
	v_add_co_u32_e32 v10, vcc, v10, v20
	v_addc_co_u32_e32 v11, vcc, 0, v11, vcc
	v_sub_u32_e32 v6, v6, v20
	v_cmp_gt_i32_e32 vcc, 1, v6
	flat_store_byte v[12:13], v2 glc slc
	s_or_b64 s[42:43], vcc, s[42:43]
	v_add_co_u32_e32 v12, vcc, v12, v20
	v_addc_co_u32_e32 v13, vcc, 0, v13, vcc
	s_andn2_b64 exec, exec, s[42:43]
	s_cbranch_execz .LBB4_6294
.LBB4_6262:                             ;   Parent Loop BB4_47 Depth=1
                                        ;     Parent Loop BB4_2384 Depth=2
                                        ; =>    This Inner Loop Header: Depth=3
	flat_load_ubyte v15, v[8:9] glc slc
	flat_load_ubyte v7, v[10:11] glc slc
	v_mov_b32_e32 v5, 0
	v_mov_b32_e32 v14, 0
	s_waitcnt vmcnt(0) lgkmcnt(0)
	v_cmp_ne_u16_e32 vcc, 0, v15
	s_and_saveexec_b64 s[28:29], vcc
	s_cbranch_execz .LBB4_6268
; %bb.6263:                             ;   in Loop: Header=BB4_6262 Depth=3
	v_cmp_ne_u16_e32 vcc, s70, v15
	v_bfrev_b32_e32 v14, 1
	s_and_saveexec_b64 s[30:31], vcc
	s_cbranch_execz .LBB4_6267
; %bb.6264:                             ;   in Loop: Header=BB4_6262 Depth=3
	v_and_b32_e32 v2, 0xffff, v15
	v_and_b32_e32 v1, 0x7f, v2
	v_cmp_ne_u32_e32 vcc, s71, v1
	v_mov_b32_e32 v14, 0x7f800001
	s_and_saveexec_b64 s[34:35], vcc
	s_cbranch_execz .LBB4_6266
; %bb.6265:                             ;   in Loop: Header=BB4_6262 Depth=3
	v_and_b32_e32 v14, 7, v2
	v_lshrrev_b32_e32 v16, 3, v1
	v_cmp_gt_u32_e32 vcc, 8, v1
	v_ffbh_u32_e32 v1, v14
	v_min_u32_e32 v17, 32, v1
	v_subrev_u32_e32 v1, 28, v17
	v_lshlrev_b64 v[1:2], v1, v[2:3]
	v_sub_u32_e32 v2, 29, v17
	v_and_b32_e32 v1, 7, v1
	v_cndmask_b32_e32 v2, v16, v2, vcc
	v_cndmask_b32_e32 v1, v14, v1, vcc
	v_lshlrev_b32_e32 v14, 24, v15
	v_lshlrev_b32_e32 v1, 20, v1
	v_and_b32_e32 v14, 0x80000000, v14
	v_lshl_add_u32 v2, v2, 23, v0
	v_or3_b32 v14, v14, v2, v1
.LBB4_6266:                             ;   in Loop: Header=BB4_6262 Depth=3
	s_or_b64 exec, exec, s[34:35]
.LBB4_6267:                             ;   in Loop: Header=BB4_6262 Depth=3
	s_or_b64 exec, exec, s[30:31]
.LBB4_6268:                             ;   in Loop: Header=BB4_6262 Depth=3
	s_or_b64 exec, exec, s[28:29]
	v_and_b32_e32 v2, 0xff, v7
	v_cmp_ne_u16_e32 vcc, 0, v2
	s_and_saveexec_b64 s[28:29], vcc
	s_cbranch_execz .LBB4_6274
; %bb.6269:                             ;   in Loop: Header=BB4_6262 Depth=3
	v_cmp_ne_u16_e32 vcc, s70, v2
	v_bfrev_b32_e32 v5, 1
	s_and_saveexec_b64 s[30:31], vcc
	s_cbranch_execz .LBB4_6273
; %bb.6270:                             ;   in Loop: Header=BB4_6262 Depth=3
	v_and_b32_e32 v1, 0x7f, v7
	v_cmp_ne_u32_e32 vcc, s71, v1
	v_mov_b32_e32 v5, 0x7f800001
	s_and_saveexec_b64 s[34:35], vcc
	s_cbranch_execz .LBB4_6272
; %bb.6271:                             ;   in Loop: Header=BB4_6262 Depth=3
	v_and_b32_e32 v5, 7, v2
	v_lshrrev_b32_e32 v15, 3, v1
	v_cmp_gt_u32_e32 vcc, 8, v1
	v_ffbh_u32_e32 v1, v5
	v_min_u32_e32 v16, 32, v1
	v_subrev_u32_e32 v1, 28, v16
	v_lshlrev_b64 v[1:2], v1, v[2:3]
	v_sub_u32_e32 v2, 29, v16
	v_and_b32_e32 v1, 7, v1
	v_lshlrev_b32_e32 v7, 24, v7
	v_cndmask_b32_e32 v2, v15, v2, vcc
	v_cndmask_b32_e32 v1, v5, v1, vcc
	v_and_b32_e32 v7, 0x80000000, v7
	v_lshlrev_b32_e32 v1, 20, v1
	v_lshl_add_u32 v2, v2, 23, v0
	v_or3_b32 v5, v7, v2, v1
.LBB4_6272:                             ;   in Loop: Header=BB4_6262 Depth=3
	s_or_b64 exec, exec, s[34:35]
.LBB4_6273:                             ;   in Loop: Header=BB4_6262 Depth=3
	s_or_b64 exec, exec, s[30:31]
.LBB4_6274:                             ;   in Loop: Header=BB4_6262 Depth=3
	s_or_b64 exec, exec, s[28:29]
	v_mul_f32_e32 v7, v14, v5
	v_and_b32_e32 v2, 0x7f800000, v7
	v_cmp_ne_u64_e32 vcc, s[62:63], v[2:3]
                                        ; implicit-def: $vgpr2
	s_mov_b64 s[28:29], exec
	buffer_load_dword v20, off, s[0:3], s33 offset:108 ; 4-byte Folded Reload
	s_and_b64 s[44:45], s[28:29], vcc
	s_xor_b64 s[30:31], s[44:45], s[28:29]
	s_mov_b64 exec, s[44:45]
	s_cbranch_execz .LBB4_6292
; %bb.6275:                             ;   in Loop: Header=BB4_6262 Depth=3
	v_and_b32_e32 v2, 0x7fffffff, v7
	v_cmp_gt_u64_e32 vcc, s[72:73], v[2:3]
	v_and_b32_sdwa v5, v7, s70 dst_sel:DWORD dst_unused:UNUSED_PAD src0_sel:BYTE_3 src1_sel:DWORD
                                        ; implicit-def: $vgpr2
	s_and_saveexec_b64 s[28:29], vcc
	s_xor_b64 s[34:35], exec, s[28:29]
	s_cbranch_execz .LBB4_6289
; %bb.6276:                             ;   in Loop: Header=BB4_6262 Depth=3
	v_cmp_ne_u32_e32 vcc, 0, v7
	v_mov_b32_e32 v2, 0
	s_and_saveexec_b64 s[36:37], vcc
	s_cbranch_execz .LBB4_6288
; %bb.6277:                             ;   in Loop: Header=BB4_6262 Depth=3
	v_and_b32_e32 v1, 0x7fffff, v7
	v_bfe_u32 v7, v7, 23, 8
	v_cmp_gt_u32_e64 s[28:29], s80, v7
	v_sub_u32_e32 v2, 0x79, v7
	v_cmp_eq_u32_e32 vcc, 0, v7
	v_cndmask_b32_e64 v2, 0, v2, s[28:29]
	v_mov_b32_e32 v15, 0x78
	v_or_b32_e32 v14, 0x800000, v1
	v_cndmask_b32_e32 v17, v2, v15, vcc
	v_cndmask_b32_e32 v2, v14, v1, vcc
	v_add_u32_e32 v1, 20, v17
	v_lshlrev_b64 v[14:15], v1, -1
	v_add_u32_e32 v1, 19, v17
	v_lshlrev_b64 v[18:19], v1, 1
	v_bfi_b32 v15, v15, 0, 0
	v_bfi_b32 v14, v14, 0, v2
	v_cmp_eq_u64_e64 s[28:29], v[14:15], v[18:19]
	v_lshrrev_b64 v[14:15], v17, v[2:3]
	v_mov_b32_e32 v16, v15
	v_mov_b32_e32 v15, v14
	s_and_saveexec_b64 s[38:39], s[28:29]
; %bb.6278:                             ;   in Loop: Header=BB4_6262 Depth=3
	v_bfe_u32 v1, v14, 20, 1
	v_add_co_u32_e64 v1, s[28:29], v14, v1
	v_add_co_u32_e64 v15, s[28:29], -1, v1
; %bb.6279:                             ;   in Loop: Header=BB4_6262 Depth=3
	s_or_b64 exec, exec, s[38:39]
	v_add_u32_e32 v1, 0xffffff81, v7
	v_mov_b32_e32 v2, 0xffffff82
	v_cndmask_b32_e32 v1, v1, v2, vcc
	v_lshrrev_b32_e32 v2, 23, v14
	v_add3_u32 v16, v17, v1, v2
	v_add_u32_e32 v1, 6, v16
	v_and_b32_e32 v2, 0xfffff, v15
	v_add_u32_e32 v2, v2, v14
	v_cmp_ne_u32_e32 vcc, 0, v1
                                        ; implicit-def: $vgpr14_vgpr15
                                        ; implicit-def: $vgpr7
	s_and_saveexec_b64 s[28:29], vcc
	s_xor_b64 s[28:29], exec, s[28:29]
; %bb.6280:                             ;   in Loop: Header=BB4_6262 Depth=3
	v_cmp_lt_u64_e32 vcc, s[88:89], v[2:3]
	v_add_u32_e32 v7, 7, v16
	v_cndmask_b32_e32 v7, v1, v7, vcc
	v_cndmask_b32_e64 v1, 0, 1, vcc
	v_lshrrev_b64 v[14:15], v1, v[2:3]
; %bb.6281:                             ;   in Loop: Header=BB4_6262 Depth=3
	s_andn2_saveexec_b64 s[28:29], s[28:29]
; %bb.6282:                             ;   in Loop: Header=BB4_6262 Depth=3
	v_mov_b32_e32 v15, v3
	v_bfe_u32 v7, v2, 23, 1
	v_mov_b32_e32 v14, v2
; %bb.6283:                             ;   in Loop: Header=BB4_6262 Depth=3
	s_or_b64 exec, exec, s[28:29]
	v_lshrrev_b64 v[1:2], 20, v[14:15]
	v_cmp_gt_i32_e32 vcc, 16, v7
	v_cndmask_b32_e32 v15, 0, v2, vcc
	v_cndmask_b32_e32 v14, 7, v1, vcc
	v_cmp_ne_u64_e32 vcc, 0, v[14:15]
	v_cmp_ne_u32_e64 s[28:29], 0, v7
	s_or_b64 s[28:29], s[28:29], vcc
                                        ; implicit-def: $vgpr2
	s_and_saveexec_b64 s[44:45], s[28:29]
	s_xor_b64 s[28:29], exec, s[44:45]
; %bb.6284:                             ;   in Loop: Header=BB4_6262 Depth=3
	v_min_i32_e32 v1, 15, v7
	v_lshl_or_b32 v1, v1, 3, v5
	v_and_or_b32 v2, v14, 7, v1
                                        ; implicit-def: $vgpr5
; %bb.6285:                             ;   in Loop: Header=BB4_6262 Depth=3
	s_andn2_saveexec_b64 s[28:29], s[28:29]
; %bb.6286:                             ;   in Loop: Header=BB4_6262 Depth=3
	v_mov_b32_e32 v2, v5
; %bb.6287:                             ;   in Loop: Header=BB4_6262 Depth=3
	s_or_b64 exec, exec, s[28:29]
.LBB4_6288:                             ;   in Loop: Header=BB4_6262 Depth=3
	s_or_b64 exec, exec, s[36:37]
                                        ; implicit-def: $vgpr5
.LBB4_6289:                             ;   in Loop: Header=BB4_6262 Depth=3
	s_andn2_saveexec_b64 s[28:29], s[34:35]
; %bb.6290:                             ;   in Loop: Header=BB4_6262 Depth=3
	v_or_b32_e32 v2, 0x7e, v5
; %bb.6291:                             ;   in Loop: Header=BB4_6262 Depth=3
	s_or_b64 exec, exec, s[28:29]
                                        ; implicit-def: $vgpr7
.LBB4_6292:                             ;   in Loop: Header=BB4_6262 Depth=3
	s_andn2_saveexec_b64 s[28:29], s[30:31]
	s_cbranch_execz .LBB4_6261
; %bb.6293:                             ;   in Loop: Header=BB4_6262 Depth=3
	v_or_b32_sdwa v2, v7, s71 dst_sel:DWORD dst_unused:UNUSED_PAD src0_sel:BYTE_3 src1_sel:DWORD
	s_branch .LBB4_6261
.LBB4_6294:                             ;   in Loop: Header=BB4_2384 Depth=2
	s_or_b64 exec, exec, s[40:41]
	buffer_load_dword v41, off, s[0:3], s33 offset:172 ; 4-byte Folded Reload
.LBB4_6295:                             ;   in Loop: Header=BB4_2384 Depth=2
	buffer_load_dword v47, off, s[0:3], s33 offset:108 ; 4-byte Folded Reload
	v_cmp_lt_i32_e64 s[28:29], 0, v40
	s_and_saveexec_b64 s[40:41], s[10:11]
	s_cbranch_execz .LBB4_2460
.LBB4_6296:                             ;   in Loop: Header=BB4_2384 Depth=2
	s_and_saveexec_b64 s[42:43], s[58:59]
	s_xor_b64 s[42:43], exec, s[42:43]
	s_cbranch_execz .LBB4_6311
; %bb.6297:                             ;   in Loop: Header=BB4_2384 Depth=2
	s_and_saveexec_b64 s[30:31], s[16:17]
	s_cbranch_execz .LBB4_6310
; %bb.6298:                             ;   in Loop: Header=BB4_2384 Depth=2
	s_mov_b64 s[36:37], exec
	v_mbcnt_lo_u32_b32 v1, s36, 0
	v_mbcnt_hi_u32_b32 v1, s37, v1
	v_cmp_eq_u32_e32 vcc, 0, v1
	s_waitcnt vmcnt(0) lgkmcnt(0)
	buffer_wbinvl1_vol
	s_and_saveexec_b64 s[34:35], vcc
	s_cbranch_execz .LBB4_6300
; %bb.6299:                             ;   in Loop: Header=BB4_2384 Depth=2
	s_bcnt1_i32_b64 s44, s[36:37]
	v_mov_b32_e32 v2, s44
	ds_add_u64 v0, v[2:3]
	s_trap 2
.LBB4_6300:                             ;   in Loop: Header=BB4_2384 Depth=2
	s_or_b64 exec, exec, s[34:35]
	s_trap 2
	ds_read_b64 v[1:2], v0
	s_waitcnt lgkmcnt(0)
	v_add_co_u32_e32 v38, vcc, v38, v29
	v_addc_co_u32_e32 v39, vcc, 0, v39, vcc
	v_cmp_lt_u64_e32 vcc, v[1:2], v[38:39]
	s_and_saveexec_b64 s[34:35], vcc
	s_cbranch_execz .LBB4_6309
; %bb.6301:                             ;   in Loop: Header=BB4_2384 Depth=2
	s_mov_b32 s44, 0
	s_mov_b64 s[36:37], 0
                                        ; implicit-def: $sgpr38_sgpr39
                                        ; implicit-def: $sgpr48_sgpr49
	s_branch .LBB4_6303
.LBB4_6302:                             ;   in Loop: Header=BB4_6303 Depth=3
	s_or_b64 exec, exec, s[52:53]
	s_and_b64 vcc, exec, vcc
	s_or_b64 s[36:37], vcc, s[36:37]
	s_andn2_b64 vcc, s[38:39], exec
	s_and_b64 s[38:39], s[48:49], exec
	s_or_b64 s[38:39], vcc, s[38:39]
	s_andn2_b64 exec, exec, s[36:37]
	s_cbranch_execz .LBB4_6307
.LBB4_6303:                             ;   Parent Loop BB4_47 Depth=1
                                        ;     Parent Loop BB4_2384 Depth=2
                                        ; =>    This Inner Loop Header: Depth=3
	s_add_i32 s44, s44, 1
	s_cmpk_lg_i32 s44, 0x2710
	s_cselect_b64 s[50:51], -1, 0
	s_and_b64 vcc, exec, s[50:51]
	s_cbranch_vccz .LBB4_6305
; %bb.6304:                             ;   in Loop: Header=BB4_6303 Depth=3
	s_mov_b64 vcc, -1
	s_or_b64 s[48:49], s[48:49], exec
	s_and_saveexec_b64 s[52:53], s[50:51]
	s_cbranch_execz .LBB4_6302
	s_branch .LBB4_6306
.LBB4_6305:                             ;   in Loop: Header=BB4_6303 Depth=3
	s_trap 2
	ds_read_b64 v[1:2], v0
	s_andn2_b64 s[50:51], s[50:51], exec
	s_mov_b32 s44, 0
	s_waitcnt lgkmcnt(0)
	flat_load_dword v1, v[1:2] glc
	s_waitcnt vmcnt(0) lgkmcnt(0)
	buffer_wbinvl1_vol
	v_cmp_eq_u32_e32 vcc, 0, v1
	s_and_b64 vcc, vcc, exec
	s_or_b64 s[50:51], s[50:51], vcc
	s_mov_b64 vcc, -1
	s_or_b64 s[48:49], s[48:49], exec
	s_and_saveexec_b64 s[52:53], s[50:51]
	s_cbranch_execz .LBB4_6302
.LBB4_6306:                             ;   in Loop: Header=BB4_6303 Depth=3
	s_sleep 1
	s_trap 2
	ds_read_b64 v[1:2], v0
	s_waitcnt lgkmcnt(0)
	s_andn2_b64 s[48:49], s[48:49], exec
	v_cmp_ge_u64_e32 vcc, v[1:2], v[38:39]
	s_orn2_b64 vcc, vcc, exec
	s_branch .LBB4_6302
.LBB4_6307:                             ;   in Loop: Header=BB4_2384 Depth=2
	s_or_b64 exec, exec, s[36:37]
	s_and_saveexec_b64 s[44:45], s[38:39]
	s_xor_b64 s[44:45], exec, s[44:45]
	s_cbranch_execz .LBB4_6309
; %bb.6308:                             ;   in Loop: Header=BB4_2384 Depth=2
	v_mov_b32_e32 v1, 1
	ds_write_b32 v0, v1
	s_trap 2
.LBB4_6309:                             ;   in Loop: Header=BB4_2384 Depth=2
	s_or_b64 exec, exec, s[34:35]
	;;#ASMSTART
	s_wakeup
	;;#ASMEND
.LBB4_6310:                             ;   in Loop: Header=BB4_2384 Depth=2
	s_or_b64 exec, exec, s[30:31]
.LBB4_6311:                             ;   in Loop: Header=BB4_2384 Depth=2
	s_andn2_saveexec_b64 s[42:43], s[42:43]
	s_cbranch_execz .LBB4_6313
; %bb.6312:                             ;   in Loop: Header=BB4_2384 Depth=2
	s_waitcnt vmcnt(0) lgkmcnt(0)
	buffer_wbinvl1_vol
	s_barrier
.LBB4_6313:                             ;   in Loop: Header=BB4_2384 Depth=2
	s_or_b64 exec, exec, s[42:43]
	s_or_b64 exec, exec, s[40:41]
                                        ; implicit-def: $vgpr1
	s_and_saveexec_b64 s[40:41], s[24:25]
	s_xor_b64 s[40:41], exec, s[40:41]
	s_cbranch_execnz .LBB4_2461
.LBB4_6314:                             ;   in Loop: Header=BB4_2384 Depth=2
	s_andn2_saveexec_b64 s[28:29], s[40:41]
	s_cbranch_execz .LBB4_6333
.LBB4_6315:                             ;   in Loop: Header=BB4_2384 Depth=2
	s_and_saveexec_b64 s[40:41], s[58:59]
	s_xor_b64 s[40:41], exec, s[40:41]
	s_cbranch_execz .LBB4_6330
; %bb.6316:                             ;   in Loop: Header=BB4_2384 Depth=2
	s_and_saveexec_b64 s[42:43], s[16:17]
	s_cbranch_execz .LBB4_6329
; %bb.6317:                             ;   in Loop: Header=BB4_2384 Depth=2
	s_mov_b64 s[34:35], exec
	v_mbcnt_lo_u32_b32 v1, s34, 0
	v_mbcnt_hi_u32_b32 v1, s35, v1
	v_cmp_eq_u32_e32 vcc, 0, v1
	;;#ASMSTART
	s_waitcnt lgkmcnt(0) vmcnt(0)
	;;#ASMEND
	s_and_saveexec_b64 s[30:31], vcc
	s_cbranch_execz .LBB4_6319
; %bb.6318:                             ;   in Loop: Header=BB4_2384 Depth=2
	s_bcnt1_i32_b64 s44, s[34:35]
	s_waitcnt vmcnt(0)
	v_mov_b32_e32 v2, s44
	s_waitcnt lgkmcnt(0)
	ds_add_u64 v0, v[2:3]
	s_trap 2
.LBB4_6319:                             ;   in Loop: Header=BB4_2384 Depth=2
	s_or_b64 exec, exec, s[30:31]
	s_trap 2
	s_waitcnt vmcnt(0)
	ds_read_b64 v[1:2], v0
	s_waitcnt lgkmcnt(0)
	v_add_co_u32_e32 v38, vcc, v38, v29
	v_addc_co_u32_e32 v39, vcc, 0, v39, vcc
	v_cmp_lt_u64_e32 vcc, v[1:2], v[38:39]
	s_and_saveexec_b64 s[30:31], vcc
	s_cbranch_execz .LBB4_6328
; %bb.6320:                             ;   in Loop: Header=BB4_2384 Depth=2
	s_mov_b32 s44, 0
	s_mov_b64 s[34:35], 0
                                        ; implicit-def: $sgpr36_sgpr37
                                        ; implicit-def: $sgpr38_sgpr39
	s_branch .LBB4_6322
.LBB4_6321:                             ;   in Loop: Header=BB4_6322 Depth=3
	s_or_b64 exec, exec, s[50:51]
	s_and_b64 vcc, exec, vcc
	s_or_b64 s[34:35], vcc, s[34:35]
	s_andn2_b64 vcc, s[36:37], exec
	s_and_b64 s[36:37], s[38:39], exec
	s_or_b64 s[36:37], vcc, s[36:37]
	s_andn2_b64 exec, exec, s[34:35]
	s_cbranch_execz .LBB4_6326
.LBB4_6322:                             ;   Parent Loop BB4_47 Depth=1
                                        ;     Parent Loop BB4_2384 Depth=2
                                        ; =>    This Inner Loop Header: Depth=3
	s_add_i32 s44, s44, 1
	s_cmpk_lg_i32 s44, 0x2710
	s_cselect_b64 s[48:49], -1, 0
	s_and_b64 vcc, exec, s[48:49]
	s_cbranch_vccz .LBB4_6324
; %bb.6323:                             ;   in Loop: Header=BB4_6322 Depth=3
	s_mov_b64 vcc, -1
	s_or_b64 s[38:39], s[38:39], exec
	s_and_saveexec_b64 s[50:51], s[48:49]
	s_cbranch_execz .LBB4_6321
	s_branch .LBB4_6325
.LBB4_6324:                             ;   in Loop: Header=BB4_6322 Depth=3
	s_trap 2
	ds_read_b64 v[1:2], v0
	s_andn2_b64 s[48:49], s[48:49], exec
	s_mov_b32 s44, 0
	s_waitcnt lgkmcnt(0)
	flat_load_dword v1, v[1:2] glc
	s_waitcnt vmcnt(0) lgkmcnt(0)
	buffer_wbinvl1_vol
	v_cmp_eq_u32_e32 vcc, 0, v1
	s_and_b64 vcc, vcc, exec
	s_or_b64 s[48:49], s[48:49], vcc
	s_mov_b64 vcc, -1
	s_or_b64 s[38:39], s[38:39], exec
	s_and_saveexec_b64 s[50:51], s[48:49]
	s_cbranch_execz .LBB4_6321
.LBB4_6325:                             ;   in Loop: Header=BB4_6322 Depth=3
	s_sleep 1
	s_trap 2
	ds_read_b64 v[1:2], v0
	s_waitcnt lgkmcnt(0)
	s_andn2_b64 s[38:39], s[38:39], exec
	v_cmp_ge_u64_e32 vcc, v[1:2], v[38:39]
	s_orn2_b64 vcc, vcc, exec
	s_branch .LBB4_6321
.LBB4_6326:                             ;   in Loop: Header=BB4_2384 Depth=2
	s_or_b64 exec, exec, s[34:35]
	s_and_saveexec_b64 s[44:45], s[36:37]
	s_xor_b64 s[44:45], exec, s[44:45]
	s_cbranch_execz .LBB4_6328
; %bb.6327:                             ;   in Loop: Header=BB4_2384 Depth=2
	v_mov_b32_e32 v1, 1
	ds_write_b32 v0, v1
	s_trap 2
.LBB4_6328:                             ;   in Loop: Header=BB4_2384 Depth=2
	s_or_b64 exec, exec, s[30:31]
	;;#ASMSTART
	s_wakeup
	;;#ASMEND
.LBB4_6329:                             ;   in Loop: Header=BB4_2384 Depth=2
	s_or_b64 exec, exec, s[42:43]
.LBB4_6330:                             ;   in Loop: Header=BB4_2384 Depth=2
	s_andn2_saveexec_b64 s[40:41], s[40:41]
	s_cbranch_execz .LBB4_6332
; %bb.6331:                             ;   in Loop: Header=BB4_2384 Depth=2
	;;#ASMSTART
	s_waitcnt lgkmcnt(0) vmcnt(0)
	;;#ASMEND
	s_waitcnt vmcnt(0) lgkmcnt(0)
	s_barrier
.LBB4_6332:                             ;   in Loop: Header=BB4_2384 Depth=2
	s_or_b64 exec, exec, s[40:41]
	v_and_b32_e32 v1, 16, v4
.LBB4_6333:                             ;   in Loop: Header=BB4_2384 Depth=2
	s_or_b64 exec, exec, s[28:29]
	v_cmp_ne_u32_e32 vcc, 0, v1
	s_xor_b64 s[28:29], s[12:13], -1
	s_and_b64 s[40:41], vcc, s[28:29]
	s_and_saveexec_b64 s[28:29], s[40:41]
	s_cbranch_execz .LBB4_6335
; %bb.6334:                             ;   in Loop: Header=BB4_2384 Depth=2
	buffer_load_dword v1, off, s[0:3], s33 offset:100 ; 4-byte Folded Reload
	buffer_load_dword v2, off, s[0:3], s33 offset:104 ; 4-byte Folded Reload
	v_mov_b32_e32 v5, 1
	s_waitcnt vmcnt(0)
	flat_store_dword v[1:2], v5
.LBB4_6335:                             ;   in Loop: Header=BB4_2384 Depth=2
	s_or_b64 exec, exec, s[28:29]
	v_and_b32_e32 v1, 48, v4
	v_cmp_ne_u32_e32 vcc, 0, v1
	s_and_saveexec_b64 s[28:29], vcc
	s_cbranch_execz .LBB4_2383
; %bb.6336:                             ;   in Loop: Header=BB4_2384 Depth=2
	buffer_load_dword v1, off, s[0:3], s33 offset:56 ; 4-byte Folded Reload
	buffer_load_dword v2, off, s[0:3], s33 offset:60 ; 4-byte Folded Reload
	s_waitcnt vmcnt(0)
	v_add_co_u32_e32 v1, vcc, 2, v1
	v_addc_co_u32_e32 v2, vcc, 0, v2, vcc
	buffer_store_dword v1, off, s[0:3], s33 offset:56 ; 4-byte Folded Spill
	s_nop 0
	buffer_store_dword v2, off, s[0:3], s33 offset:60 ; 4-byte Folded Spill
	flat_store_dwordx2 v[32:33], v[1:2]
	s_branch .LBB4_2383
.LBB4_6337:                             ;   in Loop: Header=BB4_47 Depth=1
	s_or_b64 exec, exec, s[92:93]
.LBB4_6338:                             ;   in Loop: Header=BB4_47 Depth=1
	s_or_b64 exec, exec, s[90:91]
	v_cmp_gt_i32_e32 vcc, 2, v2
	s_and_saveexec_b64 s[40:41], vcc
	s_cbranch_execz .LBB4_6414
; %bb.6339:                             ;   in Loop: Header=BB4_47 Depth=1
	buffer_load_dword v14, off, s[0:3], s33 offset:164 ; 4-byte Folded Reload
	buffer_load_dword v15, off, s[0:3], s33 offset:168 ; 4-byte Folded Reload
	v_cmp_eq_u32_e64 s[90:91], 0, v2
	s_mov_b64 s[42:43], 0
	s_branch .LBB4_6341
.LBB4_6340:                             ;   in Loop: Header=BB4_6341 Depth=2
	s_or_b64 exec, exec, s[28:29]
	v_add_u32_e32 v46, v14, v46
	s_mov_b64 s[90:91], 0
	s_andn2_b64 exec, exec, s[42:43]
	s_cbranch_execz .LBB4_6413
.LBB4_6341:                             ;   Parent Loop BB4_47 Depth=1
                                        ; =>  This Loop Header: Depth=2
                                        ;       Child Loop BB4_6347 Depth 3
                                        ;       Child Loop BB4_6375 Depth 3
	;; [unrolled: 1-line block ×3, first 2 shown]
	v_sub_u32_e32 v1, v22, v46
	s_waitcnt vmcnt(0)
	v_min_i32_e32 v14, v14, v1
	v_and_b32_e32 v1, 12, v4
	v_cmp_ne_u32_e32 vcc, 0, v1
	s_and_saveexec_b64 s[92:93], vcc
	s_cbranch_execz .LBB4_6367
; %bb.6342:                             ;   in Loop: Header=BB4_6341 Depth=2
	buffer_load_dword v8, off, s[0:3], s33 offset:56 ; 4-byte Folded Reload
	buffer_load_dword v9, off, s[0:3], s33 offset:60 ; 4-byte Folded Reload
	v_and_b32_e32 v2, 8, v4
	s_waitcnt lgkmcnt(0)
	v_add_co_u32_e32 v5, vcc, v48, v2
	v_addc_co_u32_e32 v6, vcc, 0, v49, vcc
	s_waitcnt vmcnt(1)
	v_add_co_u32_e32 v8, vcc, 2, v8
	s_waitcnt vmcnt(0)
	v_addc_co_u32_e32 v9, vcc, 0, v9, vcc
	v_cmp_lt_u64_e32 vcc, v[5:6], v[8:9]
	s_and_saveexec_b64 s[94:95], vcc
	s_cbranch_execz .LBB4_6354
; %bb.6343:                             ;   in Loop: Header=BB4_6341 Depth=2
	v_and_b32_e32 v1, 64, v4
	s_mov_b32 s46, 0
	v_cmp_eq_u32_e32 vcc, 0, v1
	s_mov_b64 s[30:31], 0
                                        ; implicit-def: $sgpr34_sgpr35
                                        ; implicit-def: $sgpr36_sgpr37
                                        ; implicit-def: $sgpr38_sgpr39
	s_branch .LBB4_6347
.LBB4_6344:                             ;   in Loop: Header=BB4_6347 Depth=3
	s_waitcnt vmcnt(0) lgkmcnt(0)
	v_add_co_u32_e64 v6, s[28:29], v48, v2
	v_addc_co_u32_e64 v7, s[28:29], 0, v49, s[28:29]
	v_cmp_ge_u64_e64 s[28:29], v[6:7], v[8:9]
	s_or_b64 s[52:53], s[52:53], exec
	s_orn2_b64 s[50:51], s[28:29], exec
.LBB4_6345:                             ;   in Loop: Header=BB4_6347 Depth=3
	s_or_b64 exec, exec, s[64:65]
	s_andn2_b64 s[28:29], s[38:39], exec
	s_and_b64 s[44:45], s[52:53], exec
	s_or_b64 s[38:39], s[28:29], s[44:45]
	s_andn2_b64 s[28:29], s[36:37], exec
	s_and_b64 s[44:45], s[50:51], exec
	s_or_b64 s[36:37], s[28:29], s[44:45]
.LBB4_6346:                             ;   in Loop: Header=BB4_6347 Depth=3
	s_or_b64 exec, exec, s[48:49]
	s_and_b64 s[28:29], exec, s[36:37]
	s_or_b64 s[30:31], s[28:29], s[30:31]
	s_andn2_b64 s[28:29], s[34:35], exec
	s_and_b64 s[44:45], s[38:39], exec
	s_or_b64 s[34:35], s[28:29], s[44:45]
	s_andn2_b64 exec, exec, s[30:31]
	s_cbranch_execz .LBB4_6351
.LBB4_6347:                             ;   Parent Loop BB4_47 Depth=1
                                        ;     Parent Loop BB4_6341 Depth=2
                                        ; =>    This Inner Loop Header: Depth=3
	s_sleep 1
	s_waitcnt vmcnt(0) lgkmcnt(0)
	flat_load_dwordx2 v[48:49], v[32:33] glc
	s_or_b64 s[38:39], s[38:39], exec
	s_or_b64 s[36:37], s[36:37], exec
                                        ; implicit-def: $vgpr5
	s_and_saveexec_b64 s[48:49], vcc
	s_cbranch_execz .LBB4_6346
; %bb.6348:                             ;   in Loop: Header=BB4_6347 Depth=3
	s_cmpk_lt_i32 s46, 0x270f
	s_cselect_b64 s[54:55], -1, 0
	s_cmpk_gt_i32 s46, 0x270e
	s_mov_b64 s[50:51], -1
	s_cbranch_scc0 .LBB4_6350
; %bb.6349:                             ;   in Loop: Header=BB4_6347 Depth=3
	s_trap 2
	ds_read_b64 v[5:6], v0
	s_andn2_b64 s[44:45], s[54:55], exec
	s_mov_b32 s46, 0
	s_mov_b64 s[52:53], 0
	s_waitcnt vmcnt(0) lgkmcnt(0)
	flat_load_dword v5, v[5:6] glc
	s_waitcnt vmcnt(0) lgkmcnt(0)
	buffer_wbinvl1_vol
	v_cmp_eq_u32_e64 s[28:29], 0, v5
	s_and_b64 s[28:29], s[28:29], exec
	s_or_b64 s[54:55], s[44:45], s[28:29]
	s_and_saveexec_b64 s[64:65], s[54:55]
	s_cbranch_execz .LBB4_6345
	s_branch .LBB4_6344
.LBB4_6350:                             ;   in Loop: Header=BB4_6347 Depth=3
	s_add_i32 s46, s46, 1
	s_mov_b64 s[52:53], -1
                                        ; implicit-def: $vgpr5
	s_and_saveexec_b64 s[64:65], s[54:55]
	s_cbranch_execz .LBB4_6345
	s_branch .LBB4_6344
.LBB4_6351:                             ;   in Loop: Header=BB4_6341 Depth=2
	s_or_b64 exec, exec, s[30:31]
	s_xor_b64 s[28:29], s[34:35], -1
	s_and_saveexec_b64 s[44:45], s[28:29]
	s_xor_b64 s[28:29], exec, s[44:45]
	s_cbranch_execz .LBB4_6353
; %bb.6352:                             ;   in Loop: Header=BB4_6341 Depth=2
	v_or_b32_e32 v4, 64, v4
	s_waitcnt lgkmcnt(0)
	ds_write_b32 v0, v5
	s_trap 2
.LBB4_6353:                             ;   in Loop: Header=BB4_6341 Depth=2
	s_or_b64 exec, exec, s[28:29]
.LBB4_6354:                             ;   in Loop: Header=BB4_6341 Depth=2
	s_or_b64 exec, exec, s[94:95]
	v_and_b32_e32 v1, 0x108, v4
	v_cmp_ne_u32_e32 vcc, s69, v1
	;;#ASMSTART
	s_wakeup
	;;#ASMEND
	s_and_saveexec_b64 s[28:29], vcc
	s_xor_b64 s[28:29], exec, s[28:29]
                                        ; implicit-def: $vgpr5
	s_cbranch_execz .LBB4_6356
; %bb.6355:                             ;   in Loop: Header=BB4_6341 Depth=2
	buffer_load_dword v5, off, s[0:3], s33 offset:56 ; 4-byte Folded Reload
	buffer_load_dword v6, off, s[0:3], s33 offset:60 ; 4-byte Folded Reload
                                        ; implicit-def: $vgpr6_vgpr7
                                        ; kill: killed $vgpr6_vgpr7
	s_waitcnt vmcnt(0)
	v_and_b32_e32 v5, 7, v5
.LBB4_6356:                             ;   in Loop: Header=BB4_6341 Depth=2
	s_andn2_saveexec_b64 s[28:29], s[28:29]
	s_cbranch_execz .LBB4_6358
; %bb.6357:                             ;   in Loop: Header=BB4_6341 Depth=2
	buffer_load_dword v5, off, s[0:3], s33 offset:56 ; 4-byte Folded Reload
	buffer_load_dword v6, off, s[0:3], s33 offset:60 ; 4-byte Folded Reload
	;; [unrolled: 1-line block ×6, first 2 shown]
	s_waitcnt vmcnt(0)
	v_and_b32_e32 v5, 7, v5
	v_mad_u64_u32 v[6:7], s[44:45], v5, 24, v[10:11]
	v_mov_b32_e32 v10, v14
	v_ashrrev_i32_e32 v11, 31, v10
	flat_store_dwordx2 v[6:7], v[10:11] offset:8
.LBB4_6358:                             ;   in Loop: Header=BB4_6341 Depth=2
	s_or_b64 exec, exec, s[28:29]
	v_and_b32_e32 v1, 0x100, v4
	v_cmp_ne_u32_e32 vcc, 0, v1
	s_mov_b64 s[28:29], -1
                                        ; implicit-def: $vgpr10_vgpr11
	s_and_saveexec_b64 s[94:95], vcc
	s_cbranch_execz .LBB4_6362
; %bb.6359:                             ;   in Loop: Header=BB4_6341 Depth=2
	buffer_load_dword v10, off, s[0:3], s33 offset:84 ; 4-byte Folded Reload
	buffer_load_dword v11, off, s[0:3], s33 offset:88 ; 4-byte Folded Reload
	;; [unrolled: 1-line block ×4, first 2 shown]
	s_waitcnt vmcnt(0)
	v_mad_u64_u32 v[12:13], s[28:29], v5, 24, v[10:11]
                                        ; implicit-def: $vgpr10_vgpr11
	v_mov_b32_e32 v1, v13
	v_mad_u64_u32 v[6:7], s[28:29], v3, 24, v[1:2]
	v_mov_b32_e32 v13, v6
	flat_load_dword v1, v[12:13]
	s_waitcnt vmcnt(0) lgkmcnt(0)
	v_cmp_ne_u32_e32 vcc, 1, v1
	v_cmp_eq_u32_e64 s[28:29], 1, v1
	s_and_saveexec_b64 s[30:31], s[28:29]
	s_cbranch_execz .LBB4_6361
; %bb.6360:                             ;   in Loop: Header=BB4_6341 Depth=2
	flat_load_dword v10, v[12:13] offset:4 glc
	s_waitcnt vmcnt(0) lgkmcnt(0)
	v_ashrrev_i32_e32 v11, 31, v10
.LBB4_6361:                             ;   in Loop: Header=BB4_6341 Depth=2
	s_or_b64 exec, exec, s[30:31]
	s_orn2_b64 s[28:29], vcc, exec
.LBB4_6362:                             ;   in Loop: Header=BB4_6341 Depth=2
	s_or_b64 exec, exec, s[94:95]
	s_and_saveexec_b64 s[94:95], s[28:29]
	s_cbranch_execz .LBB4_6364
; %bb.6363:                             ;   in Loop: Header=BB4_6341 Depth=2
	buffer_load_dword v7, off, s[0:3], s33 offset:116 ; 4-byte Folded Reload
	buffer_load_dword v6, off, s[0:3], s33 offset:136 ; 4-byte Folded Reload
	s_waitcnt vmcnt(0)
	v_mul_lo_u32 v1, v3, v7
	v_mul_lo_u32 v6, v5, v6
	v_mad_u64_u32 v[10:11], s[28:29], v5, v7, 0
	v_add3_u32 v11, v11, v6, v1
.LBB4_6364:                             ;   in Loop: Header=BB4_6341 Depth=2
	s_or_b64 exec, exec, s[94:95]
	v_cmp_eq_u32_e32 vcc, 0, v2
	v_mov_b32_e32 v1, 0x90
	v_mov_b32_e32 v2, 0xd0
	v_cndmask_b32_e32 v5, v2, v1, vcc
	buffer_load_dword v1, off, s[0:3], s33 offset:76 ; 4-byte Folded Reload
	buffer_load_dword v2, off, s[0:3], s33 offset:80 ; 4-byte Folded Reload
	v_add_u32_e32 v5, v0, v5
	s_waitcnt vmcnt(0)
	v_add_co_u32_e32 v1, vcc, v1, v10
	v_addc_co_u32_e32 v2, vcc, v2, v11, vcc
	ds_write_b64 v5, v[1:2] offset:584
	v_and_b32_e32 v1, 0x2000, v4
	v_cmp_ne_u32_e32 vcc, 0, v1
	s_and_saveexec_b64 s[28:29], vcc
	s_cbranch_execz .LBB4_6366
; %bb.6365:                             ;   in Loop: Header=BB4_6341 Depth=2
	ds_read_b64 v[1:2], v0 offset:872
	s_waitcnt lgkmcnt(0)
	v_add_co_u32_e32 v1, vcc, 1, v1
	v_addc_co_u32_e32 v2, vcc, 0, v2, vcc
	ds_write_b64 v0, v[1:2] offset:872
.LBB4_6366:                             ;   in Loop: Header=BB4_6341 Depth=2
	s_or_b64 exec, exec, s[28:29]
	buffer_store_dword v8, off, s[0:3], s33 offset:56 ; 4-byte Folded Spill
	s_nop 0
	buffer_store_dword v9, off, s[0:3], s33 offset:60 ; 4-byte Folded Spill
.LBB4_6367:                             ;   in Loop: Header=BB4_6341 Depth=2
	s_or_b64 exec, exec, s[92:93]
	s_xor_b64 s[28:29], s[90:91], -1
	s_and_b64 s[28:29], exec, s[28:29]
	s_or_b64 s[42:43], s[28:29], s[42:43]
	s_and_saveexec_b64 s[28:29], s[10:11]
	s_cbranch_execz .LBB4_6386
; %bb.6368:                             ;   in Loop: Header=BB4_6341 Depth=2
	s_and_saveexec_b64 s[44:45], s[58:59]
	s_xor_b64 s[90:91], exec, s[44:45]
	s_cbranch_execz .LBB4_6383
; %bb.6369:                             ;   in Loop: Header=BB4_6341 Depth=2
	s_and_saveexec_b64 s[92:93], s[16:17]
	s_cbranch_execz .LBB4_6382
; %bb.6370:                             ;   in Loop: Header=BB4_6341 Depth=2
	s_mov_b64 s[30:31], exec
	v_mbcnt_lo_u32_b32 v1, s30, 0
	v_mbcnt_hi_u32_b32 v1, s31, v1
	v_cmp_eq_u32_e32 vcc, 0, v1
	s_waitcnt vmcnt(0) lgkmcnt(0)
	buffer_wbinvl1_vol
	s_and_saveexec_b64 s[94:95], vcc
	s_cbranch_execz .LBB4_6372
; %bb.6371:                             ;   in Loop: Header=BB4_6341 Depth=2
	s_bcnt1_i32_b64 s44, s[30:31]
	v_mov_b32_e32 v2, s44
	ds_add_u64 v0, v[2:3]
	s_trap 2
.LBB4_6372:                             ;   in Loop: Header=BB4_6341 Depth=2
	s_or_b64 exec, exec, s[94:95]
	s_trap 2
	ds_read_b64 v[1:2], v0
	s_waitcnt lgkmcnt(0)
	v_add_co_u32_e32 v38, vcc, v38, v29
	v_addc_co_u32_e32 v39, vcc, 0, v39, vcc
	v_cmp_lt_u64_e32 vcc, v[1:2], v[38:39]
	s_and_saveexec_b64 s[94:95], vcc
	s_cbranch_execz .LBB4_6381
; %bb.6373:                             ;   in Loop: Header=BB4_6341 Depth=2
	s_mov_b32 s44, 0
	s_mov_b64 s[30:31], 0
                                        ; implicit-def: $sgpr34_sgpr35
                                        ; implicit-def: $sgpr36_sgpr37
	s_branch .LBB4_6375
.LBB4_6374:                             ;   in Loop: Header=BB4_6375 Depth=3
	s_or_b64 exec, exec, s[48:49]
	s_and_b64 s[46:47], exec, vcc
	s_or_b64 s[30:31], s[46:47], s[30:31]
	s_andn2_b64 s[46:47], s[34:35], exec
	s_and_b64 vcc, s[36:37], exec
	s_or_b64 s[34:35], s[46:47], vcc
	s_andn2_b64 exec, exec, s[30:31]
	s_cbranch_execz .LBB4_6379
.LBB4_6375:                             ;   Parent Loop BB4_47 Depth=1
                                        ;     Parent Loop BB4_6341 Depth=2
                                        ; =>    This Inner Loop Header: Depth=3
	s_add_i32 s44, s44, 1
	s_cmpk_lg_i32 s44, 0x2710
	s_cselect_b64 s[38:39], -1, 0
	s_and_b64 vcc, exec, s[38:39]
	s_cbranch_vccz .LBB4_6377
; %bb.6376:                             ;   in Loop: Header=BB4_6375 Depth=3
	s_mov_b64 vcc, -1
	s_or_b64 s[36:37], s[36:37], exec
	s_and_saveexec_b64 s[48:49], s[38:39]
	s_cbranch_execz .LBB4_6374
	s_branch .LBB4_6378
.LBB4_6377:                             ;   in Loop: Header=BB4_6375 Depth=3
	s_trap 2
	ds_read_b64 v[1:2], v0
	s_andn2_b64 s[46:47], s[38:39], exec
	s_mov_b32 s44, 0
	s_waitcnt lgkmcnt(0)
	flat_load_dword v1, v[1:2] glc
	s_waitcnt vmcnt(0) lgkmcnt(0)
	buffer_wbinvl1_vol
	v_cmp_eq_u32_e32 vcc, 0, v1
	s_and_b64 vcc, vcc, exec
	s_or_b64 s[38:39], s[46:47], vcc
	s_mov_b64 vcc, -1
	s_or_b64 s[36:37], s[36:37], exec
	s_and_saveexec_b64 s[48:49], s[38:39]
	s_cbranch_execz .LBB4_6374
.LBB4_6378:                             ;   in Loop: Header=BB4_6375 Depth=3
	s_sleep 1
	s_trap 2
	ds_read_b64 v[1:2], v0
	s_waitcnt lgkmcnt(0)
	s_andn2_b64 s[36:37], s[36:37], exec
	v_cmp_ge_u64_e32 vcc, v[1:2], v[38:39]
	s_orn2_b64 vcc, vcc, exec
	s_branch .LBB4_6374
.LBB4_6379:                             ;   in Loop: Header=BB4_6341 Depth=2
	s_or_b64 exec, exec, s[30:31]
	s_and_saveexec_b64 s[44:45], s[34:35]
	s_xor_b64 s[44:45], exec, s[44:45]
	s_cbranch_execz .LBB4_6381
; %bb.6380:                             ;   in Loop: Header=BB4_6341 Depth=2
	v_mov_b32_e32 v1, 1
	ds_write_b32 v0, v1
	s_trap 2
.LBB4_6381:                             ;   in Loop: Header=BB4_6341 Depth=2
	s_or_b64 exec, exec, s[94:95]
	;;#ASMSTART
	s_wakeup
	;;#ASMEND
.LBB4_6382:                             ;   in Loop: Header=BB4_6341 Depth=2
	s_or_b64 exec, exec, s[92:93]
.LBB4_6383:                             ;   in Loop: Header=BB4_6341 Depth=2
	s_andn2_saveexec_b64 s[90:91], s[90:91]
	s_cbranch_execz .LBB4_6385
; %bb.6384:                             ;   in Loop: Header=BB4_6341 Depth=2
	s_waitcnt vmcnt(0) lgkmcnt(0)
	buffer_wbinvl1_vol
	s_barrier
.LBB4_6385:                             ;   in Loop: Header=BB4_6341 Depth=2
	s_or_b64 exec, exec, s[90:91]
.LBB4_6386:                             ;   in Loop: Header=BB4_6341 Depth=2
	s_or_b64 exec, exec, s[28:29]
                                        ; implicit-def: $vgpr2
	s_and_saveexec_b64 s[28:29], s[24:25]
	s_xor_b64 s[28:29], exec, s[28:29]
	s_cbranch_execz .LBB4_6390
; %bb.6387:                             ;   in Loop: Header=BB4_6341 Depth=2
	s_trap 2
	ds_read_b32 v1, v0
	v_cmp_lt_i32_e32 vcc, 0, v14
	v_and_b32_e32 v2, 16, v4
	s_waitcnt lgkmcnt(0)
	v_readfirstlane_b32 s44, v1
	s_cmp_eq_u32 s44, 0
	s_cselect_b64 s[44:45], -1, 0
	v_and_b32_e32 v1, 16, v4
	s_and_b64 s[44:45], vcc, s[44:45]
	v_cmp_ne_u32_e32 vcc, 0, v1
	s_and_b64 s[44:45], vcc, s[44:45]
	s_and_saveexec_b64 s[90:91], s[44:45]
	s_cbranch_execz .LBB4_6389
; %bb.6388:                             ;   in Loop: Header=BB4_6341 Depth=2
	v_mov_b32_e32 v2, 1
	s_waitcnt vmcnt(0)
	buffer_wbinvl1_vol
.LBB4_6389:                             ;   in Loop: Header=BB4_6341 Depth=2
	s_or_b64 exec, exec, s[90:91]
	s_andn2_saveexec_b64 s[28:29], s[28:29]
	s_cbranch_execz .LBB4_6409
	s_branch .LBB4_6391
.LBB4_6390:                             ;   in Loop: Header=BB4_6341 Depth=2
	s_andn2_saveexec_b64 s[28:29], s[28:29]
	s_cbranch_execz .LBB4_6409
.LBB4_6391:                             ;   in Loop: Header=BB4_6341 Depth=2
	s_and_saveexec_b64 s[44:45], s[58:59]
	s_xor_b64 s[90:91], exec, s[44:45]
	s_cbranch_execz .LBB4_6406
; %bb.6392:                             ;   in Loop: Header=BB4_6341 Depth=2
	s_and_saveexec_b64 s[92:93], s[16:17]
	s_cbranch_execz .LBB4_6405
; %bb.6393:                             ;   in Loop: Header=BB4_6341 Depth=2
	s_mov_b64 s[30:31], exec
	v_mbcnt_lo_u32_b32 v1, s30, 0
	v_mbcnt_hi_u32_b32 v1, s31, v1
	v_cmp_eq_u32_e32 vcc, 0, v1
	;;#ASMSTART
	s_waitcnt lgkmcnt(0) vmcnt(0)
	;;#ASMEND
	s_and_saveexec_b64 s[94:95], vcc
	s_cbranch_execz .LBB4_6395
; %bb.6394:                             ;   in Loop: Header=BB4_6341 Depth=2
	s_bcnt1_i32_b64 s44, s[30:31]
	v_mov_b32_e32 v2, s44
	s_waitcnt lgkmcnt(0)
	ds_add_u64 v0, v[2:3]
	s_trap 2
.LBB4_6395:                             ;   in Loop: Header=BB4_6341 Depth=2
	s_or_b64 exec, exec, s[94:95]
	s_trap 2
	ds_read_b64 v[1:2], v0
	s_waitcnt lgkmcnt(0)
	v_add_co_u32_e32 v38, vcc, v38, v29
	v_addc_co_u32_e32 v39, vcc, 0, v39, vcc
	v_cmp_lt_u64_e32 vcc, v[1:2], v[38:39]
	s_and_saveexec_b64 s[94:95], vcc
	s_cbranch_execz .LBB4_6404
; %bb.6396:                             ;   in Loop: Header=BB4_6341 Depth=2
	s_mov_b32 s44, 0
	s_mov_b64 s[30:31], 0
                                        ; implicit-def: $sgpr34_sgpr35
                                        ; implicit-def: $sgpr36_sgpr37
	s_branch .LBB4_6398
.LBB4_6397:                             ;   in Loop: Header=BB4_6398 Depth=3
	s_or_b64 exec, exec, s[48:49]
	s_and_b64 s[46:47], exec, vcc
	s_or_b64 s[30:31], s[46:47], s[30:31]
	s_andn2_b64 s[46:47], s[34:35], exec
	s_and_b64 vcc, s[36:37], exec
	s_or_b64 s[34:35], s[46:47], vcc
	s_andn2_b64 exec, exec, s[30:31]
	s_cbranch_execz .LBB4_6402
.LBB4_6398:                             ;   Parent Loop BB4_47 Depth=1
                                        ;     Parent Loop BB4_6341 Depth=2
                                        ; =>    This Inner Loop Header: Depth=3
	s_add_i32 s44, s44, 1
	s_cmpk_lg_i32 s44, 0x2710
	s_cselect_b64 s[38:39], -1, 0
	s_and_b64 vcc, exec, s[38:39]
	s_cbranch_vccz .LBB4_6400
; %bb.6399:                             ;   in Loop: Header=BB4_6398 Depth=3
	s_mov_b64 vcc, -1
	s_or_b64 s[36:37], s[36:37], exec
	s_and_saveexec_b64 s[48:49], s[38:39]
	s_cbranch_execz .LBB4_6397
	s_branch .LBB4_6401
.LBB4_6400:                             ;   in Loop: Header=BB4_6398 Depth=3
	s_trap 2
	ds_read_b64 v[1:2], v0
	s_andn2_b64 s[46:47], s[38:39], exec
	s_mov_b32 s44, 0
	s_waitcnt vmcnt(0) lgkmcnt(0)
	flat_load_dword v1, v[1:2] glc
	s_waitcnt vmcnt(0) lgkmcnt(0)
	buffer_wbinvl1_vol
	v_cmp_eq_u32_e32 vcc, 0, v1
	s_and_b64 vcc, vcc, exec
	s_or_b64 s[38:39], s[46:47], vcc
	s_mov_b64 vcc, -1
	s_or_b64 s[36:37], s[36:37], exec
	s_and_saveexec_b64 s[48:49], s[38:39]
	s_cbranch_execz .LBB4_6397
.LBB4_6401:                             ;   in Loop: Header=BB4_6398 Depth=3
	s_sleep 1
	s_trap 2
	ds_read_b64 v[1:2], v0
	s_waitcnt lgkmcnt(0)
	s_andn2_b64 s[36:37], s[36:37], exec
	v_cmp_ge_u64_e32 vcc, v[1:2], v[38:39]
	s_orn2_b64 vcc, vcc, exec
	s_branch .LBB4_6397
.LBB4_6402:                             ;   in Loop: Header=BB4_6341 Depth=2
	s_or_b64 exec, exec, s[30:31]
	s_and_saveexec_b64 s[44:45], s[34:35]
	s_xor_b64 s[44:45], exec, s[44:45]
	s_cbranch_execz .LBB4_6404
; %bb.6403:                             ;   in Loop: Header=BB4_6341 Depth=2
	v_mov_b32_e32 v1, 1
	ds_write_b32 v0, v1
	s_trap 2
.LBB4_6404:                             ;   in Loop: Header=BB4_6341 Depth=2
	s_or_b64 exec, exec, s[94:95]
	;;#ASMSTART
	s_wakeup
	;;#ASMEND
.LBB4_6405:                             ;   in Loop: Header=BB4_6341 Depth=2
	s_or_b64 exec, exec, s[92:93]
.LBB4_6406:                             ;   in Loop: Header=BB4_6341 Depth=2
	s_andn2_saveexec_b64 s[90:91], s[90:91]
	s_cbranch_execz .LBB4_6408
; %bb.6407:                             ;   in Loop: Header=BB4_6341 Depth=2
	;;#ASMSTART
	s_waitcnt lgkmcnt(0) vmcnt(0)
	;;#ASMEND
	s_waitcnt vmcnt(0) lgkmcnt(0)
	s_barrier
.LBB4_6408:                             ;   in Loop: Header=BB4_6341 Depth=2
	s_or_b64 exec, exec, s[90:91]
	v_and_b32_e32 v2, 16, v4
.LBB4_6409:                             ;   in Loop: Header=BB4_6341 Depth=2
	s_or_b64 exec, exec, s[28:29]
	v_cmp_ne_u32_e32 vcc, 0, v2
	s_xor_b64 s[28:29], s[12:13], -1
	s_and_b64 s[44:45], vcc, s[28:29]
	s_and_saveexec_b64 s[28:29], s[44:45]
	s_cbranch_execz .LBB4_6411
; %bb.6410:                             ;   in Loop: Header=BB4_6341 Depth=2
	buffer_load_dword v1, off, s[0:3], s33 offset:100 ; 4-byte Folded Reload
	buffer_load_dword v2, off, s[0:3], s33 offset:104 ; 4-byte Folded Reload
	v_mov_b32_e32 v5, 1
	s_waitcnt vmcnt(0)
	flat_store_dword v[1:2], v5
.LBB4_6411:                             ;   in Loop: Header=BB4_6341 Depth=2
	s_or_b64 exec, exec, s[28:29]
	v_and_b32_e32 v1, 48, v4
	v_cmp_ne_u32_e32 vcc, 0, v1
	s_and_saveexec_b64 s[28:29], vcc
	s_cbranch_execz .LBB4_6340
; %bb.6412:                             ;   in Loop: Header=BB4_6341 Depth=2
	buffer_load_dword v1, off, s[0:3], s33 offset:56 ; 4-byte Folded Reload
	buffer_load_dword v2, off, s[0:3], s33 offset:60 ; 4-byte Folded Reload
	s_waitcnt vmcnt(0)
	v_add_co_u32_e32 v1, vcc, 2, v1
	v_addc_co_u32_e32 v2, vcc, 0, v2, vcc
	buffer_store_dword v1, off, s[0:3], s33 offset:56 ; 4-byte Folded Spill
	s_nop 0
	buffer_store_dword v2, off, s[0:3], s33 offset:60 ; 4-byte Folded Spill
	flat_store_dwordx2 v[32:33], v[1:2]
	s_branch .LBB4_6340
.LBB4_6413:                             ;   in Loop: Header=BB4_47 Depth=1
	s_or_b64 exec, exec, s[42:43]
.LBB4_6414:                             ;   in Loop: Header=BB4_47 Depth=1
	s_or_b64 exec, exec, s[40:41]
	buffer_load_dword v42, off, s[0:3], s33 offset:284 ; 4-byte Folded Reload
	buffer_load_dword v43, off, s[0:3], s33 offset:288 ; 4-byte Folded Reload
	;; [unrolled: 1-line block ×4, first 2 shown]
	s_and_b64 vcc, exec, s[26:27]
	s_cbranch_vccnz .LBB4_6675
; %bb.6415:                             ;   in Loop: Header=BB4_47 Depth=1
	s_mov_b32 s46, 1
.LBB4_6416:                             ;   Parent Loop BB4_47 Depth=1
                                        ; =>  This Loop Header: Depth=2
                                        ;       Child Loop BB4_6419 Depth 3
                                        ;         Child Loop BB4_6427 Depth 4
                                        ;         Child Loop BB4_6455 Depth 4
	;; [unrolled: 1-line block ×9, first 2 shown]
                                        ;           Child Loop BB4_6509 Depth 5
                                        ;         Child Loop BB4_6518 Depth 4
                                        ;         Child Loop BB4_6523 Depth 4
                                        ;           Child Loop BB4_6524 Depth 5
                                        ;         Child Loop BB4_6562 Depth 4
                                        ;         Child Loop BB4_6581 Depth 4
                                        ;       Child Loop BB4_6599 Depth 3
                                        ;         Child Loop BB4_6605 Depth 4
                                        ;         Child Loop BB4_6633 Depth 4
	;; [unrolled: 1-line block ×3, first 2 shown]
	buffer_load_dword v5, off, s[0:3], s33 offset:220 ; 4-byte Folded Reload
	buffer_load_dword v6, off, s[0:3], s33 offset:224 ; 4-byte Folded Reload
	s_sub_i32 s26, s83, s46
	s_cmp_ge_i32 s26, s66
	s_cselect_b32 s27, s66, 0
	s_sub_i32 s26, s26, s27
	s_ashr_i32 s28, s26, 31
	s_waitcnt vmcnt(0)
	v_mul_lo_u32 v2, v5, s28
	v_mul_lo_u32 v1, v6, s26
	v_mad_u64_u32 v[8:9], s[26:27], v5, s26, 0
	v_add3_u32 v9, v9, v2, v1
	buffer_load_dword v1, off, s[0:3], s33 offset:212 ; 4-byte Folded Reload
	buffer_load_dword v2, off, s[0:3], s33 offset:216 ; 4-byte Folded Reload
	s_waitcnt vmcnt(0)
	v_sub_co_u32_e32 v1, vcc, v1, v8
	v_subb_co_u32_e32 v2, vcc, v2, v9, vcc
	v_cmp_lt_i64_e32 vcc, v[5:6], v[1:2]
	v_mov_b32_e32 v6, 0
	v_cndmask_b32_e32 v1, v1, v5, vcc
	v_max_i32_e32 v5, 0, v1
	v_add_u32_e32 v2, 31, v5
	v_lshrrev_b32_e32 v2, 1, v2
	v_and_b32_e32 v2, 0x3ffffff0, v2
	v_cmp_lt_i32_e32 vcc, 0, v1
	v_max_i32_e32 v12, s86, v2
	s_and_b64 s[26:27], s[78:79], vcc
	v_mov_b32_e32 v2, 0
	s_and_saveexec_b64 s[42:43], s[26:27]
	s_cbranch_execz .LBB4_6596
; %bb.6417:                             ;   in Loop: Header=BB4_6416 Depth=2
	buffer_load_dword v1, off, s[0:3], s33 offset:156 ; 4-byte Folded Reload
	s_mov_b32 s47, 1
	s_mov_b64 s[92:93], -1
	v_mov_b32_e32 v6, 0
	s_mov_b64 s[90:91], 0
	s_waitcnt vmcnt(0)
	v_add_co_u32_e32 v7, vcc, v8, v1
	buffer_load_dword v1, off, s[0:3], s33 offset:160 ; 4-byte Folded Reload
	s_waitcnt vmcnt(0)
	v_addc_co_u32_e32 v21, vcc, v9, v1, vcc
	s_branch .LBB4_6419
.LBB4_6418:                             ;   in Loop: Header=BB4_6419 Depth=3
	s_or_b64 exec, exec, s[26:27]
	v_add_u32_e32 v6, v12, v6
	v_cmp_ge_i32_e32 vcc, v6, v5
	s_xor_b64 s[26:27], s[92:93], -1
	s_or_b64 s[26:27], s[26:27], vcc
	s_and_b64 s[26:27], exec, s[26:27]
	s_or_b64 s[90:91], s[26:27], s[90:91]
	s_mov_b64 s[92:93], 0
	v_mov_b32_e32 v2, s47
	s_mov_b32 s47, 2
	s_andn2_b64 exec, exec, s[90:91]
	s_cbranch_execz .LBB4_6671
.LBB4_6419:                             ;   Parent Loop BB4_47 Depth=1
                                        ;     Parent Loop BB4_6416 Depth=2
                                        ; =>    This Loop Header: Depth=3
                                        ;         Child Loop BB4_6427 Depth 4
                                        ;         Child Loop BB4_6455 Depth 4
	;; [unrolled: 1-line block ×9, first 2 shown]
                                        ;           Child Loop BB4_6509 Depth 5
                                        ;         Child Loop BB4_6518 Depth 4
                                        ;         Child Loop BB4_6523 Depth 4
                                        ;           Child Loop BB4_6524 Depth 5
                                        ;         Child Loop BB4_6562 Depth 4
                                        ;         Child Loop BB4_6581 Depth 4
	s_and_saveexec_b64 s[26:27], s[4:5]
	s_cbranch_execz .LBB4_6421
; %bb.6420:                             ;   in Loop: Header=BB4_6419 Depth=3
	s_trap 2
	s_waitcnt vmcnt(0)
	ds_read_b128 v[8:11], v0
	s_waitcnt lgkmcnt(0)
	v_add_co_u32_e32 v1, vcc, v8, v7
	v_addc_co_u32_e32 v2, vcc, v9, v21, vcc
	v_ashrrev_i32_e32 v8, 31, v6
	v_add_co_u32_e32 v1, vcc, v1, v6
	v_addc_co_u32_e32 v2, vcc, v2, v8, vcc
	ds_write_b64 v0, v[1:2]
	v_add_co_u32_e32 v1, vcc, v10, v7
	v_addc_co_u32_e32 v2, vcc, v11, v21, vcc
	v_add_co_u32_e32 v1, vcc, v1, v6
	v_addc_co_u32_e32 v2, vcc, v2, v8, vcc
	v_cmp_ne_u64_e32 vcc, 0, v[10:11]
	v_cndmask_b32_e32 v2, 0, v2, vcc
	v_cndmask_b32_e32 v1, 0, v1, vcc
	ds_write_b64 v0, v[1:2]
.LBB4_6421:                             ;   in Loop: Header=BB4_6419 Depth=3
	s_or_b64 exec, exec, s[26:27]
	v_sub_u32_e32 v1, v5, v6
	v_min_i32_e32 v12, v12, v1
	v_and_b32_e32 v1, 12, v4
	v_cmp_ne_u32_e32 vcc, 0, v1
	s_and_saveexec_b64 s[28:29], vcc
	s_cbranch_execz .LBB4_6447
; %bb.6422:                             ;   in Loop: Header=BB4_6419 Depth=3
	buffer_load_dword v8, off, s[0:3], s33 offset:56 ; 4-byte Folded Reload
	buffer_load_dword v9, off, s[0:3], s33 offset:60 ; 4-byte Folded Reload
	v_and_b32_e32 v2, 8, v4
	s_waitcnt lgkmcnt(0)
	v_add_co_u32_e32 v10, vcc, v48, v2
	v_addc_co_u32_e32 v11, vcc, 0, v49, vcc
	s_waitcnt vmcnt(0)
	v_add_co_u32_e32 v8, vcc, 2, v8
	s_waitcnt vmcnt(0)
	v_addc_co_u32_e32 v9, vcc, 0, v9, vcc
	v_cmp_lt_u64_e32 vcc, v[10:11], v[8:9]
	s_and_saveexec_b64 s[40:41], vcc
	s_cbranch_execz .LBB4_6434
; %bb.6423:                             ;   in Loop: Header=BB4_6419 Depth=3
	v_and_b32_e32 v1, 64, v4
	s_mov_b32 s44, 0
	v_cmp_eq_u32_e32 vcc, 0, v1
	s_mov_b64 s[94:95], 0
                                        ; implicit-def: $sgpr30_sgpr31
                                        ; implicit-def: $sgpr34_sgpr35
                                        ; implicit-def: $sgpr36_sgpr37
	s_branch .LBB4_6427
.LBB4_6424:                             ;   in Loop: Header=BB4_6427 Depth=4
	s_waitcnt vmcnt(0) lgkmcnt(0)
	v_add_co_u32_e64 v13, s[26:27], v48, v2
	v_addc_co_u32_e64 v14, s[26:27], 0, v49, s[26:27]
	v_cmp_ge_u64_e64 s[26:27], v[13:14], v[8:9]
	s_or_b64 s[50:51], s[50:51], exec
	s_orn2_b64 s[48:49], s[26:27], exec
.LBB4_6425:                             ;   in Loop: Header=BB4_6427 Depth=4
	s_or_b64 exec, exec, s[54:55]
	s_andn2_b64 s[26:27], s[36:37], exec
	s_and_b64 s[36:37], s[50:51], exec
	s_or_b64 s[36:37], s[26:27], s[36:37]
	s_andn2_b64 s[26:27], s[34:35], exec
	s_and_b64 s[34:35], s[48:49], exec
	s_or_b64 s[34:35], s[26:27], s[34:35]
.LBB4_6426:                             ;   in Loop: Header=BB4_6427 Depth=4
	s_or_b64 exec, exec, s[38:39]
	s_and_b64 s[26:27], exec, s[34:35]
	s_or_b64 s[94:95], s[26:27], s[94:95]
	s_andn2_b64 s[26:27], s[30:31], exec
	s_and_b64 s[30:31], s[36:37], exec
	s_or_b64 s[30:31], s[26:27], s[30:31]
	s_andn2_b64 exec, exec, s[94:95]
	s_cbranch_execz .LBB4_6431
.LBB4_6427:                             ;   Parent Loop BB4_47 Depth=1
                                        ;     Parent Loop BB4_6416 Depth=2
                                        ;       Parent Loop BB4_6419 Depth=3
                                        ; =>      This Inner Loop Header: Depth=4
	s_sleep 1
	s_waitcnt vmcnt(0) lgkmcnt(0)
	flat_load_dwordx2 v[48:49], v[32:33] glc
	s_or_b64 s[36:37], s[36:37], exec
	s_or_b64 s[34:35], s[34:35], exec
                                        ; implicit-def: $vgpr10
	s_and_saveexec_b64 s[38:39], vcc
	s_cbranch_execz .LBB4_6426
; %bb.6428:                             ;   in Loop: Header=BB4_6427 Depth=4
	s_cmpk_lt_i32 s44, 0x270f
	s_cselect_b64 s[52:53], -1, 0
	s_cmpk_gt_i32 s44, 0x270e
	s_mov_b64 s[48:49], -1
	s_cbranch_scc0 .LBB4_6430
; %bb.6429:                             ;   in Loop: Header=BB4_6427 Depth=4
	s_trap 2
	ds_read_b64 v[10:11], v0
	s_andn2_b64 s[52:53], s[52:53], exec
	s_mov_b32 s44, 0
	s_mov_b64 s[50:51], 0
	s_waitcnt vmcnt(0) lgkmcnt(0)
	flat_load_dword v10, v[10:11] glc
	s_waitcnt vmcnt(0) lgkmcnt(0)
	buffer_wbinvl1_vol
	v_cmp_eq_u32_e64 s[26:27], 0, v10
	s_and_b64 s[26:27], s[26:27], exec
	s_or_b64 s[52:53], s[52:53], s[26:27]
	s_and_saveexec_b64 s[54:55], s[52:53]
	s_cbranch_execz .LBB4_6425
	s_branch .LBB4_6424
.LBB4_6430:                             ;   in Loop: Header=BB4_6427 Depth=4
	s_add_i32 s44, s44, 1
	s_mov_b64 s[50:51], -1
                                        ; implicit-def: $vgpr10
	s_and_saveexec_b64 s[54:55], s[52:53]
	s_cbranch_execz .LBB4_6425
	s_branch .LBB4_6424
.LBB4_6431:                             ;   in Loop: Header=BB4_6419 Depth=3
	s_or_b64 exec, exec, s[94:95]
	s_xor_b64 s[26:27], s[30:31], -1
	s_and_saveexec_b64 s[44:45], s[26:27]
	s_xor_b64 s[26:27], exec, s[44:45]
	s_cbranch_execz .LBB4_6433
; %bb.6432:                             ;   in Loop: Header=BB4_6419 Depth=3
	v_or_b32_e32 v4, 64, v4
	s_waitcnt lgkmcnt(0)
	ds_write_b32 v0, v10
	s_trap 2
.LBB4_6433:                             ;   in Loop: Header=BB4_6419 Depth=3
	s_or_b64 exec, exec, s[26:27]
.LBB4_6434:                             ;   in Loop: Header=BB4_6419 Depth=3
	s_or_b64 exec, exec, s[40:41]
	v_and_b32_e32 v1, 0x108, v4
	v_cmp_ne_u32_e32 vcc, s69, v1
	;;#ASMSTART
	s_wakeup
	;;#ASMEND
	s_and_saveexec_b64 s[26:27], vcc
	s_xor_b64 s[26:27], exec, s[26:27]
                                        ; implicit-def: $vgpr15
	s_cbranch_execz .LBB4_6436
; %bb.6435:                             ;   in Loop: Header=BB4_6419 Depth=3
	buffer_load_dword v10, off, s[0:3], s33 offset:56 ; 4-byte Folded Reload
	buffer_load_dword v11, off, s[0:3], s33 offset:60 ; 4-byte Folded Reload
	s_waitcnt vmcnt(0)
	v_and_b32_e32 v15, 7, v10
                                        ; implicit-def: $vgpr10_vgpr11
                                        ; kill: killed $vgpr10_vgpr11
.LBB4_6436:                             ;   in Loop: Header=BB4_6419 Depth=3
	s_andn2_saveexec_b64 s[26:27], s[26:27]
	s_cbranch_execz .LBB4_6438
; %bb.6437:                             ;   in Loop: Header=BB4_6419 Depth=3
	buffer_load_dword v10, off, s[0:3], s33 offset:56 ; 4-byte Folded Reload
	buffer_load_dword v11, off, s[0:3], s33 offset:60 ; 4-byte Folded Reload
	;; [unrolled: 1-line block ×6, first 2 shown]
	v_ashrrev_i32_e32 v13, 31, v12
	s_waitcnt vmcnt(0)
	v_and_b32_e32 v15, 7, v10
	v_mad_u64_u32 v[10:11], s[40:41], v15, 24, v[16:17]
	flat_store_dwordx2 v[10:11], v[12:13] offset:8
.LBB4_6438:                             ;   in Loop: Header=BB4_6419 Depth=3
	s_or_b64 exec, exec, s[26:27]
	v_and_b32_e32 v1, 0x100, v4
	v_cmp_ne_u32_e32 vcc, 0, v1
	s_mov_b64 s[26:27], -1
                                        ; implicit-def: $vgpr10_vgpr11
	s_and_saveexec_b64 s[40:41], vcc
	s_cbranch_execz .LBB4_6442
; %bb.6439:                             ;   in Loop: Header=BB4_6419 Depth=3
	buffer_load_dword v16, off, s[0:3], s33 offset:84 ; 4-byte Folded Reload
	buffer_load_dword v17, off, s[0:3], s33 offset:88 ; 4-byte Folded Reload
	;; [unrolled: 1-line block ×4, first 2 shown]
	s_waitcnt vmcnt(0)
	v_mad_u64_u32 v[13:14], s[26:27], v15, 24, v[16:17]
	v_mov_b32_e32 v1, v14
	v_mad_u64_u32 v[10:11], s[26:27], v3, 24, v[1:2]
	v_mov_b32_e32 v14, v10
	flat_load_dword v1, v[13:14]
                                        ; implicit-def: $vgpr10_vgpr11
	s_waitcnt vmcnt(0) lgkmcnt(0)
	v_cmp_ne_u32_e32 vcc, 1, v1
	v_cmp_eq_u32_e64 s[26:27], 1, v1
	s_and_saveexec_b64 s[94:95], s[26:27]
	s_cbranch_execz .LBB4_6441
; %bb.6440:                             ;   in Loop: Header=BB4_6419 Depth=3
	flat_load_dword v10, v[13:14] offset:4 glc
	s_waitcnt vmcnt(0) lgkmcnt(0)
	v_ashrrev_i32_e32 v11, 31, v10
.LBB4_6441:                             ;   in Loop: Header=BB4_6419 Depth=3
	s_or_b64 exec, exec, s[94:95]
	s_orn2_b64 s[26:27], vcc, exec
.LBB4_6442:                             ;   in Loop: Header=BB4_6419 Depth=3
	s_or_b64 exec, exec, s[40:41]
	s_and_saveexec_b64 s[40:41], s[26:27]
	s_cbranch_execz .LBB4_6444
; %bb.6443:                             ;   in Loop: Header=BB4_6419 Depth=3
	buffer_load_dword v10, off, s[0:3], s33 offset:116 ; 4-byte Folded Reload
	buffer_load_dword v11, off, s[0:3], s33 offset:136 ; 4-byte Folded Reload
	s_waitcnt vmcnt(0)
	v_mul_lo_u32 v1, v3, v10
	v_mul_lo_u32 v13, v15, v11
	v_mad_u64_u32 v[10:11], s[26:27], v15, v10, 0
	v_add3_u32 v11, v11, v13, v1
.LBB4_6444:                             ;   in Loop: Header=BB4_6419 Depth=3
	s_or_b64 exec, exec, s[40:41]
	v_cmp_eq_u32_e32 vcc, 0, v2
	v_mov_b32_e32 v1, 0xd0
	v_mov_b32_e32 v2, 0x88
	v_cndmask_b32_e32 v13, v1, v2, vcc
	buffer_load_dword v1, off, s[0:3], s33 offset:76 ; 4-byte Folded Reload
	buffer_load_dword v2, off, s[0:3], s33 offset:80 ; 4-byte Folded Reload
	s_waitcnt vmcnt(0)
	v_add_co_u32_e32 v1, vcc, v1, v10
	v_addc_co_u32_e32 v2, vcc, v2, v11, vcc
	v_add_u32_e32 v10, v0, v13
	ds_write_b64 v10, v[1:2] offset:584
	v_and_b32_e32 v1, 0x2000, v4
	v_cmp_ne_u32_e32 vcc, 0, v1
	s_and_saveexec_b64 s[26:27], vcc
	s_cbranch_execz .LBB4_6446
; %bb.6445:                             ;   in Loop: Header=BB4_6419 Depth=3
	ds_read_b64 v[1:2], v0 offset:872
	s_waitcnt lgkmcnt(0)
	v_add_co_u32_e32 v1, vcc, 1, v1
	v_addc_co_u32_e32 v2, vcc, 0, v2, vcc
	ds_write_b64 v0, v[1:2] offset:872
.LBB4_6446:                             ;   in Loop: Header=BB4_6419 Depth=3
	s_or_b64 exec, exec, s[26:27]
	buffer_store_dword v8, off, s[0:3], s33 offset:56 ; 4-byte Folded Spill
	s_nop 0
	buffer_store_dword v9, off, s[0:3], s33 offset:60 ; 4-byte Folded Spill
.LBB4_6447:                             ;   in Loop: Header=BB4_6419 Depth=3
	s_or_b64 exec, exec, s[28:29]
	s_and_saveexec_b64 s[26:27], s[10:11]
	s_cbranch_execz .LBB4_6466
; %bb.6448:                             ;   in Loop: Header=BB4_6419 Depth=3
	s_and_saveexec_b64 s[28:29], s[58:59]
	s_xor_b64 s[28:29], exec, s[28:29]
	s_cbranch_execz .LBB4_6463
; %bb.6449:                             ;   in Loop: Header=BB4_6419 Depth=3
	s_and_saveexec_b64 s[40:41], s[16:17]
	s_cbranch_execz .LBB4_6462
; %bb.6450:                             ;   in Loop: Header=BB4_6419 Depth=3
	s_mov_b64 s[30:31], exec
	v_mbcnt_lo_u32_b32 v1, s30, 0
	v_mbcnt_hi_u32_b32 v1, s31, v1
	v_cmp_eq_u32_e32 vcc, 0, v1
	s_waitcnt vmcnt(0) lgkmcnt(0)
	buffer_wbinvl1_vol
	s_and_saveexec_b64 s[94:95], vcc
	s_cbranch_execz .LBB4_6452
; %bb.6451:                             ;   in Loop: Header=BB4_6419 Depth=3
	s_bcnt1_i32_b64 s44, s[30:31]
	v_mov_b32_e32 v2, s44
	ds_add_u64 v0, v[2:3]
	s_trap 2
.LBB4_6452:                             ;   in Loop: Header=BB4_6419 Depth=3
	s_or_b64 exec, exec, s[94:95]
	s_trap 2
	ds_read_b64 v[1:2], v0
	s_waitcnt lgkmcnt(0)
	v_add_co_u32_e32 v38, vcc, v38, v29
	v_addc_co_u32_e32 v39, vcc, 0, v39, vcc
	v_cmp_lt_u64_e32 vcc, v[1:2], v[38:39]
	s_and_saveexec_b64 s[94:95], vcc
	s_cbranch_execz .LBB4_6461
; %bb.6453:                             ;   in Loop: Header=BB4_6419 Depth=3
	s_mov_b32 s44, 0
	s_mov_b64 s[30:31], 0
                                        ; implicit-def: $sgpr34_sgpr35
                                        ; implicit-def: $sgpr36_sgpr37
	s_branch .LBB4_6455
.LBB4_6454:                             ;   in Loop: Header=BB4_6455 Depth=4
	s_or_b64 exec, exec, s[48:49]
	s_and_b64 vcc, exec, vcc
	s_or_b64 s[30:31], vcc, s[30:31]
	s_andn2_b64 vcc, s[34:35], exec
	s_and_b64 s[34:35], s[36:37], exec
	s_or_b64 s[34:35], vcc, s[34:35]
	s_andn2_b64 exec, exec, s[30:31]
	s_cbranch_execz .LBB4_6459
.LBB4_6455:                             ;   Parent Loop BB4_47 Depth=1
                                        ;     Parent Loop BB4_6416 Depth=2
                                        ;       Parent Loop BB4_6419 Depth=3
                                        ; =>      This Inner Loop Header: Depth=4
	s_add_i32 s44, s44, 1
	s_cmpk_lg_i32 s44, 0x2710
	s_cselect_b64 s[38:39], -1, 0
	s_and_b64 vcc, exec, s[38:39]
	s_cbranch_vccz .LBB4_6457
; %bb.6456:                             ;   in Loop: Header=BB4_6455 Depth=4
	s_mov_b64 vcc, -1
	s_or_b64 s[36:37], s[36:37], exec
	s_and_saveexec_b64 s[48:49], s[38:39]
	s_cbranch_execz .LBB4_6454
	s_branch .LBB4_6458
.LBB4_6457:                             ;   in Loop: Header=BB4_6455 Depth=4
	s_trap 2
	ds_read_b64 v[1:2], v0
	s_andn2_b64 s[38:39], s[38:39], exec
	s_mov_b32 s44, 0
	s_waitcnt lgkmcnt(0)
	flat_load_dword v1, v[1:2] glc
	s_waitcnt vmcnt(0) lgkmcnt(0)
	buffer_wbinvl1_vol
	v_cmp_eq_u32_e32 vcc, 0, v1
	s_and_b64 vcc, vcc, exec
	s_or_b64 s[38:39], s[38:39], vcc
	s_mov_b64 vcc, -1
	s_or_b64 s[36:37], s[36:37], exec
	s_and_saveexec_b64 s[48:49], s[38:39]
	s_cbranch_execz .LBB4_6454
.LBB4_6458:                             ;   in Loop: Header=BB4_6455 Depth=4
	s_sleep 1
	s_trap 2
	ds_read_b64 v[1:2], v0
	s_waitcnt lgkmcnt(0)
	s_andn2_b64 s[36:37], s[36:37], exec
	v_cmp_ge_u64_e32 vcc, v[1:2], v[38:39]
	s_orn2_b64 vcc, vcc, exec
	s_branch .LBB4_6454
.LBB4_6459:                             ;   in Loop: Header=BB4_6419 Depth=3
	s_or_b64 exec, exec, s[30:31]
	s_and_saveexec_b64 s[44:45], s[34:35]
	s_xor_b64 s[44:45], exec, s[44:45]
	s_cbranch_execz .LBB4_6461
; %bb.6460:                             ;   in Loop: Header=BB4_6419 Depth=3
	v_mov_b32_e32 v1, 1
	ds_write_b32 v0, v1
	s_trap 2
.LBB4_6461:                             ;   in Loop: Header=BB4_6419 Depth=3
	s_or_b64 exec, exec, s[94:95]
	;;#ASMSTART
	s_wakeup
	;;#ASMEND
.LBB4_6462:                             ;   in Loop: Header=BB4_6419 Depth=3
	s_or_b64 exec, exec, s[40:41]
.LBB4_6463:                             ;   in Loop: Header=BB4_6419 Depth=3
	s_andn2_saveexec_b64 s[28:29], s[28:29]
	s_cbranch_execz .LBB4_6465
; %bb.6464:                             ;   in Loop: Header=BB4_6419 Depth=3
	s_waitcnt vmcnt(0) lgkmcnt(0)
	buffer_wbinvl1_vol
	s_barrier
.LBB4_6465:                             ;   in Loop: Header=BB4_6419 Depth=3
	s_or_b64 exec, exec, s[28:29]
.LBB4_6466:                             ;   in Loop: Header=BB4_6419 Depth=3
	s_or_b64 exec, exec, s[26:27]
	s_trap 2
	s_waitcnt vmcnt(0)
	ds_read_b32 v8, v0
	v_and_b32_e32 v1, 0x4000, v4
	v_cmp_ne_u32_e32 vcc, 0, v1
	s_xor_b64 s[26:27], s[6:7], -1
	s_and_b64 s[28:29], s[26:27], vcc
	s_and_saveexec_b64 s[26:27], s[28:29]
	s_cbranch_execz .LBB4_6485
; %bb.6467:                             ;   in Loop: Header=BB4_6419 Depth=3
	s_and_saveexec_b64 s[28:29], s[58:59]
	s_xor_b64 s[28:29], exec, s[28:29]
	s_cbranch_execz .LBB4_6482
; %bb.6468:                             ;   in Loop: Header=BB4_6419 Depth=3
	s_and_saveexec_b64 s[40:41], s[16:17]
	s_cbranch_execz .LBB4_6481
; %bb.6469:                             ;   in Loop: Header=BB4_6419 Depth=3
	s_mov_b64 s[30:31], exec
	v_mbcnt_lo_u32_b32 v1, s30, 0
	v_mbcnt_hi_u32_b32 v1, s31, v1
	v_cmp_eq_u32_e32 vcc, 0, v1
	s_waitcnt vmcnt(0) lgkmcnt(0)
	buffer_wbinvl1_vol
	s_and_saveexec_b64 s[94:95], vcc
	s_cbranch_execz .LBB4_6471
; %bb.6470:                             ;   in Loop: Header=BB4_6419 Depth=3
	s_bcnt1_i32_b64 s44, s[30:31]
	v_mov_b32_e32 v2, s44
	ds_add_u64 v0, v[2:3]
	s_trap 2
.LBB4_6471:                             ;   in Loop: Header=BB4_6419 Depth=3
	s_or_b64 exec, exec, s[94:95]
	s_trap 2
	ds_read_b64 v[1:2], v0
	s_waitcnt lgkmcnt(0)
	v_add_co_u32_e32 v38, vcc, v38, v29
	v_addc_co_u32_e32 v39, vcc, 0, v39, vcc
	v_cmp_lt_u64_e32 vcc, v[1:2], v[38:39]
	s_and_saveexec_b64 s[94:95], vcc
	s_cbranch_execz .LBB4_6480
; %bb.6472:                             ;   in Loop: Header=BB4_6419 Depth=3
	s_mov_b32 s44, 0
	s_mov_b64 s[30:31], 0
                                        ; implicit-def: $sgpr34_sgpr35
                                        ; implicit-def: $sgpr36_sgpr37
	s_branch .LBB4_6474
.LBB4_6473:                             ;   in Loop: Header=BB4_6474 Depth=4
	s_or_b64 exec, exec, s[48:49]
	s_and_b64 vcc, exec, vcc
	s_or_b64 s[30:31], vcc, s[30:31]
	s_andn2_b64 vcc, s[34:35], exec
	s_and_b64 s[34:35], s[36:37], exec
	s_or_b64 s[34:35], vcc, s[34:35]
	s_andn2_b64 exec, exec, s[30:31]
	s_cbranch_execz .LBB4_6478
.LBB4_6474:                             ;   Parent Loop BB4_47 Depth=1
                                        ;     Parent Loop BB4_6416 Depth=2
                                        ;       Parent Loop BB4_6419 Depth=3
                                        ; =>      This Inner Loop Header: Depth=4
	s_add_i32 s44, s44, 1
	s_cmpk_lg_i32 s44, 0x2710
	s_cselect_b64 s[38:39], -1, 0
	s_and_b64 vcc, exec, s[38:39]
	s_cbranch_vccz .LBB4_6476
; %bb.6475:                             ;   in Loop: Header=BB4_6474 Depth=4
	s_mov_b64 vcc, -1
	s_or_b64 s[36:37], s[36:37], exec
	s_and_saveexec_b64 s[48:49], s[38:39]
	s_cbranch_execz .LBB4_6473
	s_branch .LBB4_6477
.LBB4_6476:                             ;   in Loop: Header=BB4_6474 Depth=4
	s_trap 2
	ds_read_b64 v[1:2], v0
	s_andn2_b64 s[38:39], s[38:39], exec
	s_mov_b32 s44, 0
	s_waitcnt lgkmcnt(0)
	flat_load_dword v1, v[1:2] glc
	s_waitcnt vmcnt(0) lgkmcnt(0)
	buffer_wbinvl1_vol
	v_cmp_eq_u32_e32 vcc, 0, v1
	s_and_b64 vcc, vcc, exec
	s_or_b64 s[38:39], s[38:39], vcc
	s_mov_b64 vcc, -1
	s_or_b64 s[36:37], s[36:37], exec
	s_and_saveexec_b64 s[48:49], s[38:39]
	s_cbranch_execz .LBB4_6473
.LBB4_6477:                             ;   in Loop: Header=BB4_6474 Depth=4
	s_sleep 1
	s_trap 2
	ds_read_b64 v[1:2], v0
	s_waitcnt lgkmcnt(0)
	s_andn2_b64 s[36:37], s[36:37], exec
	v_cmp_ge_u64_e32 vcc, v[1:2], v[38:39]
	s_orn2_b64 vcc, vcc, exec
	s_branch .LBB4_6473
.LBB4_6478:                             ;   in Loop: Header=BB4_6419 Depth=3
	s_or_b64 exec, exec, s[30:31]
	s_and_saveexec_b64 s[44:45], s[34:35]
	s_xor_b64 s[44:45], exec, s[44:45]
	s_cbranch_execz .LBB4_6480
; %bb.6479:                             ;   in Loop: Header=BB4_6419 Depth=3
	v_mov_b32_e32 v1, 1
	ds_write_b32 v0, v1
	s_trap 2
.LBB4_6480:                             ;   in Loop: Header=BB4_6419 Depth=3
	s_or_b64 exec, exec, s[94:95]
	;;#ASMSTART
	s_wakeup
	;;#ASMEND
.LBB4_6481:                             ;   in Loop: Header=BB4_6419 Depth=3
	s_or_b64 exec, exec, s[40:41]
.LBB4_6482:                             ;   in Loop: Header=BB4_6419 Depth=3
	s_andn2_saveexec_b64 s[28:29], s[28:29]
	s_cbranch_execz .LBB4_6484
; %bb.6483:                             ;   in Loop: Header=BB4_6419 Depth=3
	s_waitcnt vmcnt(0) lgkmcnt(0)
	buffer_wbinvl1_vol
	s_barrier
.LBB4_6484:                             ;   in Loop: Header=BB4_6419 Depth=3
	s_or_b64 exec, exec, s[28:29]
.LBB4_6485:                             ;   in Loop: Header=BB4_6419 Depth=3
	s_or_b64 exec, exec, s[26:27]
	s_trap 2
	ds_read_b64 v[13:14], v0
	s_waitcnt lgkmcnt(0)
	v_cmp_eq_u64_e32 vcc, 0, v[13:14]
	s_cbranch_vccnz .LBB4_6494
; %bb.6486:                             ;   in Loop: Header=BB4_6419 Depth=3
	s_trap 2
	ds_read_b64 v[15:16], v0
	s_waitcnt lgkmcnt(0)
	v_cmp_eq_u64_e32 vcc, 0, v[15:16]
	s_cbranch_vccnz .LBB4_6494
; %bb.6487:                             ;   in Loop: Header=BB4_6419 Depth=3
	s_trap 2
	ds_read_b64 v[17:18], v0
	v_cmp_eq_u32_e64 s[26:27], 0, v8
	v_cndmask_b32_e64 v2, 0, v12, s[26:27]
	s_waitcnt lgkmcnt(0)
	v_cmp_ne_u64_e32 vcc, 0, v[17:18]
	s_cbranch_vccz .LBB4_6499
; %bb.6488:                             ;   in Loop: Header=BB4_6419 Depth=3
	s_mov_b64 s[28:29], -1
	s_and_saveexec_b64 s[26:27], s[20:21]
	s_cbranch_execz .LBB4_6490
; %bb.6489:                             ;   in Loop: Header=BB4_6419 Depth=3
	ds_read_b32 v1, v0 offset:720
	s_waitcnt lgkmcnt(0)
	v_and_b32_e32 v1, 15, v1
	v_cmp_eq_u32_e32 vcc, 0, v1
	s_orn2_b64 s[28:29], vcc, exec
.LBB4_6490:                             ;   in Loop: Header=BB4_6419 Depth=3
	s_or_b64 exec, exec, s[26:27]
	s_and_saveexec_b64 s[26:27], s[22:23]
	s_cbranch_execz .LBB4_6492
; %bb.6491:                             ;   in Loop: Header=BB4_6419 Depth=3
	ds_read_b32 v1, v0 offset:784
	s_waitcnt lgkmcnt(0)
	v_and_b32_e32 v1, 15, v1
	v_cmp_eq_u32_e32 vcc, 0, v1
	s_and_b64 s[40:41], s[28:29], vcc
	s_andn2_b64 s[28:29], s[28:29], exec
	s_and_b64 s[40:41], s[40:41], exec
	s_or_b64 s[28:29], s[28:29], s[40:41]
.LBB4_6492:                             ;   in Loop: Header=BB4_6419 Depth=3
	s_or_b64 exec, exec, s[26:27]
	buffer_load_dword v8, off, s[0:3], s33 offset:112 ; 4-byte Folded Reload
	s_xor_b64 s[28:29], s[28:29], -1
	v_cndmask_b32_e64 v1, 0, 1, s[28:29]
	s_mov_b64 s[26:27], -1
	v_mov_b32_e32 v19, 0
	v_cmp_ne_u32_e32 vcc, 0, v1
	v_mov_b32_e32 v20, v2
	v_mov_b32_e32 v22, v41
	s_cbranch_vccz .LBB4_6501
; %bb.6493:                             ;   in Loop: Header=BB4_6419 Depth=3
	s_and_saveexec_b64 s[40:41], s[26:27]
	s_cbranch_execnz .LBB4_6516
	s_branch .LBB4_6526
.LBB4_6494:                             ;   in Loop: Header=BB4_6419 Depth=3
	s_mov_b64 s[26:27], 0
	s_and_saveexec_b64 s[28:29], s[10:11]
	s_cbranch_execnz .LBB4_6555
.LBB4_6495:                             ;   in Loop: Header=BB4_6419 Depth=3
	s_or_b64 exec, exec, s[28:29]
                                        ; implicit-def: $vgpr1
	s_and_saveexec_b64 s[28:29], s[24:25]
	s_xor_b64 s[28:29], exec, s[28:29]
	s_cbranch_execz .LBB4_6573
.LBB4_6496:                             ;   in Loop: Header=BB4_6419 Depth=3
	v_and_b32_e32 v2, 16, v4
	v_cmp_ne_u32_e32 vcc, 0, v2
	v_and_b32_e32 v1, 16, v4
	s_and_b64 s[40:41], vcc, s[26:27]
	s_and_saveexec_b64 s[26:27], s[40:41]
	s_cbranch_execz .LBB4_6498
; %bb.6497:                             ;   in Loop: Header=BB4_6419 Depth=3
	v_mov_b32_e32 v1, 1
	s_waitcnt vmcnt(0) lgkmcnt(0)
	buffer_wbinvl1_vol
.LBB4_6498:                             ;   in Loop: Header=BB4_6419 Depth=3
	s_or_b64 exec, exec, s[26:27]
	s_andn2_saveexec_b64 s[26:27], s[28:29]
	s_cbranch_execz .LBB4_6592
	s_branch .LBB4_6574
.LBB4_6499:                             ;   in Loop: Header=BB4_6419 Depth=3
	s_cbranch_execnz .LBB4_6527
.LBB4_6500:                             ;   in Loop: Header=BB4_6419 Depth=3
	v_cmp_lt_i32_e64 s[26:27], 0, v2
	s_and_saveexec_b64 s[28:29], s[10:11]
	s_cbranch_execnz .LBB4_6555
	s_branch .LBB4_6495
.LBB4_6501:                             ;   in Loop: Header=BB4_6419 Depth=3
	v_ashrrev_i32_e32 v1, 31, v2
	v_lshrrev_b32_e32 v1, 21, v1
	v_add_u32_e32 v1, v2, v1
	v_ashrrev_i32_e32 v22, 11, v1
	buffer_load_dword v1, off, s[0:3], s33 offset:112 ; 4-byte Folded Reload
	s_waitcnt vmcnt(0)
	v_sub_u32_e32 v24, v22, v1
	v_cmp_lt_i32_e32 vcc, 0, v24
	s_and_saveexec_b64 s[26:27], vcc
	s_cbranch_execz .LBB4_6505
; %bb.6502:                             ;   in Loop: Header=BB4_6419 Depth=3
	buffer_load_dword v1, off, s[0:3], s33 offset:228 ; 4-byte Folded Reload
	buffer_load_dword v20, off, s[0:3], s33 offset:232 ; 4-byte Folded Reload
	s_mov_b64 s[28:29], 0
	s_waitcnt vmcnt(1)
	v_add_co_u32_e32 v8, vcc, v13, v1
	s_waitcnt vmcnt(0)
	v_addc_co_u32_e32 v9, vcc, v14, v20, vcc
	v_add_co_u32_e32 v10, vcc, v15, v1
	v_addc_co_u32_e32 v11, vcc, v16, v20, vcc
	v_add_co_u32_e32 v19, vcc, v17, v1
	buffer_load_dword v1, off, s[0:3], s33 offset:72 ; 4-byte Folded Reload
	v_addc_co_u32_e32 v20, vcc, v18, v20, vcc
.LBB4_6503:                             ;   Parent Loop BB4_47 Depth=1
                                        ;     Parent Loop BB4_6416 Depth=2
                                        ;       Parent Loop BB4_6419 Depth=3
                                        ; =>      This Inner Loop Header: Depth=4
	global_load_dwordx4 v[25:28], v[8:9], off glc slc
	global_load_dwordx4 v[34:37], v[8:9], off offset:1024 glc slc
	s_waitcnt vmcnt(2)
	v_add_co_u32_e32 v8, vcc, v8, v1
	v_addc_co_u32_e32 v9, vcc, 0, v9, vcc
	v_sub_u32_e32 v24, v24, v29
	v_cmp_gt_i32_e32 vcc, 1, v24
	s_or_b64 s[28:29], vcc, s[28:29]
	s_waitcnt vmcnt(1)
	global_store_dwordx4 v[10:11], v[25:28], off glc slc
	s_waitcnt vmcnt(1)
	global_store_dwordx4 v[10:11], v[34:37], off offset:1024 glc slc
	global_store_dwordx4 v[19:20], v[25:28], off glc slc
	global_store_dwordx4 v[19:20], v[34:37], off offset:1024 glc slc
	v_add_co_u32_e32 v10, vcc, v10, v1
	v_addc_co_u32_e32 v11, vcc, 0, v11, vcc
	v_add_co_u32_e32 v19, vcc, v19, v1
	v_addc_co_u32_e32 v20, vcc, 0, v20, vcc
	s_andn2_b64 exec, exec, s[28:29]
	s_cbranch_execnz .LBB4_6503
; %bb.6504:                             ;   in Loop: Header=BB4_6419 Depth=3
	s_or_b64 exec, exec, s[28:29]
.LBB4_6505:                             ;   in Loop: Header=BB4_6419 Depth=3
	s_or_b64 exec, exec, s[26:27]
	v_lshlrev_b32_e32 v23, 11, v22
	v_cmp_ne_u32_e32 vcc, v2, v23
	s_mov_b64 s[26:27], 0
	v_mov_b32_e32 v19, 0
                                        ; implicit-def: $vgpr20
                                        ; implicit-def: $vgpr22
                                        ; implicit-def: $vgpr8
	s_and_saveexec_b64 s[94:95], vcc
	s_cbranch_execz .LBB4_6515
; %bb.6506:                             ;   in Loop: Header=BB4_6419 Depth=3
	buffer_load_dword v9, off, s[0:3], s33 offset:196 ; 4-byte Folded Reload
	v_lshlrev_b32_e32 v1, 6, v24
	v_sub_u32_e32 v8, v2, v23
	s_waitcnt vmcnt(0)
	v_sub_u32_e32 v1, v9, v1
	v_ashrrev_i32_e32 v9, 31, v1
	v_lshrrev_b32_e32 v9, 26, v9
	v_add_u32_e32 v9, v1, v9
	v_ashrrev_i32_e32 v10, 6, v9
	v_and_b32_e32 v9, 0xffffffc0, v9
	v_sub_u32_e32 v24, v1, v9
	v_ashrrev_i32_e32 v9, 31, v8
	v_lshrrev_b32_e32 v9, 22, v9
	v_add_u32_e32 v9, v8, v9
	v_and_b32_e32 v25, 0xfffffc00, v9
	v_lshlrev_b32_e32 v1, 4, v24
	v_sub_u32_e32 v27, v8, v25
	v_lshl_add_u32 v1, v10, 10, v1
	v_ashrrev_i32_e32 v11, 10, v9
	v_cmp_lt_i32_e64 s[26:27], 15, v27
	v_sub_u32_e32 v22, v8, v1
	v_addc_co_u32_e64 v8, vcc, 0, v11, s[26:27]
	v_sub_u32_e32 v26, v8, v10
	v_cmp_lt_i32_e32 vcc, 15, v22
	s_and_saveexec_b64 s[30:31], vcc
	s_cbranch_execz .LBB4_6512
; %bb.6507:                             ;   in Loop: Header=BB4_6419 Depth=3
	v_add_u32_e32 v1, v1, v23
	v_ashrrev_i32_e32 v8, 31, v1
	v_add_co_u32_e32 v19, vcc, v1, v13
	v_addc_co_u32_e32 v20, vcc, v8, v14, vcc
	v_add_co_u32_e32 v28, vcc, v1, v15
	v_addc_co_u32_e32 v29, vcc, v8, v16, vcc
	;; [unrolled: 2-line block ×3, first 2 shown]
	s_mov_b64 s[34:35], 0
.LBB4_6508:                             ;   Parent Loop BB4_47 Depth=1
                                        ;     Parent Loop BB4_6416 Depth=2
                                        ;       Parent Loop BB4_6419 Depth=3
                                        ; =>      This Loop Header: Depth=4
                                        ;           Child Loop BB4_6509 Depth 5
	global_load_dwordx4 v[8:11], v[19:20], off glc slc
	s_mov_b64 s[36:37], -1
	s_mov_b64 s[38:39], 0
	s_waitcnt vmcnt(0)
.LBB4_6509:                             ;   Parent Loop BB4_47 Depth=1
                                        ;     Parent Loop BB4_6416 Depth=2
                                        ;       Parent Loop BB4_6419 Depth=3
                                        ;         Parent Loop BB4_6508 Depth=4
                                        ; =>        This Inner Loop Header: Depth=5
	s_cmp_eq_u32 s38, 1
	s_cselect_b64 s[28:29], -1, 0
	v_cndmask_b32_e64 v34, v28, v30, s[28:29]
	v_cndmask_b32_e64 v35, v29, v31, s[28:29]
	v_add_co_u32_e32 v1, vcc, 0x400, v34
	s_cmp_eq_u32 s38, 0
	global_store_dwordx4 v[34:35], v[8:11], off glc slc
	v_addc_co_u32_e32 v34, vcc, 0, v35, vcc
	s_cselect_b64 vcc, -1, 0
	s_and_b64 s[40:41], exec, s[36:37]
	s_mov_b64 s[38:39], 1
	v_cndmask_b32_e64 v30, v30, v1, s[28:29]
	s_mov_b64 s[36:37], 0
	v_cndmask_b32_e64 v31, v31, v34, s[28:29]
	v_cndmask_b32_e32 v29, v29, v34, vcc
	v_cndmask_b32_e32 v28, v28, v1, vcc
	s_mov_b64 vcc, s[40:41]
	s_cbranch_vccnz .LBB4_6509
; %bb.6510:                             ;   in Loop: Header=BB4_6508 Depth=4
	buffer_load_dword v1, off, s[0:3], s33 offset:140 ; 4-byte Folded Reload
	buffer_load_dword v8, off, s[0:3], s33 offset:144 ; 4-byte Folded Reload
	s_waitcnt vmcnt(1)
	v_add_co_u32_e32 v28, vcc, v28, v1
	s_waitcnt vmcnt(0)
	v_addc_co_u32_e32 v29, vcc, v29, v8, vcc
	v_add_co_u32_e32 v30, vcc, v30, v1
	buffer_load_dword v1, off, s[0:3], s33 offset:148 ; 4-byte Folded Reload
	v_addc_co_u32_e32 v31, vcc, v31, v8, vcc
	s_waitcnt vmcnt(0)
	v_add_co_u32_e32 v19, vcc, v1, v19
	buffer_load_dword v1, off, s[0:3], s33 offset:152 ; 4-byte Folded Reload
	s_waitcnt vmcnt(0)
	v_addc_co_u32_e32 v20, vcc, v1, v20, vcc
	buffer_load_dword v1, off, s[0:3], s33 offset:68 ; 4-byte Folded Reload
	s_waitcnt vmcnt(0)
	v_sub_u32_e32 v22, v22, v1
	buffer_load_dword v1, off, s[0:3], s33 offset:64 ; 4-byte Folded Reload
	v_cmp_gt_i32_e32 vcc, 16, v22
	s_or_b64 s[34:35], vcc, s[34:35]
	s_waitcnt vmcnt(0)
	v_sub_u32_e32 v26, v26, v1
	s_andn2_b64 exec, exec, s[34:35]
	s_cbranch_execnz .LBB4_6508
; %bb.6511:                             ;   in Loop: Header=BB4_6419 Depth=3
	s_or_b64 exec, exec, s[34:35]
	buffer_load_dword v29, off, s[0:3], s33 offset:64 ; 4-byte Folded Reload
.LBB4_6512:                             ;   in Loop: Header=BB4_6419 Depth=3
	s_or_b64 exec, exec, s[30:31]
	v_and_b32_e32 v1, 15, v2
	v_cndmask_b32_e64 v20, v27, v1, s[26:27]
	v_mov_b32_e32 v19, 0
	v_cmp_ne_u32_e32 vcc, 0, v20
	s_mov_b64 s[40:41], 0
                                        ; implicit-def: $vgpr22
                                        ; implicit-def: $vgpr8
	s_and_saveexec_b64 s[28:29], vcc
	s_cbranch_execz .LBB4_6514
; %bb.6513:                             ;   in Loop: Header=BB4_6419 Depth=3
	v_sub_u32_e32 v1, v27, v1
	v_cndmask_b32_e64 v1, 0, v1, s[26:27]
	v_cmp_lt_i32_e32 vcc, 0, v26
	v_add3_u32 v19, v25, v23, v1
	s_waitcnt vmcnt(0)
	v_cndmask_b32_e32 v1, 0, v29, vcc
	v_sub_u32_e32 v1, v1, v26
	v_lshl_add_u32 v22, v1, 6, v24
	v_ashrrev_i32_e32 v1, 31, v22
	v_lshrrev_b32_e32 v1, 26, v1
	v_add_u32_e32 v1, v22, v1
	v_ashrrev_i32_e32 v8, 6, v1
	s_mov_b64 s[40:41], exec
.LBB4_6514:                             ;   in Loop: Header=BB4_6419 Depth=3
	s_or_b64 exec, exec, s[28:29]
	s_and_b64 s[26:27], s[40:41], exec
.LBB4_6515:                             ;   in Loop: Header=BB4_6419 Depth=3
	s_or_b64 exec, exec, s[94:95]
	s_and_saveexec_b64 s[40:41], s[26:27]
	s_cbranch_execz .LBB4_6526
.LBB4_6516:                             ;   in Loop: Header=BB4_6419 Depth=3
	v_ashrrev_i32_e32 v1, 31, v20
	v_lshrrev_b32_e32 v1, 22, v1
	v_add_u32_e32 v1, v20, v1
	v_ashrrev_i32_e32 v25, 10, v1
	s_waitcnt vmcnt(0)
	v_sub_u32_e32 v23, v25, v8
	v_ashrrev_i32_e32 v1, 31, v22
	v_cmp_lt_i32_e32 vcc, 0, v23
	v_lshrrev_b32_e32 v24, 26, v1
	s_and_saveexec_b64 s[26:27], vcc
	s_cbranch_execz .LBB4_6520
; %bb.6517:                             ;   in Loop: Header=BB4_6419 Depth=3
	buffer_load_dword v40, off, s[0:3], s33 offset:68 ; 4-byte Folded Reload
	v_add_u32_e32 v1, v22, v24
	v_and_b32_e32 v1, 0xffffffc0, v1
	v_sub_u32_e32 v1, v22, v1
	v_lshlrev_b32_e32 v8, 10, v8
	v_add3_u32 v1, v19, v1, v8
	v_ashrrev_i32_e32 v26, 31, v1
	v_add_co_u32_e32 v8, vcc, v1, v15
	v_addc_co_u32_e32 v9, vcc, v26, v16, vcc
	v_add_co_u32_e32 v10, vcc, v1, v17
	v_addc_co_u32_e32 v11, vcc, v26, v18, vcc
	;; [unrolled: 2-line block ×4, first 2 shown]
	s_mov_b64 s[28:29], 0
.LBB4_6518:                             ;   Parent Loop BB4_47 Depth=1
                                        ;     Parent Loop BB4_6416 Depth=2
                                        ;       Parent Loop BB4_6419 Depth=3
                                        ; =>      This Inner Loop Header: Depth=4
	v_add_co_u32_e32 v26, vcc, 0xfffffc40, v17
	v_addc_co_u32_e32 v27, vcc, -1, v18, vcc
	flat_load_ubyte v26, v[26:27] glc slc
	v_add_co_u32_e32 v27, vcc, 0xfffffc80, v17
	v_addc_co_u32_e32 v28, vcc, -1, v18, vcc
	flat_load_ubyte v27, v[27:28] glc slc
	;; [unrolled: 3-line block ×4, first 2 shown]
	v_add_co_u32_e32 v30, vcc, 0xfffffd40, v17
	v_addc_co_u32_e32 v31, vcc, -1, v18, vcc
	v_add_co_u32_e32 v34, vcc, 0xfffffd80, v17
	v_addc_co_u32_e32 v35, vcc, -1, v18, vcc
	flat_load_ubyte v30, v[30:31] glc slc
	s_nop 0
	flat_load_ubyte v31, v[34:35] glc slc
	v_add_co_u32_e32 v34, vcc, 0xfffffdc0, v17
	v_addc_co_u32_e32 v35, vcc, -1, v18, vcc
	flat_load_ubyte v34, v[34:35] glc slc
	v_add_co_u32_e32 v35, vcc, 0xfffffe00, v17
	v_addc_co_u32_e32 v36, vcc, -1, v18, vcc
	;; [unrolled: 3-line block ×3, first 2 shown]
	v_add_co_u32_e32 v50, vcc, 0xfffffe80, v17
	v_addc_co_u32_e32 v51, vcc, -1, v18, vcc
	flat_load_ubyte v36, v[36:37] glc slc
	s_nop 0
	flat_load_ubyte v37, v[50:51] glc slc
	v_add_co_u32_e32 v50, vcc, 0xfffffec0, v17
	v_addc_co_u32_e32 v51, vcc, -1, v18, vcc
	flat_load_ubyte v50, v[50:51] glc slc
	v_add_co_u32_e32 v51, vcc, 0xffffff00, v17
	v_addc_co_u32_e32 v52, vcc, -1, v18, vcc
	;; [unrolled: 3-line block ×5, first 2 shown]
	flat_load_ubyte v54, v[54:55] glc slc
	s_nop 0
	flat_load_ubyte v1, v[17:18] glc slc
	s_waitcnt vmcnt(0) lgkmcnt(0)
	flat_store_byte v[8:9], v26 glc slc
	flat_store_byte v[8:9], v27 offset:64 glc slc
	flat_store_byte v[8:9], v28 offset:128 glc slc
	;; [unrolled: 1-line block ×15, first 2 shown]
	flat_store_byte v[10:11], v26 glc slc
	flat_store_byte v[10:11], v27 offset:64 glc slc
	flat_store_byte v[10:11], v28 offset:128 glc slc
	flat_store_byte v[10:11], v29 offset:192 glc slc
	buffer_load_dword v29, off, s[0:3], s33 offset:64 ; 4-byte Folded Reload
	v_add_co_u32_e32 v8, vcc, v8, v40
	v_addc_co_u32_e32 v9, vcc, 0, v9, vcc
	flat_store_byte v[10:11], v30 offset:256 glc slc
	flat_store_byte v[10:11], v31 offset:320 glc slc
	;; [unrolled: 1-line block ×12, first 2 shown]
	v_add_co_u32_e32 v10, vcc, v10, v40
	v_addc_co_u32_e32 v11, vcc, 0, v11, vcc
	v_add_co_u32_e32 v17, vcc, v17, v40
	v_addc_co_u32_e32 v18, vcc, 0, v18, vcc
	s_waitcnt vmcnt(0)
	v_sub_u32_e32 v23, v23, v29
	v_cmp_gt_i32_e32 vcc, 1, v23
	s_or_b64 s[28:29], vcc, s[28:29]
	s_andn2_b64 exec, exec, s[28:29]
	s_cbranch_execnz .LBB4_6518
; %bb.6519:                             ;   in Loop: Header=BB4_6419 Depth=3
	s_or_b64 exec, exec, s[28:29]
.LBB4_6520:                             ;   in Loop: Header=BB4_6419 Depth=3
	s_or_b64 exec, exec, s[26:27]
	v_lshlrev_b32_e32 v1, 10, v25
	v_cmp_ne_u32_e32 vcc, v20, v1
	s_and_b64 exec, exec, vcc
	s_cbranch_execz .LBB4_6526
; %bb.6521:                             ;   in Loop: Header=BB4_6419 Depth=3
	v_add_u32_e32 v8, v22, v24
	v_and_b32_e32 v8, 0xffffffc0, v8
	v_sub_u32_e32 v8, v22, v8
	v_lshlrev_b32_e32 v9, 6, v23
	v_sub_u32_e32 v8, v8, v9
	v_add_u32_e32 v1, v1, v8
	v_sub_u32_e32 v10, v20, v1
	v_cmp_lt_i32_e32 vcc, 0, v10
	s_and_b64 exec, exec, vcc
	s_cbranch_execz .LBB4_6526
; %bb.6522:                             ;   in Loop: Header=BB4_6419 Depth=3
	s_trap 2
	ds_read_b64 v[8:9], v0
	v_add_u32_e32 v1, v1, v19
	ds_read_b128 v[17:20], v0
	v_ashrrev_i32_e32 v22, 31, v1
	s_mov_b64 s[94:95], 0
	s_waitcnt lgkmcnt(0)
	v_add_co_u32_e32 v8, vcc, v8, v1
	v_addc_co_u32_e32 v9, vcc, v9, v22, vcc
	v_add_co_u32_e32 v11, vcc, v17, v1
	v_addc_co_u32_e32 v17, vcc, v18, v22, vcc
	;; [unrolled: 2-line block ×3, first 2 shown]
.LBB4_6523:                             ;   Parent Loop BB4_47 Depth=1
                                        ;     Parent Loop BB4_6416 Depth=2
                                        ;       Parent Loop BB4_6419 Depth=3
                                        ; =>      This Loop Header: Depth=4
                                        ;           Child Loop BB4_6524 Depth 5
	flat_load_ubyte v20, v[8:9] glc slc
	s_mov_b64 s[30:31], -1
	s_mov_b64 s[34:35], 0
	s_waitcnt vmcnt(0)
.LBB4_6524:                             ;   Parent Loop BB4_47 Depth=1
                                        ;     Parent Loop BB4_6416 Depth=2
                                        ;       Parent Loop BB4_6419 Depth=3
                                        ;         Parent Loop BB4_6523 Depth=4
                                        ; =>        This Inner Loop Header: Depth=5
	s_cmp_eq_u32 s34, 1
	s_cselect_b64 vcc, -1, 0
	v_cndmask_b32_e32 v22, v11, v18, vcc
	v_cndmask_b32_e32 v23, v17, v19, vcc
	v_add_co_u32_e64 v1, s[26:27], 64, v22
	s_cmp_eq_u32 s34, 0
	s_waitcnt lgkmcnt(0)
	flat_store_byte v[22:23], v20 glc slc
	v_addc_co_u32_e64 v22, s[26:27], 0, v23, s[26:27]
	s_cselect_b64 s[26:27], -1, 0
	s_and_b64 s[28:29], exec, s[30:31]
	s_mov_b64 s[34:35], 1
	s_mov_b64 s[30:31], 0
	v_cndmask_b32_e32 v19, v19, v22, vcc
	v_cndmask_b32_e32 v18, v18, v1, vcc
	v_cndmask_b32_e64 v17, v17, v22, s[26:27]
	v_cndmask_b32_e64 v11, v11, v1, s[26:27]
	s_mov_b64 vcc, s[28:29]
	s_cbranch_vccnz .LBB4_6524
; %bb.6525:                             ;   in Loop: Header=BB4_6523 Depth=4
	buffer_load_dword v1, off, s[0:3], s33 offset:120 ; 4-byte Folded Reload
	buffer_load_dword v20, off, s[0:3], s33 offset:124 ; 4-byte Folded Reload
	v_sub_u32_e32 v10, v10, v47
	s_waitcnt vmcnt(0)
	v_add_co_u32_e32 v11, vcc, v11, v1
	v_addc_co_u32_e32 v17, vcc, v17, v20, vcc
	v_add_co_u32_e32 v18, vcc, v18, v1
	buffer_load_dword v1, off, s[0:3], s33 offset:128 ; 4-byte Folded Reload
	v_addc_co_u32_e32 v19, vcc, v19, v20, vcc
	v_cmp_gt_i32_e32 vcc, 1, v10
	s_or_b64 s[94:95], vcc, s[94:95]
	s_waitcnt vmcnt(0)
	v_add_co_u32_e32 v8, vcc, v1, v8
	buffer_load_dword v1, off, s[0:3], s33 offset:132 ; 4-byte Folded Reload
	s_waitcnt vmcnt(0)
	v_addc_co_u32_e32 v9, vcc, v1, v9, vcc
	s_andn2_b64 exec, exec, s[94:95]
	s_cbranch_execnz .LBB4_6523
.LBB4_6526:                             ;   in Loop: Header=BB4_6419 Depth=3
	s_or_b64 exec, exec, s[40:41]
	s_branch .LBB4_6500
.LBB4_6527:                             ;   in Loop: Header=BB4_6419 Depth=3
	s_mov_b64 s[26:27], -1
	s_and_saveexec_b64 s[28:29], s[20:21]
	s_cbranch_execz .LBB4_6529
; %bb.6528:                             ;   in Loop: Header=BB4_6419 Depth=3
	ds_read_b32 v1, v0 offset:720
	s_waitcnt lgkmcnt(0)
	v_and_b32_e32 v1, 15, v1
	v_cmp_eq_u32_e32 vcc, 0, v1
	s_orn2_b64 s[26:27], vcc, exec
.LBB4_6529:                             ;   in Loop: Header=BB4_6419 Depth=3
	s_or_b64 exec, exec, s[28:29]
	s_and_saveexec_b64 s[28:29], s[18:19]
	s_cbranch_execz .LBB4_6531
; %bb.6530:                             ;   in Loop: Header=BB4_6419 Depth=3
	ds_read_b32 v1, v0 offset:784
	s_waitcnt lgkmcnt(0)
	v_and_b32_e32 v1, 15, v1
	v_cmp_eq_u32_e32 vcc, 0, v1
	s_and_b64 s[40:41], s[26:27], vcc
	s_andn2_b64 s[26:27], s[26:27], exec
	s_and_b64 s[40:41], s[40:41], exec
	s_or_b64 s[26:27], s[26:27], s[40:41]
.LBB4_6531:                             ;   in Loop: Header=BB4_6419 Depth=3
	s_or_b64 exec, exec, s[28:29]
	buffer_load_dword v18, off, s[0:3], s33 offset:112 ; 4-byte Folded Reload
	s_xor_b64 s[26:27], s[26:27], -1
	v_cndmask_b32_e64 v1, 0, 1, s[26:27]
	s_mov_b64 s[40:41], -1
	s_waitcnt vmcnt(0)
	v_mov_b32_e32 v8, 0
	v_cmp_ne_u32_e32 vcc, 0, v1
	v_mov_b32_e32 v9, v2
	v_mov_b32_e32 v10, v41
	s_cbranch_vccz .LBB4_6533
; %bb.6532:                             ;   in Loop: Header=BB4_6419 Depth=3
	s_and_saveexec_b64 s[26:27], s[40:41]
	s_cbranch_execnz .LBB4_6546
	s_branch .LBB4_6554
.LBB4_6533:                             ;   in Loop: Header=BB4_6419 Depth=3
	v_ashrrev_i32_e32 v1, 31, v2
	v_lshrrev_b32_e32 v1, 20, v1
	v_add_u32_e32 v1, v2, v1
	v_ashrrev_i32_e32 v18, 12, v1
	buffer_load_dword v1, off, s[0:3], s33 offset:112 ; 4-byte Folded Reload
	s_waitcnt vmcnt(0)
	v_sub_u32_e32 v17, v18, v1
	v_cmp_lt_i32_e32 vcc, 0, v17
	s_and_saveexec_b64 s[26:27], vcc
	s_cbranch_execz .LBB4_6537
; %bb.6534:                             ;   in Loop: Header=BB4_6419 Depth=3
	buffer_load_dword v30, off, s[0:3], s33 offset:236 ; 4-byte Folded Reload
	buffer_load_dword v31, off, s[0:3], s33 offset:240 ; 4-byte Folded Reload
	;; [unrolled: 1-line block ×3, first 2 shown]
	v_mov_b32_e32 v8, v15
	v_mov_b32_e32 v10, v13
	s_mov_b64 s[28:29], 0
	v_mov_b32_e32 v9, v16
	v_mov_b32_e32 v11, v14
	;; [unrolled: 1-line block ×3, first 2 shown]
.LBB4_6535:                             ;   Parent Loop BB4_47 Depth=1
                                        ;     Parent Loop BB4_6416 Depth=2
                                        ;       Parent Loop BB4_6419 Depth=3
                                        ; =>      This Inner Loop Header: Depth=4
	s_waitcnt vmcnt(0)
	v_add_co_u32_e32 v19, vcc, v31, v10
	v_addc_co_u32_e32 v20, vcc, v54, v11, vcc
	global_load_dwordx4 v[22:25], v[19:20], off glc slc
	global_load_dwordx4 v[26:29], v[19:20], off offset:1024 glc slc
	global_load_dwordx4 v[34:37], v[19:20], off offset:2048 glc slc
	;; [unrolled: 1-line block ×3, first 2 shown]
	v_add_co_u32_e32 v19, vcc, v31, v8
	v_addc_co_u32_e32 v20, vcc, v54, v9, vcc
	v_add_co_u32_e32 v10, vcc, v10, v30
	v_addc_co_u32_e32 v11, vcc, 0, v11, vcc
	v_add_co_u32_e32 v8, vcc, v8, v30
	v_sub_u32_e32 v17, v17, v1
	v_addc_co_u32_e32 v9, vcc, 0, v9, vcc
	v_cmp_gt_i32_e32 vcc, 1, v17
	s_or_b64 s[28:29], vcc, s[28:29]
	s_waitcnt vmcnt(0)
	global_store_dwordx4 v[19:20], v[22:25], off glc slc
	global_store_dwordx4 v[19:20], v[26:29], off offset:1024 glc slc
	global_store_dwordx4 v[19:20], v[34:37], off offset:2048 glc slc
	;; [unrolled: 1-line block ×3, first 2 shown]
	s_andn2_b64 exec, exec, s[28:29]
	s_cbranch_execnz .LBB4_6535
; %bb.6536:                             ;   in Loop: Header=BB4_6419 Depth=3
	s_or_b64 exec, exec, s[28:29]
	v_mov_b32_e32 v29, v1
.LBB4_6537:                             ;   in Loop: Header=BB4_6419 Depth=3
	s_or_b64 exec, exec, s[26:27]
	v_lshlrev_b32_e32 v11, 12, v18
	v_cmp_ne_u32_e32 vcc, v2, v11
	s_mov_b64 s[40:41], 0
	v_mov_b32_e32 v8, 0
                                        ; implicit-def: $vgpr9
                                        ; implicit-def: $vgpr10
                                        ; implicit-def: $vgpr18
	s_and_saveexec_b64 s[28:29], vcc
	s_cbranch_execz .LBB4_6545
; %bb.6538:                             ;   in Loop: Header=BB4_6419 Depth=3
	buffer_load_dword v8, off, s[0:3], s33 offset:196 ; 4-byte Folded Reload
	v_lshlrev_b32_e32 v1, 6, v17
	v_sub_u32_e32 v9, v2, v11
	v_ashrrev_i32_e32 v18, 31, v9
	v_lshrrev_b32_e32 v18, 22, v18
	v_add_u32_e32 v18, v9, v18
	v_and_b32_e32 v19, 0xfffffc00, v18
	v_sub_u32_e32 v22, v9, v19
	v_ashrrev_i32_e32 v20, 10, v18
	v_cmp_lt_i32_e32 vcc, 15, v22
	s_waitcnt vmcnt(0)
	v_sub_u32_e32 v1, v8, v1
	v_ashrrev_i32_e32 v8, 31, v1
	v_lshrrev_b32_e32 v8, 26, v8
	v_add_u32_e32 v8, v1, v8
	v_ashrrev_i32_e32 v10, 6, v8
	v_and_b32_e32 v8, 0xffffffc0, v8
	v_sub_u32_e32 v17, v1, v8
	v_lshlrev_b32_e32 v1, 4, v17
	v_lshl_add_u32 v1, v10, 10, v1
	v_sub_u32_e32 v8, v9, v1
	v_addc_co_u32_e64 v9, s[26:27], 0, v20, vcc
	v_sub_u32_e32 v20, v9, v10
	v_cmp_lt_i32_e64 s[26:27], 15, v8
	s_and_saveexec_b64 s[40:41], s[26:27]
	s_cbranch_execz .LBB4_6542
; %bb.6539:                             ;   in Loop: Header=BB4_6419 Depth=3
	buffer_load_dword v10, off, s[0:3], s33 offset:68 ; 4-byte Folded Reload
	v_add_u32_e32 v9, v1, v11
	v_ashrrev_i32_e32 v1, 31, v9
	s_mov_b64 s[94:95], 0
.LBB4_6540:                             ;   Parent Loop BB4_47 Depth=1
                                        ;     Parent Loop BB4_6416 Depth=2
                                        ;       Parent Loop BB4_6419 Depth=3
                                        ; =>      This Inner Loop Header: Depth=4
	v_add_co_u32_e64 v23, s[26:27], v13, v9
	v_addc_co_u32_e64 v24, s[26:27], v14, v1, s[26:27]
	global_load_dwordx4 v[23:26], v[23:24], off glc slc
	v_add_co_u32_e64 v27, s[26:27], v15, v9
	v_addc_co_u32_e64 v28, s[26:27], v16, v1, s[26:27]
	s_waitcnt vmcnt(0)
	v_add_co_u32_e64 v9, s[26:27], v9, v10
	v_sub_u32_e32 v8, v8, v10
	v_addc_co_u32_e64 v1, s[26:27], 0, v1, s[26:27]
	v_cmp_gt_i32_e64 s[26:27], 16, v8
	v_sub_u32_e32 v20, v20, v29
	s_or_b64 s[94:95], s[26:27], s[94:95]
	global_store_dwordx4 v[27:28], v[23:26], off glc slc
	s_andn2_b64 exec, exec, s[94:95]
	s_cbranch_execnz .LBB4_6540
; %bb.6541:                             ;   in Loop: Header=BB4_6419 Depth=3
	s_or_b64 exec, exec, s[94:95]
.LBB4_6542:                             ;   in Loop: Header=BB4_6419 Depth=3
	s_or_b64 exec, exec, s[40:41]
	v_and_b32_e32 v1, 15, v2
	v_cndmask_b32_e32 v9, v22, v1, vcc
	v_mov_b32_e32 v8, 0
	v_cmp_ne_u32_e64 s[26:27], 0, v9
	s_mov_b64 s[94:95], 0
                                        ; implicit-def: $vgpr10
                                        ; implicit-def: $vgpr18
	s_and_saveexec_b64 s[40:41], s[26:27]
	s_cbranch_execz .LBB4_6544
; %bb.6543:                             ;   in Loop: Header=BB4_6419 Depth=3
	v_sub_u32_e32 v1, v22, v1
	v_cndmask_b32_e32 v1, 0, v1, vcc
	v_cmp_lt_i32_e32 vcc, 0, v20
	v_add3_u32 v8, v19, v11, v1
	v_cndmask_b32_e32 v1, 0, v29, vcc
	v_sub_u32_e32 v1, v1, v20
	v_lshl_add_u32 v10, v1, 6, v17
	v_ashrrev_i32_e32 v1, 31, v10
	v_lshrrev_b32_e32 v1, 26, v1
	v_add_u32_e32 v1, v10, v1
	v_ashrrev_i32_e32 v18, 6, v1
	s_mov_b64 s[94:95], exec
.LBB4_6544:                             ;   in Loop: Header=BB4_6419 Depth=3
	s_or_b64 exec, exec, s[40:41]
	s_and_b64 s[40:41], s[94:95], exec
.LBB4_6545:                             ;   in Loop: Header=BB4_6419 Depth=3
	s_or_b64 exec, exec, s[28:29]
	s_and_saveexec_b64 s[26:27], s[40:41]
	s_cbranch_execz .LBB4_6554
.LBB4_6546:                             ;   in Loop: Header=BB4_6419 Depth=3
	v_ashrrev_i32_e32 v1, 31, v9
	v_lshrrev_b32_e32 v1, 22, v1
	v_add_u32_e32 v1, v9, v1
	v_ashrrev_i32_e32 v17, 10, v1
	v_sub_u32_e32 v11, v17, v18
	v_cmp_lt_i32_e32 vcc, 0, v11
	s_and_saveexec_b64 s[28:29], vcc
	s_cbranch_execz .LBB4_6550
; %bb.6547:                             ;   in Loop: Header=BB4_6419 Depth=3
	buffer_load_dword v53, off, s[0:3], s33 offset:68 ; 4-byte Folded Reload
	v_ashrrev_i32_e32 v1, 31, v10
	v_lshrrev_b32_e32 v1, 26, v1
	v_add_u32_e32 v1, v10, v1
	v_and_b32_e32 v1, 0xffffffc0, v1
	v_sub_u32_e32 v1, v10, v1
	v_lshlrev_b32_e32 v18, 10, v18
	v_add3_u32 v18, v8, v1, v18
	v_ashrrev_i32_e32 v19, 31, v18
	s_mov_b64 s[40:41], 0
	v_mov_b32_e32 v52, v29
.LBB4_6548:                             ;   Parent Loop BB4_47 Depth=1
                                        ;     Parent Loop BB4_6416 Depth=2
                                        ;       Parent Loop BB4_6419 Depth=3
                                        ; =>      This Inner Loop Header: Depth=4
	v_add_co_u32_e32 v22, vcc, v18, v13
	v_addc_co_u32_e32 v23, vcc, v19, v14, vcc
	flat_load_ubyte v1, v[22:23] glc slc
	flat_load_ubyte v20, v[22:23] offset:64 glc slc
	flat_load_ubyte v24, v[22:23] offset:128 glc slc
	;; [unrolled: 1-line block ×15, first 2 shown]
	v_add_co_u32_e32 v22, vcc, v18, v15
	v_addc_co_u32_e32 v23, vcc, v19, v16, vcc
	s_waitcnt vmcnt(0)
	v_add_co_u32_e32 v13, vcc, v13, v53
	v_addc_co_u32_e32 v14, vcc, 0, v14, vcc
	v_add_co_u32_e32 v15, vcc, v15, v53
	v_sub_u32_e32 v11, v11, v52
	v_addc_co_u32_e32 v16, vcc, 0, v16, vcc
	v_cmp_gt_i32_e32 vcc, 1, v11
	s_or_b64 s[40:41], vcc, s[40:41]
	s_waitcnt lgkmcnt(0)
	flat_store_byte v[22:23], v1 glc slc
	flat_store_byte v[22:23], v20 offset:64 glc slc
	flat_store_byte v[22:23], v24 offset:128 glc slc
	;; [unrolled: 1-line block ×15, first 2 shown]
	s_andn2_b64 exec, exec, s[40:41]
	s_cbranch_execnz .LBB4_6548
; %bb.6549:                             ;   in Loop: Header=BB4_6419 Depth=3
	s_or_b64 exec, exec, s[40:41]
	v_mov_b32_e32 v29, v52
.LBB4_6550:                             ;   in Loop: Header=BB4_6419 Depth=3
	s_or_b64 exec, exec, s[28:29]
	v_lshlrev_b32_e32 v1, 10, v17
	v_cmp_ne_u32_e32 vcc, v9, v1
	s_and_b64 exec, exec, vcc
	s_cbranch_execz .LBB4_6554
; %bb.6551:                             ;   in Loop: Header=BB4_6419 Depth=3
	v_ashrrev_i32_e32 v13, 31, v10
	v_lshrrev_b32_e32 v13, 26, v13
	v_add_u32_e32 v13, v10, v13
	v_and_b32_e32 v13, 0xffffffc0, v13
	v_sub_u32_e32 v10, v10, v13
	v_lshlrev_b32_e32 v11, 6, v11
	v_sub_u32_e32 v10, v10, v11
	v_add_u32_e32 v1, v1, v10
	v_sub_u32_e32 v10, v9, v1
	v_cmp_lt_i32_e32 vcc, 0, v10
	s_and_b64 exec, exec, vcc
	s_cbranch_execz .LBB4_6554
; %bb.6552:                             ;   in Loop: Header=BB4_6419 Depth=3
	v_add_u32_e32 v1, v1, v8
	s_trap 2
	ds_read_b64 v[8:9], v0
	v_ashrrev_i32_e32 v11, 31, v1
	s_mov_b64 s[28:29], 0
.LBB4_6553:                             ;   Parent Loop BB4_47 Depth=1
                                        ;     Parent Loop BB4_6416 Depth=2
                                        ;       Parent Loop BB4_6419 Depth=3
                                        ; =>      This Inner Loop Header: Depth=4
	s_waitcnt lgkmcnt(0)
	v_add_co_u32_e32 v13, vcc, v8, v1
	v_addc_co_u32_e32 v14, vcc, v9, v11, vcc
	flat_load_ubyte v15, v[13:14] glc slc
	v_add_co_u32_e32 v1, vcc, v1, v47
	v_sub_u32_e32 v10, v10, v47
	v_addc_co_u32_e32 v11, vcc, 0, v11, vcc
	v_cmp_gt_i32_e32 vcc, 1, v10
	s_or_b64 s[28:29], vcc, s[28:29]
	s_waitcnt vmcnt(0) lgkmcnt(0)
	flat_store_byte v[13:14], v15 glc slc
	s_andn2_b64 exec, exec, s[28:29]
	s_cbranch_execnz .LBB4_6553
.LBB4_6554:                             ;   in Loop: Header=BB4_6419 Depth=3
	s_or_b64 exec, exec, s[26:27]
	v_cmp_lt_i32_e64 s[26:27], 0, v2
	s_and_saveexec_b64 s[28:29], s[10:11]
	s_cbranch_execz .LBB4_6495
.LBB4_6555:                             ;   in Loop: Header=BB4_6419 Depth=3
	s_and_saveexec_b64 s[40:41], s[58:59]
	s_xor_b64 s[40:41], exec, s[40:41]
	s_cbranch_execz .LBB4_6570
; %bb.6556:                             ;   in Loop: Header=BB4_6419 Depth=3
	s_and_saveexec_b64 s[94:95], s[16:17]
	s_cbranch_execz .LBB4_6569
; %bb.6557:                             ;   in Loop: Header=BB4_6419 Depth=3
	s_mov_b64 s[34:35], exec
	v_mbcnt_lo_u32_b32 v1, s34, 0
	v_mbcnt_hi_u32_b32 v1, s35, v1
	v_cmp_eq_u32_e32 vcc, 0, v1
	s_waitcnt vmcnt(0) lgkmcnt(0)
	buffer_wbinvl1_vol
	s_and_saveexec_b64 s[30:31], vcc
	s_cbranch_execz .LBB4_6559
; %bb.6558:                             ;   in Loop: Header=BB4_6419 Depth=3
	s_bcnt1_i32_b64 s44, s[34:35]
	v_mov_b32_e32 v2, s44
	ds_add_u64 v0, v[2:3]
	s_trap 2
.LBB4_6559:                             ;   in Loop: Header=BB4_6419 Depth=3
	s_or_b64 exec, exec, s[30:31]
	s_trap 2
	ds_read_b64 v[1:2], v0
	s_waitcnt lgkmcnt(0)
	v_add_co_u32_e32 v38, vcc, v38, v29
	v_addc_co_u32_e32 v39, vcc, 0, v39, vcc
	v_cmp_lt_u64_e32 vcc, v[1:2], v[38:39]
	s_and_saveexec_b64 s[30:31], vcc
	s_cbranch_execz .LBB4_6568
; %bb.6560:                             ;   in Loop: Header=BB4_6419 Depth=3
	s_mov_b32 s44, 0
	s_mov_b64 s[34:35], 0
                                        ; implicit-def: $sgpr36_sgpr37
                                        ; implicit-def: $sgpr38_sgpr39
	s_branch .LBB4_6562
.LBB4_6561:                             ;   in Loop: Header=BB4_6562 Depth=4
	s_or_b64 exec, exec, s[50:51]
	s_and_b64 vcc, exec, vcc
	s_or_b64 s[34:35], vcc, s[34:35]
	s_andn2_b64 vcc, s[36:37], exec
	s_and_b64 s[36:37], s[38:39], exec
	s_or_b64 s[36:37], vcc, s[36:37]
	s_andn2_b64 exec, exec, s[34:35]
	s_cbranch_execz .LBB4_6566
.LBB4_6562:                             ;   Parent Loop BB4_47 Depth=1
                                        ;     Parent Loop BB4_6416 Depth=2
                                        ;       Parent Loop BB4_6419 Depth=3
                                        ; =>      This Inner Loop Header: Depth=4
	s_add_i32 s44, s44, 1
	s_cmpk_lg_i32 s44, 0x2710
	s_cselect_b64 s[48:49], -1, 0
	s_and_b64 vcc, exec, s[48:49]
	s_cbranch_vccz .LBB4_6564
; %bb.6563:                             ;   in Loop: Header=BB4_6562 Depth=4
	s_mov_b64 vcc, -1
	s_or_b64 s[38:39], s[38:39], exec
	s_and_saveexec_b64 s[50:51], s[48:49]
	s_cbranch_execz .LBB4_6561
	s_branch .LBB4_6565
.LBB4_6564:                             ;   in Loop: Header=BB4_6562 Depth=4
	s_trap 2
	ds_read_b64 v[1:2], v0
	s_andn2_b64 s[48:49], s[48:49], exec
	s_mov_b32 s44, 0
	s_waitcnt lgkmcnt(0)
	flat_load_dword v1, v[1:2] glc
	s_waitcnt vmcnt(0) lgkmcnt(0)
	buffer_wbinvl1_vol
	v_cmp_eq_u32_e32 vcc, 0, v1
	s_and_b64 vcc, vcc, exec
	s_or_b64 s[48:49], s[48:49], vcc
	s_mov_b64 vcc, -1
	s_or_b64 s[38:39], s[38:39], exec
	s_and_saveexec_b64 s[50:51], s[48:49]
	s_cbranch_execz .LBB4_6561
.LBB4_6565:                             ;   in Loop: Header=BB4_6562 Depth=4
	s_sleep 1
	s_trap 2
	ds_read_b64 v[1:2], v0
	s_waitcnt lgkmcnt(0)
	s_andn2_b64 s[38:39], s[38:39], exec
	v_cmp_ge_u64_e32 vcc, v[1:2], v[38:39]
	s_orn2_b64 vcc, vcc, exec
	s_branch .LBB4_6561
.LBB4_6566:                             ;   in Loop: Header=BB4_6419 Depth=3
	s_or_b64 exec, exec, s[34:35]
	s_and_saveexec_b64 s[44:45], s[36:37]
	s_xor_b64 s[44:45], exec, s[44:45]
	s_cbranch_execz .LBB4_6568
; %bb.6567:                             ;   in Loop: Header=BB4_6419 Depth=3
	v_mov_b32_e32 v1, 1
	ds_write_b32 v0, v1
	s_trap 2
.LBB4_6568:                             ;   in Loop: Header=BB4_6419 Depth=3
	s_or_b64 exec, exec, s[30:31]
	;;#ASMSTART
	s_wakeup
	;;#ASMEND
.LBB4_6569:                             ;   in Loop: Header=BB4_6419 Depth=3
	s_or_b64 exec, exec, s[94:95]
.LBB4_6570:                             ;   in Loop: Header=BB4_6419 Depth=3
	s_andn2_saveexec_b64 s[40:41], s[40:41]
	s_cbranch_execz .LBB4_6572
; %bb.6571:                             ;   in Loop: Header=BB4_6419 Depth=3
	s_waitcnt vmcnt(0) lgkmcnt(0)
	buffer_wbinvl1_vol
	s_barrier
.LBB4_6572:                             ;   in Loop: Header=BB4_6419 Depth=3
	s_or_b64 exec, exec, s[40:41]
	s_or_b64 exec, exec, s[28:29]
                                        ; implicit-def: $vgpr1
	s_and_saveexec_b64 s[28:29], s[24:25]
	s_xor_b64 s[28:29], exec, s[28:29]
	s_cbranch_execnz .LBB4_6496
.LBB4_6573:                             ;   in Loop: Header=BB4_6419 Depth=3
	s_andn2_saveexec_b64 s[26:27], s[28:29]
	s_cbranch_execz .LBB4_6592
.LBB4_6574:                             ;   in Loop: Header=BB4_6419 Depth=3
	s_and_saveexec_b64 s[28:29], s[58:59]
	s_xor_b64 s[28:29], exec, s[28:29]
	s_cbranch_execz .LBB4_6589
; %bb.6575:                             ;   in Loop: Header=BB4_6419 Depth=3
	s_and_saveexec_b64 s[40:41], s[16:17]
	s_cbranch_execz .LBB4_6588
; %bb.6576:                             ;   in Loop: Header=BB4_6419 Depth=3
	s_mov_b64 s[30:31], exec
	v_mbcnt_lo_u32_b32 v1, s30, 0
	v_mbcnt_hi_u32_b32 v1, s31, v1
	v_cmp_eq_u32_e32 vcc, 0, v1
	;;#ASMSTART
	s_waitcnt lgkmcnt(0) vmcnt(0)
	;;#ASMEND
	s_and_saveexec_b64 s[94:95], vcc
	s_cbranch_execz .LBB4_6578
; %bb.6577:                             ;   in Loop: Header=BB4_6419 Depth=3
	s_bcnt1_i32_b64 s44, s[30:31]
	v_mov_b32_e32 v2, s44
	s_waitcnt lgkmcnt(0)
	ds_add_u64 v0, v[2:3]
	s_trap 2
.LBB4_6578:                             ;   in Loop: Header=BB4_6419 Depth=3
	s_or_b64 exec, exec, s[94:95]
	s_trap 2
	ds_read_b64 v[1:2], v0
	s_waitcnt vmcnt(0) lgkmcnt(0)
	v_add_co_u32_e32 v38, vcc, v38, v29
	v_addc_co_u32_e32 v39, vcc, 0, v39, vcc
	v_cmp_lt_u64_e32 vcc, v[1:2], v[38:39]
	s_and_saveexec_b64 s[94:95], vcc
	s_cbranch_execz .LBB4_6587
; %bb.6579:                             ;   in Loop: Header=BB4_6419 Depth=3
	s_mov_b32 s44, 0
	s_mov_b64 s[30:31], 0
                                        ; implicit-def: $sgpr34_sgpr35
                                        ; implicit-def: $sgpr36_sgpr37
	s_branch .LBB4_6581
.LBB4_6580:                             ;   in Loop: Header=BB4_6581 Depth=4
	s_or_b64 exec, exec, s[48:49]
	s_and_b64 vcc, exec, vcc
	s_or_b64 s[30:31], vcc, s[30:31]
	s_andn2_b64 vcc, s[34:35], exec
	s_and_b64 s[34:35], s[36:37], exec
	s_or_b64 s[34:35], vcc, s[34:35]
	s_andn2_b64 exec, exec, s[30:31]
	s_cbranch_execz .LBB4_6585
.LBB4_6581:                             ;   Parent Loop BB4_47 Depth=1
                                        ;     Parent Loop BB4_6416 Depth=2
                                        ;       Parent Loop BB4_6419 Depth=3
                                        ; =>      This Inner Loop Header: Depth=4
	s_add_i32 s44, s44, 1
	s_cmpk_lg_i32 s44, 0x2710
	s_cselect_b64 s[38:39], -1, 0
	s_and_b64 vcc, exec, s[38:39]
	s_cbranch_vccz .LBB4_6583
; %bb.6582:                             ;   in Loop: Header=BB4_6581 Depth=4
	s_mov_b64 vcc, -1
	s_or_b64 s[36:37], s[36:37], exec
	s_and_saveexec_b64 s[48:49], s[38:39]
	s_cbranch_execz .LBB4_6580
	s_branch .LBB4_6584
.LBB4_6583:                             ;   in Loop: Header=BB4_6581 Depth=4
	s_trap 2
	ds_read_b64 v[1:2], v0
	s_andn2_b64 s[38:39], s[38:39], exec
	s_mov_b32 s44, 0
	s_waitcnt lgkmcnt(0)
	flat_load_dword v1, v[1:2] glc
	s_waitcnt vmcnt(0) lgkmcnt(0)
	buffer_wbinvl1_vol
	v_cmp_eq_u32_e32 vcc, 0, v1
	s_and_b64 vcc, vcc, exec
	s_or_b64 s[38:39], s[38:39], vcc
	s_mov_b64 vcc, -1
	s_or_b64 s[36:37], s[36:37], exec
	s_and_saveexec_b64 s[48:49], s[38:39]
	s_cbranch_execz .LBB4_6580
.LBB4_6584:                             ;   in Loop: Header=BB4_6581 Depth=4
	s_sleep 1
	s_trap 2
	ds_read_b64 v[1:2], v0
	s_waitcnt lgkmcnt(0)
	s_andn2_b64 s[36:37], s[36:37], exec
	v_cmp_ge_u64_e32 vcc, v[1:2], v[38:39]
	s_orn2_b64 vcc, vcc, exec
	s_branch .LBB4_6580
.LBB4_6585:                             ;   in Loop: Header=BB4_6419 Depth=3
	s_or_b64 exec, exec, s[30:31]
	s_and_saveexec_b64 s[44:45], s[34:35]
	s_xor_b64 s[44:45], exec, s[44:45]
	s_cbranch_execz .LBB4_6587
; %bb.6586:                             ;   in Loop: Header=BB4_6419 Depth=3
	v_mov_b32_e32 v1, 1
	ds_write_b32 v0, v1
	s_trap 2
.LBB4_6587:                             ;   in Loop: Header=BB4_6419 Depth=3
	s_or_b64 exec, exec, s[94:95]
	;;#ASMSTART
	s_wakeup
	;;#ASMEND
.LBB4_6588:                             ;   in Loop: Header=BB4_6419 Depth=3
	s_or_b64 exec, exec, s[40:41]
.LBB4_6589:                             ;   in Loop: Header=BB4_6419 Depth=3
	s_andn2_saveexec_b64 s[28:29], s[28:29]
	s_cbranch_execz .LBB4_6591
; %bb.6590:                             ;   in Loop: Header=BB4_6419 Depth=3
	;;#ASMSTART
	s_waitcnt lgkmcnt(0) vmcnt(0)
	;;#ASMEND
	s_waitcnt vmcnt(0) lgkmcnt(0)
	s_barrier
.LBB4_6591:                             ;   in Loop: Header=BB4_6419 Depth=3
	s_or_b64 exec, exec, s[28:29]
	v_and_b32_e32 v1, 16, v4
.LBB4_6592:                             ;   in Loop: Header=BB4_6419 Depth=3
	s_or_b64 exec, exec, s[26:27]
	v_cmp_ne_u32_e32 vcc, 0, v1
	s_xor_b64 s[26:27], s[12:13], -1
	s_and_b64 s[28:29], vcc, s[26:27]
	s_and_saveexec_b64 s[26:27], s[28:29]
	s_cbranch_execz .LBB4_6594
; %bb.6593:                             ;   in Loop: Header=BB4_6419 Depth=3
	buffer_load_dword v1, off, s[0:3], s33 offset:100 ; 4-byte Folded Reload
	buffer_load_dword v2, off, s[0:3], s33 offset:104 ; 4-byte Folded Reload
	s_waitcnt vmcnt(0)
	v_mov_b32_e32 v8, 1
	flat_store_dword v[1:2], v8
.LBB4_6594:                             ;   in Loop: Header=BB4_6419 Depth=3
	s_or_b64 exec, exec, s[26:27]
	v_and_b32_e32 v1, 48, v4
	v_cmp_ne_u32_e32 vcc, 0, v1
	s_and_saveexec_b64 s[26:27], vcc
	s_cbranch_execz .LBB4_6418
; %bb.6595:                             ;   in Loop: Header=BB4_6419 Depth=3
	buffer_load_dword v1, off, s[0:3], s33 offset:56 ; 4-byte Folded Reload
	buffer_load_dword v2, off, s[0:3], s33 offset:60 ; 4-byte Folded Reload
	s_waitcnt vmcnt(0)
	v_add_co_u32_e32 v1, vcc, 2, v1
	v_addc_co_u32_e32 v2, vcc, 0, v2, vcc
	buffer_store_dword v1, off, s[0:3], s33 offset:56 ; 4-byte Folded Spill
	s_nop 0
	buffer_store_dword v2, off, s[0:3], s33 offset:60 ; 4-byte Folded Spill
	flat_store_dwordx2 v[32:33], v[1:2]
	s_branch .LBB4_6418
.LBB4_6596:                             ;   in Loop: Header=BB4_6416 Depth=2
	s_or_b64 exec, exec, s[42:43]
	v_cmp_gt_i32_e32 vcc, 2, v2
	s_and_saveexec_b64 s[28:29], vcc
	s_cbranch_execz .LBB4_6672
.LBB4_6597:                             ;   in Loop: Header=BB4_6416 Depth=2
	v_cmp_eq_u32_e64 s[42:43], 0, v2
	s_mov_b64 s[40:41], 0
	s_branch .LBB4_6599
.LBB4_6598:                             ;   in Loop: Header=BB4_6599 Depth=3
	s_or_b64 exec, exec, s[26:27]
	v_add_u32_e32 v6, v12, v6
	s_mov_b64 s[42:43], 0
	s_andn2_b64 exec, exec, s[40:41]
	s_cbranch_execz .LBB4_6673
.LBB4_6599:                             ;   Parent Loop BB4_47 Depth=1
                                        ;     Parent Loop BB4_6416 Depth=2
                                        ; =>    This Loop Header: Depth=3
                                        ;         Child Loop BB4_6605 Depth 4
                                        ;         Child Loop BB4_6633 Depth 4
	;; [unrolled: 1-line block ×3, first 2 shown]
	v_sub_u32_e32 v1, v5, v6
	v_min_i32_e32 v12, v12, v1
	v_and_b32_e32 v1, 12, v4
	v_cmp_ne_u32_e32 vcc, 0, v1
	s_and_saveexec_b64 s[90:91], vcc
	s_cbranch_execz .LBB4_6625
; %bb.6600:                             ;   in Loop: Header=BB4_6599 Depth=3
	buffer_load_dword v8, off, s[0:3], s33 offset:56 ; 4-byte Folded Reload
	buffer_load_dword v9, off, s[0:3], s33 offset:60 ; 4-byte Folded Reload
	v_and_b32_e32 v2, 8, v4
	s_waitcnt lgkmcnt(0)
	v_add_co_u32_e32 v10, vcc, v48, v2
	v_addc_co_u32_e32 v11, vcc, 0, v49, vcc
	s_waitcnt vmcnt(0)
	v_add_co_u32_e32 v8, vcc, 2, v8
	v_addc_co_u32_e32 v9, vcc, 0, v9, vcc
	v_cmp_lt_u64_e32 vcc, v[10:11], v[8:9]
	s_and_saveexec_b64 s[92:93], vcc
	s_cbranch_execz .LBB4_6612
; %bb.6601:                             ;   in Loop: Header=BB4_6599 Depth=3
	v_and_b32_e32 v1, 64, v4
	s_mov_b32 s44, 0
	v_cmp_eq_u32_e32 vcc, 0, v1
	s_mov_b64 s[94:95], 0
                                        ; implicit-def: $sgpr30_sgpr31
                                        ; implicit-def: $sgpr34_sgpr35
                                        ; implicit-def: $sgpr36_sgpr37
	s_branch .LBB4_6605
.LBB4_6602:                             ;   in Loop: Header=BB4_6605 Depth=4
	s_waitcnt vmcnt(0) lgkmcnt(0)
	v_add_co_u32_e64 v10, s[26:27], v48, v2
	v_addc_co_u32_e64 v11, s[26:27], 0, v49, s[26:27]
	v_cmp_ge_u64_e64 s[26:27], v[10:11], v[8:9]
	s_or_b64 s[50:51], s[50:51], exec
	s_orn2_b64 s[48:49], s[26:27], exec
.LBB4_6603:                             ;   in Loop: Header=BB4_6605 Depth=4
	s_or_b64 exec, exec, s[54:55]
	s_andn2_b64 s[26:27], s[36:37], exec
	s_and_b64 s[36:37], s[50:51], exec
	s_or_b64 s[36:37], s[26:27], s[36:37]
	s_andn2_b64 s[26:27], s[34:35], exec
	s_and_b64 s[34:35], s[48:49], exec
	s_or_b64 s[34:35], s[26:27], s[34:35]
.LBB4_6604:                             ;   in Loop: Header=BB4_6605 Depth=4
	s_or_b64 exec, exec, s[38:39]
	s_and_b64 s[26:27], exec, s[34:35]
	s_or_b64 s[94:95], s[26:27], s[94:95]
	s_andn2_b64 s[26:27], s[30:31], exec
	s_and_b64 s[30:31], s[36:37], exec
	s_or_b64 s[30:31], s[26:27], s[30:31]
	s_andn2_b64 exec, exec, s[94:95]
	s_cbranch_execz .LBB4_6609
.LBB4_6605:                             ;   Parent Loop BB4_47 Depth=1
                                        ;     Parent Loop BB4_6416 Depth=2
                                        ;       Parent Loop BB4_6599 Depth=3
                                        ; =>      This Inner Loop Header: Depth=4
	s_sleep 1
	s_waitcnt vmcnt(0) lgkmcnt(0)
	flat_load_dwordx2 v[48:49], v[32:33] glc
	s_or_b64 s[36:37], s[36:37], exec
	s_or_b64 s[34:35], s[34:35], exec
                                        ; implicit-def: $vgpr7
	s_and_saveexec_b64 s[38:39], vcc
	s_cbranch_execz .LBB4_6604
; %bb.6606:                             ;   in Loop: Header=BB4_6605 Depth=4
	s_cmpk_lt_i32 s44, 0x270f
	s_cselect_b64 s[52:53], -1, 0
	s_cmpk_gt_i32 s44, 0x270e
	s_mov_b64 s[48:49], -1
	s_cbranch_scc0 .LBB4_6608
; %bb.6607:                             ;   in Loop: Header=BB4_6605 Depth=4
	s_trap 2
	ds_read_b64 v[10:11], v0
	s_andn2_b64 s[52:53], s[52:53], exec
	s_mov_b32 s44, 0
	s_mov_b64 s[50:51], 0
	s_waitcnt vmcnt(0) lgkmcnt(0)
	flat_load_dword v7, v[10:11] glc
	s_waitcnt vmcnt(0) lgkmcnt(0)
	buffer_wbinvl1_vol
	v_cmp_eq_u32_e64 s[26:27], 0, v7
	s_and_b64 s[26:27], s[26:27], exec
	s_or_b64 s[52:53], s[52:53], s[26:27]
	s_and_saveexec_b64 s[54:55], s[52:53]
	s_cbranch_execz .LBB4_6603
	s_branch .LBB4_6602
.LBB4_6608:                             ;   in Loop: Header=BB4_6605 Depth=4
	s_add_i32 s44, s44, 1
	s_mov_b64 s[50:51], -1
                                        ; implicit-def: $vgpr7
	s_and_saveexec_b64 s[54:55], s[52:53]
	s_cbranch_execz .LBB4_6603
	s_branch .LBB4_6602
.LBB4_6609:                             ;   in Loop: Header=BB4_6599 Depth=3
	s_or_b64 exec, exec, s[94:95]
	s_xor_b64 s[26:27], s[30:31], -1
	s_and_saveexec_b64 s[44:45], s[26:27]
	s_xor_b64 s[26:27], exec, s[44:45]
	s_cbranch_execz .LBB4_6611
; %bb.6610:                             ;   in Loop: Header=BB4_6599 Depth=3
	v_or_b32_e32 v4, 64, v4
	s_waitcnt lgkmcnt(0)
	ds_write_b32 v0, v7
	s_trap 2
.LBB4_6611:                             ;   in Loop: Header=BB4_6599 Depth=3
	s_or_b64 exec, exec, s[26:27]
.LBB4_6612:                             ;   in Loop: Header=BB4_6599 Depth=3
	s_or_b64 exec, exec, s[92:93]
	v_and_b32_e32 v1, 0x108, v4
	v_cmp_ne_u32_e32 vcc, s69, v1
	;;#ASMSTART
	s_wakeup
	;;#ASMEND
	s_and_saveexec_b64 s[26:27], vcc
	s_xor_b64 s[26:27], exec, s[26:27]
                                        ; implicit-def: $vgpr7
	s_cbranch_execz .LBB4_6614
; %bb.6613:                             ;   in Loop: Header=BB4_6599 Depth=3
	buffer_load_dword v10, off, s[0:3], s33 offset:56 ; 4-byte Folded Reload
	buffer_load_dword v11, off, s[0:3], s33 offset:60 ; 4-byte Folded Reload
	s_waitcnt vmcnt(0)
	v_and_b32_e32 v7, 7, v10
                                        ; implicit-def: $vgpr10_vgpr11
                                        ; kill: killed $vgpr10_vgpr11
.LBB4_6614:                             ;   in Loop: Header=BB4_6599 Depth=3
	s_andn2_saveexec_b64 s[26:27], s[26:27]
	s_cbranch_execz .LBB4_6616
; %bb.6615:                             ;   in Loop: Header=BB4_6599 Depth=3
	buffer_load_dword v10, off, s[0:3], s33 offset:56 ; 4-byte Folded Reload
	buffer_load_dword v11, off, s[0:3], s33 offset:60 ; 4-byte Folded Reload
	;; [unrolled: 1-line block ×6, first 2 shown]
	s_waitcnt vmcnt(0)
	v_and_b32_e32 v7, 7, v10
	v_mad_u64_u32 v[10:11], s[44:45], v7, 24, v[13:14]
	v_ashrrev_i32_e32 v13, 31, v12
	flat_store_dwordx2 v[10:11], v[12:13] offset:8
.LBB4_6616:                             ;   in Loop: Header=BB4_6599 Depth=3
	s_or_b64 exec, exec, s[26:27]
	v_and_b32_e32 v1, 0x100, v4
	v_cmp_ne_u32_e32 vcc, 0, v1
	s_mov_b64 s[26:27], -1
                                        ; implicit-def: $vgpr10_vgpr11
	s_and_saveexec_b64 s[92:93], vcc
	s_cbranch_execz .LBB4_6620
; %bb.6617:                             ;   in Loop: Header=BB4_6599 Depth=3
	buffer_load_dword v13, off, s[0:3], s33 offset:84 ; 4-byte Folded Reload
	buffer_load_dword v14, off, s[0:3], s33 offset:88 ; 4-byte Folded Reload
	;; [unrolled: 1-line block ×4, first 2 shown]
	s_waitcnt vmcnt(0)
	v_mad_u64_u32 v[13:14], s[26:27], v7, 24, v[13:14]
	v_mov_b32_e32 v1, v14
	v_mad_u64_u32 v[10:11], s[26:27], v3, 24, v[1:2]
	v_mov_b32_e32 v14, v10
	flat_load_dword v1, v[13:14]
                                        ; implicit-def: $vgpr10_vgpr11
	s_waitcnt vmcnt(0) lgkmcnt(0)
	v_cmp_ne_u32_e32 vcc, 1, v1
	v_cmp_eq_u32_e64 s[26:27], 1, v1
	s_and_saveexec_b64 s[94:95], s[26:27]
	s_cbranch_execz .LBB4_6619
; %bb.6618:                             ;   in Loop: Header=BB4_6599 Depth=3
	flat_load_dword v10, v[13:14] offset:4 glc
	s_waitcnt vmcnt(0) lgkmcnt(0)
	v_ashrrev_i32_e32 v11, 31, v10
.LBB4_6619:                             ;   in Loop: Header=BB4_6599 Depth=3
	s_or_b64 exec, exec, s[94:95]
	s_orn2_b64 s[26:27], vcc, exec
.LBB4_6620:                             ;   in Loop: Header=BB4_6599 Depth=3
	s_or_b64 exec, exec, s[92:93]
	s_and_saveexec_b64 s[92:93], s[26:27]
	s_cbranch_execz .LBB4_6622
; %bb.6621:                             ;   in Loop: Header=BB4_6599 Depth=3
	buffer_load_dword v10, off, s[0:3], s33 offset:116 ; 4-byte Folded Reload
	buffer_load_dword v11, off, s[0:3], s33 offset:136 ; 4-byte Folded Reload
	s_waitcnt vmcnt(0)
	v_mul_lo_u32 v1, v3, v10
	v_mul_lo_u32 v13, v7, v11
	v_mad_u64_u32 v[10:11], s[26:27], v7, v10, 0
	v_add3_u32 v11, v11, v13, v1
.LBB4_6622:                             ;   in Loop: Header=BB4_6599 Depth=3
	s_or_b64 exec, exec, s[92:93]
	v_cmp_eq_u32_e32 vcc, 0, v2
	v_mov_b32_e32 v1, 0xd0
	v_mov_b32_e32 v2, 0x88
	v_cndmask_b32_e32 v7, v1, v2, vcc
	buffer_load_dword v1, off, s[0:3], s33 offset:76 ; 4-byte Folded Reload
	buffer_load_dword v2, off, s[0:3], s33 offset:80 ; 4-byte Folded Reload
	v_add_u32_e32 v7, v0, v7
	s_waitcnt vmcnt(0)
	v_add_co_u32_e32 v1, vcc, v1, v10
	v_addc_co_u32_e32 v2, vcc, v2, v11, vcc
	ds_write_b64 v7, v[1:2] offset:584
	v_and_b32_e32 v1, 0x2000, v4
	v_cmp_ne_u32_e32 vcc, 0, v1
	s_and_saveexec_b64 s[26:27], vcc
	s_cbranch_execz .LBB4_6624
; %bb.6623:                             ;   in Loop: Header=BB4_6599 Depth=3
	ds_read_b64 v[1:2], v0 offset:872
	s_waitcnt lgkmcnt(0)
	v_add_co_u32_e32 v1, vcc, 1, v1
	v_addc_co_u32_e32 v2, vcc, 0, v2, vcc
	ds_write_b64 v0, v[1:2] offset:872
.LBB4_6624:                             ;   in Loop: Header=BB4_6599 Depth=3
	s_or_b64 exec, exec, s[26:27]
	buffer_store_dword v8, off, s[0:3], s33 offset:56 ; 4-byte Folded Spill
	s_nop 0
	buffer_store_dword v9, off, s[0:3], s33 offset:60 ; 4-byte Folded Spill
.LBB4_6625:                             ;   in Loop: Header=BB4_6599 Depth=3
	s_or_b64 exec, exec, s[90:91]
	s_xor_b64 s[26:27], s[42:43], -1
	s_and_b64 s[26:27], exec, s[26:27]
	s_or_b64 s[40:41], s[26:27], s[40:41]
	s_and_saveexec_b64 s[26:27], s[10:11]
	s_cbranch_execz .LBB4_6644
; %bb.6626:                             ;   in Loop: Header=BB4_6599 Depth=3
	s_and_saveexec_b64 s[42:43], s[58:59]
	s_xor_b64 s[42:43], exec, s[42:43]
	s_cbranch_execz .LBB4_6641
; %bb.6627:                             ;   in Loop: Header=BB4_6599 Depth=3
	s_and_saveexec_b64 s[90:91], s[16:17]
	s_cbranch_execz .LBB4_6640
; %bb.6628:                             ;   in Loop: Header=BB4_6599 Depth=3
	s_mov_b64 s[94:95], exec
	v_mbcnt_lo_u32_b32 v1, s94, 0
	v_mbcnt_hi_u32_b32 v1, s95, v1
	v_cmp_eq_u32_e32 vcc, 0, v1
	s_waitcnt vmcnt(0) lgkmcnt(0)
	buffer_wbinvl1_vol
	s_and_saveexec_b64 s[92:93], vcc
	s_cbranch_execz .LBB4_6630
; %bb.6629:                             ;   in Loop: Header=BB4_6599 Depth=3
	s_bcnt1_i32_b64 s44, s[94:95]
	v_mov_b32_e32 v2, s44
	ds_add_u64 v0, v[2:3]
	s_trap 2
.LBB4_6630:                             ;   in Loop: Header=BB4_6599 Depth=3
	s_or_b64 exec, exec, s[92:93]
	s_trap 2
	ds_read_b64 v[1:2], v0
	s_waitcnt lgkmcnt(0)
	v_add_co_u32_e32 v38, vcc, v38, v29
	v_addc_co_u32_e32 v39, vcc, 0, v39, vcc
	v_cmp_lt_u64_e32 vcc, v[1:2], v[38:39]
	s_and_saveexec_b64 s[92:93], vcc
	s_cbranch_execz .LBB4_6639
; %bb.6631:                             ;   in Loop: Header=BB4_6599 Depth=3
	s_mov_b32 s44, 0
	s_mov_b64 s[94:95], 0
                                        ; implicit-def: $sgpr30_sgpr31
                                        ; implicit-def: $sgpr34_sgpr35
	s_branch .LBB4_6633
.LBB4_6632:                             ;   in Loop: Header=BB4_6633 Depth=4
	s_or_b64 exec, exec, s[38:39]
	s_and_b64 vcc, exec, vcc
	s_or_b64 s[94:95], vcc, s[94:95]
	s_andn2_b64 vcc, s[30:31], exec
	s_and_b64 s[30:31], s[34:35], exec
	s_or_b64 s[30:31], vcc, s[30:31]
	s_andn2_b64 exec, exec, s[94:95]
	s_cbranch_execz .LBB4_6637
.LBB4_6633:                             ;   Parent Loop BB4_47 Depth=1
                                        ;     Parent Loop BB4_6416 Depth=2
                                        ;       Parent Loop BB4_6599 Depth=3
                                        ; =>      This Inner Loop Header: Depth=4
	s_add_i32 s44, s44, 1
	s_cmpk_lg_i32 s44, 0x2710
	s_cselect_b64 s[36:37], -1, 0
	s_and_b64 vcc, exec, s[36:37]
	s_cbranch_vccz .LBB4_6635
; %bb.6634:                             ;   in Loop: Header=BB4_6633 Depth=4
	s_mov_b64 vcc, -1
	s_or_b64 s[34:35], s[34:35], exec
	s_and_saveexec_b64 s[38:39], s[36:37]
	s_cbranch_execz .LBB4_6632
	s_branch .LBB4_6636
.LBB4_6635:                             ;   in Loop: Header=BB4_6633 Depth=4
	s_trap 2
	ds_read_b64 v[1:2], v0
	s_andn2_b64 s[36:37], s[36:37], exec
	s_mov_b32 s44, 0
	s_waitcnt lgkmcnt(0)
	flat_load_dword v1, v[1:2] glc
	s_waitcnt vmcnt(0) lgkmcnt(0)
	buffer_wbinvl1_vol
	v_cmp_eq_u32_e32 vcc, 0, v1
	s_and_b64 vcc, vcc, exec
	s_or_b64 s[36:37], s[36:37], vcc
	s_mov_b64 vcc, -1
	s_or_b64 s[34:35], s[34:35], exec
	s_and_saveexec_b64 s[38:39], s[36:37]
	s_cbranch_execz .LBB4_6632
.LBB4_6636:                             ;   in Loop: Header=BB4_6633 Depth=4
	s_sleep 1
	s_trap 2
	ds_read_b64 v[1:2], v0
	s_waitcnt lgkmcnt(0)
	s_andn2_b64 s[34:35], s[34:35], exec
	v_cmp_ge_u64_e32 vcc, v[1:2], v[38:39]
	s_orn2_b64 vcc, vcc, exec
	s_branch .LBB4_6632
.LBB4_6637:                             ;   in Loop: Header=BB4_6599 Depth=3
	s_or_b64 exec, exec, s[94:95]
	s_and_saveexec_b64 s[44:45], s[30:31]
	s_xor_b64 s[44:45], exec, s[44:45]
	s_cbranch_execz .LBB4_6639
; %bb.6638:                             ;   in Loop: Header=BB4_6599 Depth=3
	v_mov_b32_e32 v1, 1
	ds_write_b32 v0, v1
	s_trap 2
.LBB4_6639:                             ;   in Loop: Header=BB4_6599 Depth=3
	s_or_b64 exec, exec, s[92:93]
	;;#ASMSTART
	s_wakeup
	;;#ASMEND
.LBB4_6640:                             ;   in Loop: Header=BB4_6599 Depth=3
	s_or_b64 exec, exec, s[90:91]
.LBB4_6641:                             ;   in Loop: Header=BB4_6599 Depth=3
	s_andn2_saveexec_b64 s[42:43], s[42:43]
	s_cbranch_execz .LBB4_6643
; %bb.6642:                             ;   in Loop: Header=BB4_6599 Depth=3
	s_waitcnt vmcnt(0) lgkmcnt(0)
	buffer_wbinvl1_vol
	s_barrier
.LBB4_6643:                             ;   in Loop: Header=BB4_6599 Depth=3
	s_or_b64 exec, exec, s[42:43]
.LBB4_6644:                             ;   in Loop: Header=BB4_6599 Depth=3
	s_or_b64 exec, exec, s[26:27]
                                        ; implicit-def: $vgpr2
	s_and_saveexec_b64 s[26:27], s[24:25]
	s_xor_b64 s[26:27], exec, s[26:27]
	s_cbranch_execz .LBB4_6648
; %bb.6645:                             ;   in Loop: Header=BB4_6599 Depth=3
	s_trap 2
	ds_read_b32 v1, v0
	v_cmp_lt_i32_e32 vcc, 0, v12
	v_and_b32_e32 v2, 16, v4
	s_waitcnt lgkmcnt(0)
	v_readfirstlane_b32 s42, v1
	s_cmp_eq_u32 s42, 0
	s_cselect_b64 s[42:43], -1, 0
	v_and_b32_e32 v1, 16, v4
	s_and_b64 s[42:43], vcc, s[42:43]
	v_cmp_ne_u32_e32 vcc, 0, v1
	s_and_b64 s[44:45], vcc, s[42:43]
	s_and_saveexec_b64 s[42:43], s[44:45]
	s_cbranch_execz .LBB4_6647
; %bb.6646:                             ;   in Loop: Header=BB4_6599 Depth=3
	v_mov_b32_e32 v2, 1
	s_waitcnt vmcnt(0)
	buffer_wbinvl1_vol
.LBB4_6647:                             ;   in Loop: Header=BB4_6599 Depth=3
	s_or_b64 exec, exec, s[42:43]
	s_andn2_saveexec_b64 s[26:27], s[26:27]
	s_cbranch_execz .LBB4_6667
	s_branch .LBB4_6649
.LBB4_6648:                             ;   in Loop: Header=BB4_6599 Depth=3
	s_andn2_saveexec_b64 s[26:27], s[26:27]
	s_cbranch_execz .LBB4_6667
.LBB4_6649:                             ;   in Loop: Header=BB4_6599 Depth=3
	s_and_saveexec_b64 s[42:43], s[58:59]
	s_xor_b64 s[42:43], exec, s[42:43]
	s_cbranch_execz .LBB4_6664
; %bb.6650:                             ;   in Loop: Header=BB4_6599 Depth=3
	s_and_saveexec_b64 s[90:91], s[16:17]
	s_cbranch_execz .LBB4_6663
; %bb.6651:                             ;   in Loop: Header=BB4_6599 Depth=3
	s_mov_b64 s[94:95], exec
	v_mbcnt_lo_u32_b32 v1, s94, 0
	v_mbcnt_hi_u32_b32 v1, s95, v1
	v_cmp_eq_u32_e32 vcc, 0, v1
	;;#ASMSTART
	s_waitcnt lgkmcnt(0) vmcnt(0)
	;;#ASMEND
	s_and_saveexec_b64 s[92:93], vcc
	s_cbranch_execz .LBB4_6653
; %bb.6652:                             ;   in Loop: Header=BB4_6599 Depth=3
	s_bcnt1_i32_b64 s44, s[94:95]
	v_mov_b32_e32 v2, s44
	s_waitcnt lgkmcnt(0)
	ds_add_u64 v0, v[2:3]
	s_trap 2
.LBB4_6653:                             ;   in Loop: Header=BB4_6599 Depth=3
	s_or_b64 exec, exec, s[92:93]
	s_trap 2
	ds_read_b64 v[1:2], v0
	s_waitcnt vmcnt(0) lgkmcnt(0)
	v_add_co_u32_e32 v38, vcc, v38, v29
	v_addc_co_u32_e32 v39, vcc, 0, v39, vcc
	v_cmp_lt_u64_e32 vcc, v[1:2], v[38:39]
	s_and_saveexec_b64 s[92:93], vcc
	s_cbranch_execz .LBB4_6662
; %bb.6654:                             ;   in Loop: Header=BB4_6599 Depth=3
	s_mov_b32 s44, 0
	s_mov_b64 s[94:95], 0
                                        ; implicit-def: $sgpr30_sgpr31
                                        ; implicit-def: $sgpr34_sgpr35
	s_branch .LBB4_6656
.LBB4_6655:                             ;   in Loop: Header=BB4_6656 Depth=4
	s_or_b64 exec, exec, s[38:39]
	s_and_b64 vcc, exec, vcc
	s_or_b64 s[94:95], vcc, s[94:95]
	s_andn2_b64 vcc, s[30:31], exec
	s_and_b64 s[30:31], s[34:35], exec
	s_or_b64 s[30:31], vcc, s[30:31]
	s_andn2_b64 exec, exec, s[94:95]
	s_cbranch_execz .LBB4_6660
.LBB4_6656:                             ;   Parent Loop BB4_47 Depth=1
                                        ;     Parent Loop BB4_6416 Depth=2
                                        ;       Parent Loop BB4_6599 Depth=3
                                        ; =>      This Inner Loop Header: Depth=4
	s_add_i32 s44, s44, 1
	s_cmpk_lg_i32 s44, 0x2710
	s_cselect_b64 s[36:37], -1, 0
	s_and_b64 vcc, exec, s[36:37]
	s_cbranch_vccz .LBB4_6658
; %bb.6657:                             ;   in Loop: Header=BB4_6656 Depth=4
	s_mov_b64 vcc, -1
	s_or_b64 s[34:35], s[34:35], exec
	s_and_saveexec_b64 s[38:39], s[36:37]
	s_cbranch_execz .LBB4_6655
	s_branch .LBB4_6659
.LBB4_6658:                             ;   in Loop: Header=BB4_6656 Depth=4
	s_trap 2
	ds_read_b64 v[1:2], v0
	s_andn2_b64 s[36:37], s[36:37], exec
	s_mov_b32 s44, 0
	s_waitcnt lgkmcnt(0)
	flat_load_dword v1, v[1:2] glc
	s_waitcnt vmcnt(0) lgkmcnt(0)
	buffer_wbinvl1_vol
	v_cmp_eq_u32_e32 vcc, 0, v1
	s_and_b64 vcc, vcc, exec
	s_or_b64 s[36:37], s[36:37], vcc
	s_mov_b64 vcc, -1
	s_or_b64 s[34:35], s[34:35], exec
	s_and_saveexec_b64 s[38:39], s[36:37]
	s_cbranch_execz .LBB4_6655
.LBB4_6659:                             ;   in Loop: Header=BB4_6656 Depth=4
	s_sleep 1
	s_trap 2
	ds_read_b64 v[1:2], v0
	s_waitcnt lgkmcnt(0)
	s_andn2_b64 s[34:35], s[34:35], exec
	v_cmp_ge_u64_e32 vcc, v[1:2], v[38:39]
	s_orn2_b64 vcc, vcc, exec
	s_branch .LBB4_6655
.LBB4_6660:                             ;   in Loop: Header=BB4_6599 Depth=3
	s_or_b64 exec, exec, s[94:95]
	s_and_saveexec_b64 s[44:45], s[30:31]
	s_xor_b64 s[44:45], exec, s[44:45]
	s_cbranch_execz .LBB4_6662
; %bb.6661:                             ;   in Loop: Header=BB4_6599 Depth=3
	v_mov_b32_e32 v1, 1
	ds_write_b32 v0, v1
	s_trap 2
.LBB4_6662:                             ;   in Loop: Header=BB4_6599 Depth=3
	s_or_b64 exec, exec, s[92:93]
	;;#ASMSTART
	s_wakeup
	;;#ASMEND
.LBB4_6663:                             ;   in Loop: Header=BB4_6599 Depth=3
	s_or_b64 exec, exec, s[90:91]
.LBB4_6664:                             ;   in Loop: Header=BB4_6599 Depth=3
	s_andn2_saveexec_b64 s[42:43], s[42:43]
	s_cbranch_execz .LBB4_6666
; %bb.6665:                             ;   in Loop: Header=BB4_6599 Depth=3
	;;#ASMSTART
	s_waitcnt lgkmcnt(0) vmcnt(0)
	;;#ASMEND
	s_waitcnt vmcnt(0) lgkmcnt(0)
	s_barrier
.LBB4_6666:                             ;   in Loop: Header=BB4_6599 Depth=3
	s_or_b64 exec, exec, s[42:43]
	v_and_b32_e32 v2, 16, v4
.LBB4_6667:                             ;   in Loop: Header=BB4_6599 Depth=3
	s_or_b64 exec, exec, s[26:27]
	v_cmp_ne_u32_e32 vcc, 0, v2
	s_xor_b64 s[26:27], s[12:13], -1
	s_and_b64 s[42:43], vcc, s[26:27]
	s_and_saveexec_b64 s[26:27], s[42:43]
	s_cbranch_execz .LBB4_6669
; %bb.6668:                             ;   in Loop: Header=BB4_6599 Depth=3
	buffer_load_dword v1, off, s[0:3], s33 offset:100 ; 4-byte Folded Reload
	buffer_load_dword v2, off, s[0:3], s33 offset:104 ; 4-byte Folded Reload
	v_mov_b32_e32 v7, 1
	s_waitcnt vmcnt(0)
	flat_store_dword v[1:2], v7
.LBB4_6669:                             ;   in Loop: Header=BB4_6599 Depth=3
	s_or_b64 exec, exec, s[26:27]
	v_and_b32_e32 v1, 48, v4
	v_cmp_ne_u32_e32 vcc, 0, v1
	s_and_saveexec_b64 s[26:27], vcc
	s_cbranch_execz .LBB4_6598
; %bb.6670:                             ;   in Loop: Header=BB4_6599 Depth=3
	buffer_load_dword v1, off, s[0:3], s33 offset:56 ; 4-byte Folded Reload
	buffer_load_dword v2, off, s[0:3], s33 offset:60 ; 4-byte Folded Reload
	s_waitcnt vmcnt(0)
	v_add_co_u32_e32 v1, vcc, 2, v1
	v_addc_co_u32_e32 v2, vcc, 0, v2, vcc
	buffer_store_dword v1, off, s[0:3], s33 offset:56 ; 4-byte Folded Spill
	s_nop 0
	buffer_store_dword v2, off, s[0:3], s33 offset:60 ; 4-byte Folded Spill
	flat_store_dwordx2 v[32:33], v[1:2]
	s_branch .LBB4_6598
.LBB4_6671:                             ;   in Loop: Header=BB4_6416 Depth=2
	s_or_b64 exec, exec, s[90:91]
	s_or_b64 exec, exec, s[42:43]
	v_cmp_gt_i32_e32 vcc, 2, v2
	s_and_saveexec_b64 s[28:29], vcc
	s_cbranch_execnz .LBB4_6597
.LBB4_6672:                             ;   in Loop: Header=BB4_6416 Depth=2
	s_or_b64 exec, exec, s[28:29]
	s_add_i32 s26, s46, 1
	s_cmp_eq_u32 s46, s87
	s_cbranch_scc0 .LBB4_6674
	s_branch .LBB4_6675
.LBB4_6673:                             ;   in Loop: Header=BB4_6416 Depth=2
	s_or_b64 exec, exec, s[40:41]
	s_or_b64 exec, exec, s[28:29]
	s_add_i32 s26, s46, 1
	s_cmp_eq_u32 s46, s87
	s_cbranch_scc1 .LBB4_6675
.LBB4_6674:                             ;   in Loop: Header=BB4_6416 Depth=2
	s_mov_b32 s46, s26
	s_branch .LBB4_6416
.LBB4_6675:                             ;   in Loop: Header=BB4_47 Depth=1
	buffer_load_dword v5, off, s[0:3], s33 offset:220 ; 4-byte Folded Reload
	buffer_load_dword v6, off, s[0:3], s33 offset:224 ; 4-byte Folded Reload
	v_mov_b32_e32 v7, 0
	s_waitcnt vmcnt(0)
	v_mul_lo_u32 v2, v5, s97
	v_mul_lo_u32 v1, v6, s96
	v_mad_u64_u32 v[8:9], s[26:27], v5, s96, 0
	v_add3_u32 v9, v9, v2, v1
	buffer_load_dword v1, off, s[0:3], s33 offset:212 ; 4-byte Folded Reload
	buffer_load_dword v2, off, s[0:3], s33 offset:216 ; 4-byte Folded Reload
	s_waitcnt vmcnt(0)
	v_sub_co_u32_e32 v1, vcc, v1, v8
	v_subb_co_u32_e32 v2, vcc, v2, v9, vcc
	v_cmp_lt_i64_e32 vcc, v[5:6], v[1:2]
	v_mov_b32_e32 v2, 0
	v_cndmask_b32_e32 v1, v1, v5, vcc
	v_max_i32_e32 v5, 0, v1
	v_add_u32_e32 v6, 31, v5
	v_lshrrev_b32_e32 v6, 1, v6
	v_and_b32_e32 v6, 0x3ffffff0, v6
	v_cmp_lt_i32_e32 vcc, 0, v1
	v_max_i32_e32 v6, s86, v6
	s_and_b64 s[26:27], s[78:79], vcc
	s_and_saveexec_b64 s[28:29], s[26:27]
	s_cbranch_execz .LBB4_6815
; %bb.6676:                             ;   in Loop: Header=BB4_47 Depth=1
	buffer_load_dword v1, off, s[0:3], s33 offset:156 ; 4-byte Folded Reload
	s_mov_b32 s46, 1
	s_mov_b64 s[42:43], -1
	v_mov_b32_e32 v7, 0
	s_mov_b64 s[40:41], 0
	s_waitcnt vmcnt(0)
	v_add_co_u32_e32 v16, vcc, v8, v1
	buffer_load_dword v1, off, s[0:3], s33 offset:160 ; 4-byte Folded Reload
	s_waitcnt vmcnt(0)
	v_addc_co_u32_e32 v17, vcc, v9, v1, vcc
	s_branch .LBB4_6678
.LBB4_6677:                             ;   in Loop: Header=BB4_6678 Depth=2
	s_or_b64 exec, exec, s[26:27]
	v_add_u32_e32 v7, v6, v7
	v_cmp_ge_i32_e32 vcc, v7, v5
	s_xor_b64 s[26:27], s[42:43], -1
	s_or_b64 s[26:27], s[26:27], vcc
	s_and_b64 s[26:27], exec, s[26:27]
	s_or_b64 s[40:41], s[26:27], s[40:41]
	s_mov_b64 s[42:43], 0
	v_mov_b32_e32 v2, s46
	s_mov_b32 s46, 2
	s_andn2_b64 exec, exec, s[40:41]
	s_cbranch_execz .LBB4_6814
.LBB4_6678:                             ;   Parent Loop BB4_47 Depth=1
                                        ; =>  This Loop Header: Depth=2
                                        ;       Child Loop BB4_6686 Depth 3
                                        ;       Child Loop BB4_6710 Depth 3
                                        ;       Child Loop BB4_6729 Depth 3
                                        ;       Child Loop BB4_6755 Depth 3
                                        ;       Child Loop BB4_6760 Depth 3
                                        ;       Child Loop BB4_6768 Depth 3
                                        ;       Child Loop BB4_6773 Depth 3
                                        ;       Child Loop BB4_6782 Depth 3
                                        ;       Child Loop BB4_6801 Depth 3
	s_and_saveexec_b64 s[26:27], s[4:5]
	s_cbranch_execz .LBB4_6680
; %bb.6679:                             ;   in Loop: Header=BB4_6678 Depth=2
	s_trap 2
	ds_read_b128 v[8:11], v0
	s_waitcnt lgkmcnt(0)
	v_add_co_u32_e32 v1, vcc, v8, v16
	v_addc_co_u32_e32 v2, vcc, v9, v17, vcc
	v_ashrrev_i32_e32 v8, 31, v7
	v_add_co_u32_e32 v1, vcc, v1, v7
	v_addc_co_u32_e32 v2, vcc, v2, v8, vcc
	ds_write_b64 v0, v[1:2]
	v_add_co_u32_e32 v1, vcc, v10, v16
	v_addc_co_u32_e32 v2, vcc, v11, v17, vcc
	v_add_co_u32_e32 v1, vcc, v1, v7
	v_addc_co_u32_e32 v2, vcc, v2, v8, vcc
	v_cmp_ne_u64_e32 vcc, 0, v[10:11]
	v_cndmask_b32_e32 v2, 0, v2, vcc
	v_cndmask_b32_e32 v1, 0, v1, vcc
	ds_write_b64 v0, v[1:2]
.LBB4_6680:                             ;   in Loop: Header=BB4_6678 Depth=2
	s_or_b64 exec, exec, s[26:27]
	v_and_b32_e32 v1, 4, v4
	v_cmp_ne_u32_e32 vcc, 0, v1
	s_and_saveexec_b64 s[90:91], vcc
	s_cbranch_execz .LBB4_6702
; %bb.6681:                             ;   in Loop: Header=BB4_6678 Depth=2
	buffer_load_dword v1, off, s[0:3], s33 offset:56 ; 4-byte Folded Reload
	buffer_load_dword v2, off, s[0:3], s33 offset:60 ; 4-byte Folded Reload
	s_waitcnt vmcnt(0)
	v_add_co_u32_e32 v8, vcc, 2, v1
	v_addc_co_u32_e32 v9, vcc, 0, v2, vcc
	s_waitcnt lgkmcnt(0)
	v_cmp_lt_u64_e32 vcc, v[48:49], v[8:9]
	s_and_saveexec_b64 s[92:93], vcc
	s_cbranch_execz .LBB4_6693
; %bb.6682:                             ;   in Loop: Header=BB4_6678 Depth=2
	v_and_b32_e32 v1, 64, v4
	s_mov_b32 s44, 0
	v_cmp_eq_u32_e32 vcc, 0, v1
	s_mov_b64 s[94:95], 0
                                        ; implicit-def: $sgpr30_sgpr31
                                        ; implicit-def: $sgpr34_sgpr35
                                        ; implicit-def: $sgpr36_sgpr37
	s_branch .LBB4_6686
.LBB4_6683:                             ;   in Loop: Header=BB4_6686 Depth=3
	s_waitcnt vmcnt(0) lgkmcnt(0)
	v_cmp_ge_u64_e64 s[26:27], v[48:49], v[8:9]
	s_or_b64 s[50:51], s[50:51], exec
	s_orn2_b64 s[48:49], s[26:27], exec
.LBB4_6684:                             ;   in Loop: Header=BB4_6686 Depth=3
	s_or_b64 exec, exec, s[54:55]
	s_andn2_b64 s[26:27], s[36:37], exec
	s_and_b64 s[36:37], s[50:51], exec
	s_or_b64 s[36:37], s[26:27], s[36:37]
	s_andn2_b64 s[26:27], s[34:35], exec
	s_and_b64 s[34:35], s[48:49], exec
	s_or_b64 s[34:35], s[26:27], s[34:35]
.LBB4_6685:                             ;   in Loop: Header=BB4_6686 Depth=3
	s_or_b64 exec, exec, s[38:39]
	s_and_b64 s[26:27], exec, s[34:35]
	s_or_b64 s[94:95], s[26:27], s[94:95]
	s_andn2_b64 s[26:27], s[30:31], exec
	s_and_b64 s[30:31], s[36:37], exec
	s_or_b64 s[30:31], s[26:27], s[30:31]
	s_andn2_b64 exec, exec, s[94:95]
	s_cbranch_execz .LBB4_6690
.LBB4_6686:                             ;   Parent Loop BB4_47 Depth=1
                                        ;     Parent Loop BB4_6678 Depth=2
                                        ; =>    This Inner Loop Header: Depth=3
	s_sleep 1
	s_waitcnt vmcnt(0) lgkmcnt(0)
	flat_load_dwordx2 v[48:49], v[32:33] glc
	s_or_b64 s[36:37], s[36:37], exec
	s_or_b64 s[34:35], s[34:35], exec
                                        ; implicit-def: $vgpr2
	s_and_saveexec_b64 s[38:39], vcc
	s_cbranch_execz .LBB4_6685
; %bb.6687:                             ;   in Loop: Header=BB4_6686 Depth=3
	s_cmpk_lt_i32 s44, 0x270f
	s_cselect_b64 s[52:53], -1, 0
	s_cmpk_gt_i32 s44, 0x270e
	s_mov_b64 s[48:49], -1
	s_cbranch_scc0 .LBB4_6689
; %bb.6688:                             ;   in Loop: Header=BB4_6686 Depth=3
	s_trap 2
	ds_read_b64 v[1:2], v0
	s_andn2_b64 s[52:53], s[52:53], exec
	s_mov_b32 s44, 0
	s_mov_b64 s[50:51], 0
	s_waitcnt vmcnt(0) lgkmcnt(0)
	flat_load_dword v2, v[1:2] glc
	s_waitcnt vmcnt(0) lgkmcnt(0)
	buffer_wbinvl1_vol
	v_cmp_eq_u32_e64 s[26:27], 0, v2
	s_and_b64 s[26:27], s[26:27], exec
	s_or_b64 s[52:53], s[52:53], s[26:27]
	s_and_saveexec_b64 s[54:55], s[52:53]
	s_cbranch_execz .LBB4_6684
	s_branch .LBB4_6683
.LBB4_6689:                             ;   in Loop: Header=BB4_6686 Depth=3
	s_add_i32 s44, s44, 1
	s_mov_b64 s[50:51], -1
                                        ; implicit-def: $vgpr2
	s_and_saveexec_b64 s[54:55], s[52:53]
	s_cbranch_execz .LBB4_6684
	s_branch .LBB4_6683
.LBB4_6690:                             ;   in Loop: Header=BB4_6678 Depth=2
	s_or_b64 exec, exec, s[94:95]
	s_xor_b64 s[26:27], s[30:31], -1
	s_and_saveexec_b64 s[44:45], s[26:27]
	s_xor_b64 s[26:27], exec, s[44:45]
	s_cbranch_execz .LBB4_6692
; %bb.6691:                             ;   in Loop: Header=BB4_6678 Depth=2
	v_or_b32_e32 v4, 64, v4
	s_waitcnt lgkmcnt(0)
	ds_write_b32 v0, v2
	s_trap 2
.LBB4_6692:                             ;   in Loop: Header=BB4_6678 Depth=2
	s_or_b64 exec, exec, s[26:27]
.LBB4_6693:                             ;   in Loop: Header=BB4_6678 Depth=2
	s_or_b64 exec, exec, s[92:93]
	v_and_b32_e32 v1, 0x100, v4
	;;#ASMSTART
	s_wakeup
	;;#ASMEND
	v_cmp_ne_u32_e32 vcc, 0, v1
	buffer_load_dword v1, off, s[0:3], s33 offset:56 ; 4-byte Folded Reload
	buffer_load_dword v2, off, s[0:3], s33 offset:60 ; 4-byte Folded Reload
	s_mov_b64 s[26:27], -1
                                        ; implicit-def: $vgpr10_vgpr11
	s_waitcnt vmcnt(0)
	v_and_b32_e32 v1, 7, v1
	s_and_saveexec_b64 s[92:93], vcc
	s_cbranch_execz .LBB4_6697
; %bb.6694:                             ;   in Loop: Header=BB4_6678 Depth=2
	buffer_load_dword v10, off, s[0:3], s33 offset:84 ; 4-byte Folded Reload
	buffer_load_dword v11, off, s[0:3], s33 offset:88 ; 4-byte Folded Reload
	;; [unrolled: 1-line block ×4, first 2 shown]
	s_waitcnt vmcnt(0)
	v_mad_u64_u32 v[12:13], s[26:27], v1, 24, v[10:11]
                                        ; implicit-def: $vgpr10_vgpr11
	flat_load_dword v2, v[12:13]
	s_waitcnt vmcnt(0) lgkmcnt(0)
	v_cmp_ne_u32_e32 vcc, 1, v2
	v_cmp_eq_u32_e64 s[26:27], 1, v2
	s_and_saveexec_b64 s[94:95], s[26:27]
	s_cbranch_execz .LBB4_6696
; %bb.6695:                             ;   in Loop: Header=BB4_6678 Depth=2
	flat_load_dword v10, v[12:13] offset:4 glc
	s_waitcnt vmcnt(0) lgkmcnt(0)
	v_ashrrev_i32_e32 v11, 31, v10
.LBB4_6696:                             ;   in Loop: Header=BB4_6678 Depth=2
	s_or_b64 exec, exec, s[94:95]
	s_orn2_b64 s[26:27], vcc, exec
.LBB4_6697:                             ;   in Loop: Header=BB4_6678 Depth=2
	s_or_b64 exec, exec, s[92:93]
	s_and_saveexec_b64 s[92:93], s[26:27]
	s_cbranch_execz .LBB4_6699
; %bb.6698:                             ;   in Loop: Header=BB4_6678 Depth=2
	buffer_load_dword v2, off, s[0:3], s33 offset:116 ; 4-byte Folded Reload
	s_waitcnt vmcnt(0)
	v_mad_i64_i32 v[10:11], s[26:27], v1, v2, 0
.LBB4_6699:                             ;   in Loop: Header=BB4_6678 Depth=2
	s_or_b64 exec, exec, s[92:93]
	buffer_load_dword v1, off, s[0:3], s33 offset:76 ; 4-byte Folded Reload
	buffer_load_dword v2, off, s[0:3], s33 offset:80 ; 4-byte Folded Reload
	s_waitcnt vmcnt(0)
	v_add_co_u32_e32 v1, vcc, v1, v10
	v_addc_co_u32_e32 v2, vcc, v2, v11, vcc
	ds_write_b64 v0, v[1:2] offset:720
	v_and_b32_e32 v1, 0x2000, v4
	v_cmp_ne_u32_e32 vcc, 0, v1
	s_and_saveexec_b64 s[26:27], vcc
	s_cbranch_execz .LBB4_6701
; %bb.6700:                             ;   in Loop: Header=BB4_6678 Depth=2
	ds_read_b64 v[1:2], v0 offset:872
	s_waitcnt lgkmcnt(0)
	v_add_co_u32_e32 v1, vcc, 1, v1
	v_addc_co_u32_e32 v2, vcc, 0, v2, vcc
	ds_write_b64 v0, v[1:2] offset:872
.LBB4_6701:                             ;   in Loop: Header=BB4_6678 Depth=2
	s_or_b64 exec, exec, s[26:27]
	buffer_store_dword v8, off, s[0:3], s33 offset:56 ; 4-byte Folded Spill
	s_nop 0
	buffer_store_dword v9, off, s[0:3], s33 offset:60 ; 4-byte Folded Spill
.LBB4_6702:                             ;   in Loop: Header=BB4_6678 Depth=2
	s_or_b64 exec, exec, s[90:91]
	s_and_saveexec_b64 s[26:27], s[10:11]
	s_cbranch_execz .LBB4_6721
; %bb.6703:                             ;   in Loop: Header=BB4_6678 Depth=2
	s_and_saveexec_b64 s[44:45], s[58:59]
	s_xor_b64 s[90:91], exec, s[44:45]
	s_cbranch_execz .LBB4_6718
; %bb.6704:                             ;   in Loop: Header=BB4_6678 Depth=2
	s_and_saveexec_b64 s[92:93], s[16:17]
	s_cbranch_execz .LBB4_6717
; %bb.6705:                             ;   in Loop: Header=BB4_6678 Depth=2
	s_mov_b64 s[30:31], exec
	v_mbcnt_lo_u32_b32 v1, s30, 0
	v_mbcnt_hi_u32_b32 v1, s31, v1
	v_cmp_eq_u32_e32 vcc, 0, v1
	s_waitcnt vmcnt(0) lgkmcnt(0)
	buffer_wbinvl1_vol
	s_and_saveexec_b64 s[94:95], vcc
	s_cbranch_execz .LBB4_6707
; %bb.6706:                             ;   in Loop: Header=BB4_6678 Depth=2
	s_bcnt1_i32_b64 s44, s[30:31]
	v_mov_b32_e32 v2, s44
	ds_add_u64 v0, v[2:3]
	s_trap 2
.LBB4_6707:                             ;   in Loop: Header=BB4_6678 Depth=2
	s_or_b64 exec, exec, s[94:95]
	s_trap 2
	ds_read_b64 v[1:2], v0
	s_waitcnt lgkmcnt(0)
	v_add_co_u32_e32 v38, vcc, v38, v29
	v_addc_co_u32_e32 v39, vcc, 0, v39, vcc
	v_cmp_lt_u64_e32 vcc, v[1:2], v[38:39]
	s_and_saveexec_b64 s[94:95], vcc
	s_cbranch_execz .LBB4_6716
; %bb.6708:                             ;   in Loop: Header=BB4_6678 Depth=2
	s_mov_b32 s44, 0
	s_mov_b64 s[30:31], 0
                                        ; implicit-def: $sgpr34_sgpr35
                                        ; implicit-def: $sgpr36_sgpr37
	s_branch .LBB4_6710
.LBB4_6709:                             ;   in Loop: Header=BB4_6710 Depth=3
	s_or_b64 exec, exec, s[48:49]
	s_and_b64 vcc, exec, vcc
	s_or_b64 s[30:31], vcc, s[30:31]
	s_andn2_b64 vcc, s[34:35], exec
	s_and_b64 s[34:35], s[36:37], exec
	s_or_b64 s[34:35], vcc, s[34:35]
	s_andn2_b64 exec, exec, s[30:31]
	s_cbranch_execz .LBB4_6714
.LBB4_6710:                             ;   Parent Loop BB4_47 Depth=1
                                        ;     Parent Loop BB4_6678 Depth=2
                                        ; =>    This Inner Loop Header: Depth=3
	s_add_i32 s44, s44, 1
	s_cmpk_lg_i32 s44, 0x2710
	s_cselect_b64 s[38:39], -1, 0
	s_and_b64 vcc, exec, s[38:39]
	s_cbranch_vccz .LBB4_6712
; %bb.6711:                             ;   in Loop: Header=BB4_6710 Depth=3
	s_mov_b64 vcc, -1
	s_or_b64 s[36:37], s[36:37], exec
	s_and_saveexec_b64 s[48:49], s[38:39]
	s_cbranch_execz .LBB4_6709
	s_branch .LBB4_6713
.LBB4_6712:                             ;   in Loop: Header=BB4_6710 Depth=3
	s_trap 2
	ds_read_b64 v[1:2], v0
	s_andn2_b64 s[38:39], s[38:39], exec
	s_mov_b32 s44, 0
	s_waitcnt lgkmcnt(0)
	flat_load_dword v1, v[1:2] glc
	s_waitcnt vmcnt(0) lgkmcnt(0)
	buffer_wbinvl1_vol
	v_cmp_eq_u32_e32 vcc, 0, v1
	s_and_b64 vcc, vcc, exec
	s_or_b64 s[38:39], s[38:39], vcc
	s_mov_b64 vcc, -1
	s_or_b64 s[36:37], s[36:37], exec
	s_and_saveexec_b64 s[48:49], s[38:39]
	s_cbranch_execz .LBB4_6709
.LBB4_6713:                             ;   in Loop: Header=BB4_6710 Depth=3
	s_sleep 1
	s_trap 2
	ds_read_b64 v[1:2], v0
	s_waitcnt lgkmcnt(0)
	s_andn2_b64 s[36:37], s[36:37], exec
	v_cmp_ge_u64_e32 vcc, v[1:2], v[38:39]
	s_orn2_b64 vcc, vcc, exec
	s_branch .LBB4_6709
.LBB4_6714:                             ;   in Loop: Header=BB4_6678 Depth=2
	s_or_b64 exec, exec, s[30:31]
	s_and_saveexec_b64 s[44:45], s[34:35]
	s_xor_b64 s[44:45], exec, s[44:45]
	s_cbranch_execz .LBB4_6716
; %bb.6715:                             ;   in Loop: Header=BB4_6678 Depth=2
	v_mov_b32_e32 v1, 1
	ds_write_b32 v0, v1
	s_trap 2
.LBB4_6716:                             ;   in Loop: Header=BB4_6678 Depth=2
	s_or_b64 exec, exec, s[94:95]
	;;#ASMSTART
	s_wakeup
	;;#ASMEND
.LBB4_6717:                             ;   in Loop: Header=BB4_6678 Depth=2
	s_or_b64 exec, exec, s[92:93]
.LBB4_6718:                             ;   in Loop: Header=BB4_6678 Depth=2
	s_andn2_saveexec_b64 s[90:91], s[90:91]
	s_cbranch_execz .LBB4_6720
; %bb.6719:                             ;   in Loop: Header=BB4_6678 Depth=2
	s_waitcnt vmcnt(0) lgkmcnt(0)
	buffer_wbinvl1_vol
	s_barrier
.LBB4_6720:                             ;   in Loop: Header=BB4_6678 Depth=2
	s_or_b64 exec, exec, s[90:91]
.LBB4_6721:                             ;   in Loop: Header=BB4_6678 Depth=2
	s_or_b64 exec, exec, s[26:27]
	s_trap 2
	ds_read_b32 v12, v0
	v_and_b32_e32 v1, 0x4000, v4
	v_cmp_ne_u32_e32 vcc, 0, v1
	s_xor_b64 s[26:27], s[6:7], -1
	s_and_b64 s[44:45], s[26:27], vcc
	s_and_saveexec_b64 s[26:27], s[44:45]
	s_cbranch_execz .LBB4_6740
; %bb.6722:                             ;   in Loop: Header=BB4_6678 Depth=2
	s_and_saveexec_b64 s[44:45], s[58:59]
	s_xor_b64 s[90:91], exec, s[44:45]
	s_cbranch_execz .LBB4_6737
; %bb.6723:                             ;   in Loop: Header=BB4_6678 Depth=2
	s_and_saveexec_b64 s[92:93], s[16:17]
	s_cbranch_execz .LBB4_6736
; %bb.6724:                             ;   in Loop: Header=BB4_6678 Depth=2
	s_mov_b64 s[30:31], exec
	v_mbcnt_lo_u32_b32 v1, s30, 0
	v_mbcnt_hi_u32_b32 v1, s31, v1
	v_cmp_eq_u32_e32 vcc, 0, v1
	s_waitcnt vmcnt(0) lgkmcnt(0)
	buffer_wbinvl1_vol
	s_and_saveexec_b64 s[94:95], vcc
	s_cbranch_execz .LBB4_6726
; %bb.6725:                             ;   in Loop: Header=BB4_6678 Depth=2
	s_bcnt1_i32_b64 s44, s[30:31]
	v_mov_b32_e32 v2, s44
	ds_add_u64 v0, v[2:3]
	s_trap 2
.LBB4_6726:                             ;   in Loop: Header=BB4_6678 Depth=2
	s_or_b64 exec, exec, s[94:95]
	s_trap 2
	ds_read_b64 v[1:2], v0
	s_waitcnt lgkmcnt(0)
	v_add_co_u32_e32 v38, vcc, v38, v29
	v_addc_co_u32_e32 v39, vcc, 0, v39, vcc
	v_cmp_lt_u64_e32 vcc, v[1:2], v[38:39]
	s_and_saveexec_b64 s[94:95], vcc
	s_cbranch_execz .LBB4_6735
; %bb.6727:                             ;   in Loop: Header=BB4_6678 Depth=2
	s_mov_b32 s44, 0
	s_mov_b64 s[30:31], 0
                                        ; implicit-def: $sgpr34_sgpr35
                                        ; implicit-def: $sgpr36_sgpr37
	s_branch .LBB4_6729
.LBB4_6728:                             ;   in Loop: Header=BB4_6729 Depth=3
	s_or_b64 exec, exec, s[48:49]
	s_and_b64 vcc, exec, vcc
	s_or_b64 s[30:31], vcc, s[30:31]
	s_andn2_b64 vcc, s[34:35], exec
	s_and_b64 s[34:35], s[36:37], exec
	s_or_b64 s[34:35], vcc, s[34:35]
	s_andn2_b64 exec, exec, s[30:31]
	s_cbranch_execz .LBB4_6733
.LBB4_6729:                             ;   Parent Loop BB4_47 Depth=1
                                        ;     Parent Loop BB4_6678 Depth=2
                                        ; =>    This Inner Loop Header: Depth=3
	s_add_i32 s44, s44, 1
	s_cmpk_lg_i32 s44, 0x2710
	s_cselect_b64 s[38:39], -1, 0
	s_and_b64 vcc, exec, s[38:39]
	s_cbranch_vccz .LBB4_6731
; %bb.6730:                             ;   in Loop: Header=BB4_6729 Depth=3
	s_mov_b64 vcc, -1
	s_or_b64 s[36:37], s[36:37], exec
	s_and_saveexec_b64 s[48:49], s[38:39]
	s_cbranch_execz .LBB4_6728
	s_branch .LBB4_6732
.LBB4_6731:                             ;   in Loop: Header=BB4_6729 Depth=3
	s_trap 2
	ds_read_b64 v[1:2], v0
	s_andn2_b64 s[38:39], s[38:39], exec
	s_mov_b32 s44, 0
	s_waitcnt lgkmcnt(0)
	flat_load_dword v1, v[1:2] glc
	s_waitcnt vmcnt(0) lgkmcnt(0)
	buffer_wbinvl1_vol
	v_cmp_eq_u32_e32 vcc, 0, v1
	s_and_b64 vcc, vcc, exec
	s_or_b64 s[38:39], s[38:39], vcc
	s_mov_b64 vcc, -1
	s_or_b64 s[36:37], s[36:37], exec
	s_and_saveexec_b64 s[48:49], s[38:39]
	s_cbranch_execz .LBB4_6728
.LBB4_6732:                             ;   in Loop: Header=BB4_6729 Depth=3
	s_sleep 1
	s_trap 2
	ds_read_b64 v[1:2], v0
	s_waitcnt lgkmcnt(0)
	s_andn2_b64 s[36:37], s[36:37], exec
	v_cmp_ge_u64_e32 vcc, v[1:2], v[38:39]
	s_orn2_b64 vcc, vcc, exec
	s_branch .LBB4_6728
.LBB4_6733:                             ;   in Loop: Header=BB4_6678 Depth=2
	s_or_b64 exec, exec, s[30:31]
	s_and_saveexec_b64 s[44:45], s[34:35]
	s_xor_b64 s[44:45], exec, s[44:45]
	s_cbranch_execz .LBB4_6735
; %bb.6734:                             ;   in Loop: Header=BB4_6678 Depth=2
	v_mov_b32_e32 v1, 1
	ds_write_b32 v0, v1
	s_trap 2
.LBB4_6735:                             ;   in Loop: Header=BB4_6678 Depth=2
	s_or_b64 exec, exec, s[94:95]
	;;#ASMSTART
	s_wakeup
	;;#ASMEND
.LBB4_6736:                             ;   in Loop: Header=BB4_6678 Depth=2
	s_or_b64 exec, exec, s[92:93]
.LBB4_6737:                             ;   in Loop: Header=BB4_6678 Depth=2
	s_andn2_saveexec_b64 s[90:91], s[90:91]
	s_cbranch_execz .LBB4_6739
; %bb.6738:                             ;   in Loop: Header=BB4_6678 Depth=2
	s_waitcnt vmcnt(0) lgkmcnt(0)
	buffer_wbinvl1_vol
	s_barrier
.LBB4_6739:                             ;   in Loop: Header=BB4_6678 Depth=2
	s_or_b64 exec, exec, s[90:91]
.LBB4_6740:                             ;   in Loop: Header=BB4_6678 Depth=2
	s_or_b64 exec, exec, s[26:27]
	s_trap 2
	ds_read_b64 v[8:9], v0
	v_sub_u32_e32 v1, v5, v7
	v_min_i32_e32 v6, v6, v1
	s_waitcnt lgkmcnt(0)
	v_cmp_eq_u64_e32 vcc, 0, v[8:9]
	s_cbranch_vccnz .LBB4_6748
; %bb.6741:                             ;   in Loop: Header=BB4_6678 Depth=2
	s_trap 2
	ds_read_b64 v[10:11], v0
	s_waitcnt lgkmcnt(0)
	v_cmp_eq_u64_e32 vcc, 0, v[10:11]
	s_cbranch_vccnz .LBB4_6748
; %bb.6742:                             ;   in Loop: Header=BB4_6678 Depth=2
	s_mov_b64 s[26:27], -1
	s_and_saveexec_b64 s[90:91], s[20:21]
	s_cbranch_execz .LBB4_6744
; %bb.6743:                             ;   in Loop: Header=BB4_6678 Depth=2
	ds_read_b32 v1, v0 offset:720
	s_waitcnt lgkmcnt(0)
	v_and_b32_e32 v1, 15, v1
	v_cmp_eq_u32_e32 vcc, 0, v1
	s_orn2_b64 s[26:27], vcc, exec
.LBB4_6744:                             ;   in Loop: Header=BB4_6678 Depth=2
	s_or_b64 exec, exec, s[90:91]
	s_and_saveexec_b64 s[90:91], s[18:19]
	s_cbranch_execz .LBB4_6746
; %bb.6745:                             ;   in Loop: Header=BB4_6678 Depth=2
	ds_read_b32 v1, v0 offset:784
	s_waitcnt lgkmcnt(0)
	v_and_b32_e32 v1, 15, v1
	v_cmp_eq_u32_e32 vcc, 0, v1
	s_and_b64 s[44:45], s[26:27], vcc
	s_andn2_b64 s[26:27], s[26:27], exec
	s_and_b64 s[44:45], s[44:45], exec
	s_or_b64 s[26:27], s[26:27], s[44:45]
.LBB4_6746:                             ;   in Loop: Header=BB4_6678 Depth=2
	s_or_b64 exec, exec, s[90:91]
	buffer_load_dword v20, off, s[0:3], s33 offset:112 ; 4-byte Folded Reload
	v_cmp_eq_u32_e32 vcc, 0, v12
	s_xor_b64 s[26:27], s[26:27], -1
	v_cndmask_b32_e32 v2, 0, v6, vcc
	v_cndmask_b32_e64 v1, 0, 1, s[26:27]
	s_mov_b64 s[92:93], -1
	v_cmp_ne_u32_e32 vcc, 0, v1
	v_mov_b32_e32 v12, 0
	v_mov_b32_e32 v13, v2
	;; [unrolled: 1-line block ×3, first 2 shown]
	s_cbranch_vccz .LBB4_6753
; %bb.6747:                             ;   in Loop: Header=BB4_6678 Depth=2
	s_and_saveexec_b64 s[26:27], s[92:93]
	s_cbranch_execnz .LBB4_6766
	s_branch .LBB4_6774
.LBB4_6748:                             ;   in Loop: Header=BB4_6678 Depth=2
	s_mov_b64 s[26:27], 0
	s_and_saveexec_b64 s[90:91], s[10:11]
	s_cbranch_execnz .LBB4_6775
.LBB4_6749:                             ;   in Loop: Header=BB4_6678 Depth=2
	s_or_b64 exec, exec, s[90:91]
	s_and_saveexec_b64 s[44:45], s[24:25]
	s_xor_b64 s[90:91], exec, s[44:45]
	s_cbranch_execz .LBB4_6793
.LBB4_6750:                             ;   in Loop: Header=BB4_6678 Depth=2
	v_and_b32_e32 v1, 16, v4
	v_cmp_ne_u32_e32 vcc, 0, v1
	s_and_b64 s[44:45], vcc, s[26:27]
	s_and_saveexec_b64 s[26:27], s[44:45]
	s_cbranch_execz .LBB4_6752
; %bb.6751:                             ;   in Loop: Header=BB4_6678 Depth=2
	s_waitcnt vmcnt(0) lgkmcnt(0)
	buffer_wbinvl1_vol
.LBB4_6752:                             ;   in Loop: Header=BB4_6678 Depth=2
	s_or_b64 exec, exec, s[26:27]
	s_andn2_saveexec_b64 s[26:27], s[90:91]
	s_cbranch_execz .LBB4_6812
	s_branch .LBB4_6794
.LBB4_6753:                             ;   in Loop: Header=BB4_6678 Depth=2
	v_ashrrev_i32_e32 v1, 31, v2
	v_lshrrev_b32_e32 v1, 20, v1
	v_add_u32_e32 v1, v2, v1
	v_ashrrev_i32_e32 v19, 12, v1
	buffer_load_dword v1, off, s[0:3], s33 offset:112 ; 4-byte Folded Reload
	s_waitcnt vmcnt(0)
	v_sub_u32_e32 v18, v19, v1
	v_cmp_lt_i32_e32 vcc, 0, v18
	s_and_saveexec_b64 s[26:27], vcc
	s_cbranch_execz .LBB4_6757
; %bb.6754:                             ;   in Loop: Header=BB4_6678 Depth=2
	buffer_load_dword v52, off, s[0:3], s33 offset:236 ; 4-byte Folded Reload
	buffer_load_dword v53, off, s[0:3], s33 offset:240 ; 4-byte Folded Reload
	;; [unrolled: 1-line block ×3, first 2 shown]
	v_mov_b32_e32 v13, v11
	v_mov_b32_e32 v15, v9
	s_mov_b64 s[90:91], 0
	v_mov_b32_e32 v12, v10
	v_mov_b32_e32 v14, v8
	;; [unrolled: 1-line block ×3, first 2 shown]
.LBB4_6755:                             ;   Parent Loop BB4_47 Depth=1
                                        ;     Parent Loop BB4_6678 Depth=2
                                        ; =>    This Inner Loop Header: Depth=3
	s_waitcnt vmcnt(1)
	v_add_co_u32_e32 v34, vcc, v53, v14
	s_waitcnt vmcnt(0)
	v_addc_co_u32_e32 v35, vcc, v54, v15, vcc
	global_load_dwordx4 v[20:23], v[34:35], off glc slc
	global_load_dwordx4 v[24:27], v[34:35], off offset:1024 glc slc
	global_load_dwordx4 v[28:31], v[34:35], off offset:2048 glc slc
	s_nop 0
	global_load_dwordx4 v[34:37], v[34:35], off offset:3072 glc slc
	v_add_co_u32_e32 v50, vcc, v53, v12
	v_addc_co_u32_e32 v51, vcc, v54, v13, vcc
	v_add_co_u32_e32 v14, vcc, v14, v52
	v_addc_co_u32_e32 v15, vcc, 0, v15, vcc
	v_add_co_u32_e32 v12, vcc, v12, v52
	v_sub_u32_e32 v18, v18, v1
	v_addc_co_u32_e32 v13, vcc, 0, v13, vcc
	v_cmp_gt_i32_e32 vcc, 1, v18
	s_or_b64 s[90:91], vcc, s[90:91]
	s_waitcnt vmcnt(3)
	global_store_dwordx4 v[50:51], v[20:23], off glc slc
	s_waitcnt vmcnt(3)
	global_store_dwordx4 v[50:51], v[24:27], off offset:1024 glc slc
	s_waitcnt vmcnt(3)
	global_store_dwordx4 v[50:51], v[28:31], off offset:2048 glc slc
	;; [unrolled: 2-line block ×3, first 2 shown]
	s_andn2_b64 exec, exec, s[90:91]
	s_cbranch_execnz .LBB4_6755
; %bb.6756:                             ;   in Loop: Header=BB4_6678 Depth=2
	s_or_b64 exec, exec, s[90:91]
	v_mov_b32_e32 v29, v1
.LBB4_6757:                             ;   in Loop: Header=BB4_6678 Depth=2
	s_or_b64 exec, exec, s[26:27]
	v_lshlrev_b32_e32 v15, 12, v19
	v_cmp_ne_u32_e32 vcc, v2, v15
	s_mov_b64 s[92:93], 0
	v_mov_b32_e32 v12, 0
                                        ; implicit-def: $vgpr13
                                        ; implicit-def: $vgpr14
                                        ; implicit-def: $vgpr20
	s_and_saveexec_b64 s[90:91], vcc
	s_cbranch_execz .LBB4_6765
; %bb.6758:                             ;   in Loop: Header=BB4_6678 Depth=2
	buffer_load_dword v12, off, s[0:3], s33 offset:196 ; 4-byte Folded Reload
	v_lshlrev_b32_e32 v1, 6, v18
	v_sub_u32_e32 v13, v2, v15
	v_ashrrev_i32_e32 v19, 31, v13
	v_lshrrev_b32_e32 v19, 22, v19
	v_add_u32_e32 v19, v13, v19
	v_ashrrev_i32_e32 v20, 10, v19
	v_and_b32_e32 v19, 0xfffffc00, v19
	v_sub_u32_e32 v22, v13, v19
	v_cmp_lt_i32_e32 vcc, 15, v22
	s_waitcnt vmcnt(0)
	v_sub_u32_e32 v1, v12, v1
	v_ashrrev_i32_e32 v12, 31, v1
	v_lshrrev_b32_e32 v12, 26, v12
	v_add_u32_e32 v12, v1, v12
	v_ashrrev_i32_e32 v14, 6, v12
	v_and_b32_e32 v12, 0xffffffc0, v12
	v_sub_u32_e32 v18, v1, v12
	v_lshlrev_b32_e32 v1, 4, v18
	v_lshl_add_u32 v1, v14, 10, v1
	v_sub_u32_e32 v12, v13, v1
	v_addc_co_u32_e64 v13, s[26:27], 0, v20, vcc
	v_sub_u32_e32 v21, v13, v14
	v_cmp_lt_i32_e64 s[26:27], 15, v12
	s_and_saveexec_b64 s[92:93], s[26:27]
	s_cbranch_execz .LBB4_6762
; %bb.6759:                             ;   in Loop: Header=BB4_6678 Depth=2
	buffer_load_dword v14, off, s[0:3], s33 offset:68 ; 4-byte Folded Reload
	v_add_u32_e32 v13, v1, v15
	v_ashrrev_i32_e32 v1, 31, v13
	s_mov_b64 s[94:95], 0
.LBB4_6760:                             ;   Parent Loop BB4_47 Depth=1
                                        ;     Parent Loop BB4_6678 Depth=2
                                        ; =>    This Inner Loop Header: Depth=3
	v_add_co_u32_e64 v23, s[26:27], v8, v13
	v_addc_co_u32_e64 v24, s[26:27], v9, v1, s[26:27]
	global_load_dwordx4 v[23:26], v[23:24], off glc slc
	v_add_co_u32_e64 v27, s[26:27], v10, v13
	v_addc_co_u32_e64 v28, s[26:27], v11, v1, s[26:27]
	s_waitcnt vmcnt(1)
	v_add_co_u32_e64 v13, s[26:27], v13, v14
	v_sub_u32_e32 v12, v12, v14
	v_addc_co_u32_e64 v1, s[26:27], 0, v1, s[26:27]
	v_cmp_gt_i32_e64 s[26:27], 16, v12
	v_sub_u32_e32 v21, v21, v29
	s_or_b64 s[94:95], s[26:27], s[94:95]
	s_waitcnt vmcnt(0)
	global_store_dwordx4 v[27:28], v[23:26], off glc slc
	s_andn2_b64 exec, exec, s[94:95]
	s_cbranch_execnz .LBB4_6760
; %bb.6761:                             ;   in Loop: Header=BB4_6678 Depth=2
	s_or_b64 exec, exec, s[94:95]
.LBB4_6762:                             ;   in Loop: Header=BB4_6678 Depth=2
	s_or_b64 exec, exec, s[92:93]
	v_and_b32_e32 v1, 15, v2
	v_cndmask_b32_e32 v13, v22, v1, vcc
	v_mov_b32_e32 v12, 0
	v_cmp_ne_u32_e64 s[26:27], 0, v13
	s_mov_b64 s[94:95], 0
                                        ; implicit-def: $vgpr14
                                        ; implicit-def: $vgpr20
	s_and_saveexec_b64 s[92:93], s[26:27]
	s_cbranch_execz .LBB4_6764
; %bb.6763:                             ;   in Loop: Header=BB4_6678 Depth=2
	v_sub_u32_e32 v1, v22, v1
	v_cndmask_b32_e32 v1, 0, v1, vcc
	v_cmp_lt_i32_e32 vcc, 0, v21
	v_add3_u32 v12, v19, v15, v1
	v_cndmask_b32_e32 v1, 0, v29, vcc
	v_sub_u32_e32 v1, v1, v21
	v_lshl_add_u32 v14, v1, 6, v18
	v_ashrrev_i32_e32 v1, 31, v14
	v_lshrrev_b32_e32 v1, 26, v1
	v_add_u32_e32 v1, v14, v1
	v_ashrrev_i32_e32 v20, 6, v1
	s_mov_b64 s[94:95], exec
.LBB4_6764:                             ;   in Loop: Header=BB4_6678 Depth=2
	s_or_b64 exec, exec, s[92:93]
	s_and_b64 s[92:93], s[94:95], exec
.LBB4_6765:                             ;   in Loop: Header=BB4_6678 Depth=2
	s_or_b64 exec, exec, s[90:91]
	s_and_saveexec_b64 s[26:27], s[92:93]
	s_cbranch_execz .LBB4_6774
.LBB4_6766:                             ;   in Loop: Header=BB4_6678 Depth=2
	v_ashrrev_i32_e32 v1, 31, v13
	v_lshrrev_b32_e32 v1, 22, v1
	v_add_u32_e32 v1, v13, v1
	v_ashrrev_i32_e32 v19, 10, v1
	s_waitcnt vmcnt(0)
	v_sub_u32_e32 v15, v19, v20
	v_ashrrev_i32_e32 v1, 31, v14
	v_cmp_lt_i32_e32 vcc, 0, v15
	v_lshrrev_b32_e32 v18, 26, v1
	s_and_saveexec_b64 s[90:91], vcc
	s_cbranch_execz .LBB4_6770
; %bb.6767:                             ;   in Loop: Header=BB4_6678 Depth=2
	buffer_load_dword v54, off, s[0:3], s33 offset:68 ; 4-byte Folded Reload
	v_add_u32_e32 v1, v14, v18
	v_and_b32_e32 v1, 0xffffffc0, v1
	v_sub_u32_e32 v1, v14, v1
	v_lshlrev_b32_e32 v20, 10, v20
	v_add3_u32 v20, v12, v1, v20
	v_ashrrev_i32_e32 v21, 31, v20
	s_mov_b64 s[92:93], 0
	v_mov_b32_e32 v53, v29
.LBB4_6768:                             ;   Parent Loop BB4_47 Depth=1
                                        ;     Parent Loop BB4_6678 Depth=2
                                        ; =>    This Inner Loop Header: Depth=3
	v_add_co_u32_e32 v22, vcc, v20, v8
	v_addc_co_u32_e32 v23, vcc, v21, v9, vcc
	flat_load_ubyte v1, v[22:23] glc slc
	flat_load_ubyte v24, v[22:23] offset:64 glc slc
	flat_load_ubyte v25, v[22:23] offset:128 glc slc
	;; [unrolled: 1-line block ×15, first 2 shown]
	v_add_co_u32_e32 v22, vcc, v20, v10
	v_addc_co_u32_e32 v23, vcc, v21, v11, vcc
	s_waitcnt vmcnt(0)
	v_add_co_u32_e32 v8, vcc, v8, v54
	v_addc_co_u32_e32 v9, vcc, 0, v9, vcc
	v_add_co_u32_e32 v10, vcc, v10, v54
	v_sub_u32_e32 v15, v15, v53
	v_addc_co_u32_e32 v11, vcc, 0, v11, vcc
	v_cmp_gt_i32_e32 vcc, 1, v15
	s_or_b64 s[92:93], vcc, s[92:93]
	s_waitcnt lgkmcnt(0)
	flat_store_byte v[22:23], v1 glc slc
	flat_store_byte v[22:23], v24 offset:64 glc slc
	flat_store_byte v[22:23], v25 offset:128 glc slc
	;; [unrolled: 1-line block ×15, first 2 shown]
	s_andn2_b64 exec, exec, s[92:93]
	s_cbranch_execnz .LBB4_6768
; %bb.6769:                             ;   in Loop: Header=BB4_6678 Depth=2
	s_or_b64 exec, exec, s[92:93]
	v_mov_b32_e32 v29, v53
.LBB4_6770:                             ;   in Loop: Header=BB4_6678 Depth=2
	s_or_b64 exec, exec, s[90:91]
	v_lshlrev_b32_e32 v1, 10, v19
	v_cmp_ne_u32_e32 vcc, v13, v1
	s_and_b64 exec, exec, vcc
	s_cbranch_execz .LBB4_6774
; %bb.6771:                             ;   in Loop: Header=BB4_6678 Depth=2
	v_add_u32_e32 v8, v14, v18
	v_and_b32_e32 v8, 0xffffffc0, v8
	v_sub_u32_e32 v8, v14, v8
	v_lshlrev_b32_e32 v9, 6, v15
	v_sub_u32_e32 v8, v8, v9
	v_add_u32_e32 v1, v1, v8
	v_sub_u32_e32 v10, v13, v1
	v_cmp_lt_i32_e32 vcc, 0, v10
	s_and_b64 exec, exec, vcc
	s_cbranch_execz .LBB4_6774
; %bb.6772:                             ;   in Loop: Header=BB4_6678 Depth=2
	s_trap 2
	ds_read_b64 v[8:9], v0
	v_add_u32_e32 v1, v1, v12
	v_ashrrev_i32_e32 v11, 31, v1
	s_mov_b64 s[90:91], 0
.LBB4_6773:                             ;   Parent Loop BB4_47 Depth=1
                                        ;     Parent Loop BB4_6678 Depth=2
                                        ; =>    This Inner Loop Header: Depth=3
	s_waitcnt lgkmcnt(0)
	v_add_co_u32_e32 v12, vcc, v8, v1
	v_addc_co_u32_e32 v13, vcc, v9, v11, vcc
	flat_load_ubyte v14, v[12:13] glc slc
	v_add_co_u32_e32 v1, vcc, v1, v47
	v_sub_u32_e32 v10, v10, v47
	v_addc_co_u32_e32 v11, vcc, 0, v11, vcc
	v_cmp_gt_i32_e32 vcc, 1, v10
	s_or_b64 s[90:91], vcc, s[90:91]
	s_waitcnt vmcnt(0) lgkmcnt(0)
	flat_store_byte v[12:13], v14 glc slc
	s_andn2_b64 exec, exec, s[90:91]
	s_cbranch_execnz .LBB4_6773
.LBB4_6774:                             ;   in Loop: Header=BB4_6678 Depth=2
	s_or_b64 exec, exec, s[26:27]
	v_cmp_lt_i32_e64 s[26:27], 0, v2
	s_and_saveexec_b64 s[90:91], s[10:11]
	s_cbranch_execz .LBB4_6749
.LBB4_6775:                             ;   in Loop: Header=BB4_6678 Depth=2
	s_and_saveexec_b64 s[44:45], s[58:59]
	s_xor_b64 s[92:93], exec, s[44:45]
	s_cbranch_execz .LBB4_6790
; %bb.6776:                             ;   in Loop: Header=BB4_6678 Depth=2
	s_and_saveexec_b64 s[94:95], s[16:17]
	s_cbranch_execz .LBB4_6789
; %bb.6777:                             ;   in Loop: Header=BB4_6678 Depth=2
	s_mov_b64 s[34:35], exec
	v_mbcnt_lo_u32_b32 v1, s34, 0
	v_mbcnt_hi_u32_b32 v1, s35, v1
	v_cmp_eq_u32_e32 vcc, 0, v1
	s_waitcnt vmcnt(0) lgkmcnt(0)
	buffer_wbinvl1_vol
	s_and_saveexec_b64 s[30:31], vcc
	s_cbranch_execz .LBB4_6779
; %bb.6778:                             ;   in Loop: Header=BB4_6678 Depth=2
	s_bcnt1_i32_b64 s44, s[34:35]
	v_mov_b32_e32 v2, s44
	ds_add_u64 v0, v[2:3]
	s_trap 2
.LBB4_6779:                             ;   in Loop: Header=BB4_6678 Depth=2
	s_or_b64 exec, exec, s[30:31]
	s_trap 2
	ds_read_b64 v[1:2], v0
	s_waitcnt lgkmcnt(0)
	v_add_co_u32_e32 v38, vcc, v38, v29
	v_addc_co_u32_e32 v39, vcc, 0, v39, vcc
	v_cmp_lt_u64_e32 vcc, v[1:2], v[38:39]
	s_and_saveexec_b64 s[30:31], vcc
	s_cbranch_execz .LBB4_6788
; %bb.6780:                             ;   in Loop: Header=BB4_6678 Depth=2
	s_mov_b32 s44, 0
	s_mov_b64 s[34:35], 0
                                        ; implicit-def: $sgpr36_sgpr37
                                        ; implicit-def: $sgpr38_sgpr39
	s_branch .LBB4_6782
.LBB4_6781:                             ;   in Loop: Header=BB4_6782 Depth=3
	s_or_b64 exec, exec, s[50:51]
	s_and_b64 vcc, exec, vcc
	s_or_b64 s[34:35], vcc, s[34:35]
	s_andn2_b64 vcc, s[36:37], exec
	s_and_b64 s[36:37], s[38:39], exec
	s_or_b64 s[36:37], vcc, s[36:37]
	s_andn2_b64 exec, exec, s[34:35]
	s_cbranch_execz .LBB4_6786
.LBB4_6782:                             ;   Parent Loop BB4_47 Depth=1
                                        ;     Parent Loop BB4_6678 Depth=2
                                        ; =>    This Inner Loop Header: Depth=3
	s_add_i32 s44, s44, 1
	s_cmpk_lg_i32 s44, 0x2710
	s_cselect_b64 s[48:49], -1, 0
	s_and_b64 vcc, exec, s[48:49]
	s_cbranch_vccz .LBB4_6784
; %bb.6783:                             ;   in Loop: Header=BB4_6782 Depth=3
	s_mov_b64 vcc, -1
	s_or_b64 s[38:39], s[38:39], exec
	s_and_saveexec_b64 s[50:51], s[48:49]
	s_cbranch_execz .LBB4_6781
	s_branch .LBB4_6785
.LBB4_6784:                             ;   in Loop: Header=BB4_6782 Depth=3
	s_trap 2
	ds_read_b64 v[1:2], v0
	s_andn2_b64 s[48:49], s[48:49], exec
	s_mov_b32 s44, 0
	s_waitcnt lgkmcnt(0)
	flat_load_dword v1, v[1:2] glc
	s_waitcnt vmcnt(0) lgkmcnt(0)
	buffer_wbinvl1_vol
	v_cmp_eq_u32_e32 vcc, 0, v1
	s_and_b64 vcc, vcc, exec
	s_or_b64 s[48:49], s[48:49], vcc
	s_mov_b64 vcc, -1
	s_or_b64 s[38:39], s[38:39], exec
	s_and_saveexec_b64 s[50:51], s[48:49]
	s_cbranch_execz .LBB4_6781
.LBB4_6785:                             ;   in Loop: Header=BB4_6782 Depth=3
	s_sleep 1
	s_trap 2
	ds_read_b64 v[1:2], v0
	s_waitcnt lgkmcnt(0)
	s_andn2_b64 s[38:39], s[38:39], exec
	v_cmp_ge_u64_e32 vcc, v[1:2], v[38:39]
	s_orn2_b64 vcc, vcc, exec
	s_branch .LBB4_6781
.LBB4_6786:                             ;   in Loop: Header=BB4_6678 Depth=2
	s_or_b64 exec, exec, s[34:35]
	s_and_saveexec_b64 s[44:45], s[36:37]
	s_xor_b64 s[44:45], exec, s[44:45]
	s_cbranch_execz .LBB4_6788
; %bb.6787:                             ;   in Loop: Header=BB4_6678 Depth=2
	v_mov_b32_e32 v1, 1
	ds_write_b32 v0, v1
	s_trap 2
.LBB4_6788:                             ;   in Loop: Header=BB4_6678 Depth=2
	s_or_b64 exec, exec, s[30:31]
	;;#ASMSTART
	s_wakeup
	;;#ASMEND
.LBB4_6789:                             ;   in Loop: Header=BB4_6678 Depth=2
	s_or_b64 exec, exec, s[94:95]
.LBB4_6790:                             ;   in Loop: Header=BB4_6678 Depth=2
	s_andn2_saveexec_b64 s[92:93], s[92:93]
	s_cbranch_execz .LBB4_6792
; %bb.6791:                             ;   in Loop: Header=BB4_6678 Depth=2
	s_waitcnt vmcnt(0) lgkmcnt(0)
	buffer_wbinvl1_vol
	s_barrier
.LBB4_6792:                             ;   in Loop: Header=BB4_6678 Depth=2
	s_or_b64 exec, exec, s[92:93]
	s_or_b64 exec, exec, s[90:91]
	s_and_saveexec_b64 s[44:45], s[24:25]
	s_xor_b64 s[90:91], exec, s[44:45]
	s_cbranch_execnz .LBB4_6750
.LBB4_6793:                             ;   in Loop: Header=BB4_6678 Depth=2
	s_andn2_saveexec_b64 s[26:27], s[90:91]
	s_cbranch_execz .LBB4_6812
.LBB4_6794:                             ;   in Loop: Header=BB4_6678 Depth=2
	s_and_saveexec_b64 s[44:45], s[58:59]
	s_xor_b64 s[90:91], exec, s[44:45]
	s_cbranch_execz .LBB4_6809
; %bb.6795:                             ;   in Loop: Header=BB4_6678 Depth=2
	s_and_saveexec_b64 s[92:93], s[16:17]
	s_cbranch_execz .LBB4_6808
; %bb.6796:                             ;   in Loop: Header=BB4_6678 Depth=2
	s_mov_b64 s[30:31], exec
	v_mbcnt_lo_u32_b32 v1, s30, 0
	v_mbcnt_hi_u32_b32 v1, s31, v1
	v_cmp_eq_u32_e32 vcc, 0, v1
	;;#ASMSTART
	s_waitcnt lgkmcnt(0) vmcnt(0)
	;;#ASMEND
	s_and_saveexec_b64 s[94:95], vcc
	s_cbranch_execz .LBB4_6798
; %bb.6797:                             ;   in Loop: Header=BB4_6678 Depth=2
	s_bcnt1_i32_b64 s44, s[30:31]
	v_mov_b32_e32 v2, s44
	s_waitcnt lgkmcnt(0)
	ds_add_u64 v0, v[2:3]
	s_trap 2
.LBB4_6798:                             ;   in Loop: Header=BB4_6678 Depth=2
	s_or_b64 exec, exec, s[94:95]
	s_trap 2
	ds_read_b64 v[1:2], v0
	s_waitcnt lgkmcnt(0)
	v_add_co_u32_e32 v38, vcc, v38, v29
	v_addc_co_u32_e32 v39, vcc, 0, v39, vcc
	v_cmp_lt_u64_e32 vcc, v[1:2], v[38:39]
	s_and_saveexec_b64 s[94:95], vcc
	s_cbranch_execz .LBB4_6807
; %bb.6799:                             ;   in Loop: Header=BB4_6678 Depth=2
	s_mov_b32 s44, 0
	s_mov_b64 s[30:31], 0
                                        ; implicit-def: $sgpr34_sgpr35
                                        ; implicit-def: $sgpr36_sgpr37
	s_branch .LBB4_6801
.LBB4_6800:                             ;   in Loop: Header=BB4_6801 Depth=3
	s_or_b64 exec, exec, s[48:49]
	s_and_b64 vcc, exec, vcc
	s_or_b64 s[30:31], vcc, s[30:31]
	s_andn2_b64 vcc, s[34:35], exec
	s_and_b64 s[34:35], s[36:37], exec
	s_or_b64 s[34:35], vcc, s[34:35]
	s_andn2_b64 exec, exec, s[30:31]
	s_cbranch_execz .LBB4_6805
.LBB4_6801:                             ;   Parent Loop BB4_47 Depth=1
                                        ;     Parent Loop BB4_6678 Depth=2
                                        ; =>    This Inner Loop Header: Depth=3
	s_add_i32 s44, s44, 1
	s_cmpk_lg_i32 s44, 0x2710
	s_cselect_b64 s[38:39], -1, 0
	s_and_b64 vcc, exec, s[38:39]
	s_cbranch_vccz .LBB4_6803
; %bb.6802:                             ;   in Loop: Header=BB4_6801 Depth=3
	s_mov_b64 vcc, -1
	s_or_b64 s[36:37], s[36:37], exec
	s_and_saveexec_b64 s[48:49], s[38:39]
	s_cbranch_execz .LBB4_6800
	s_branch .LBB4_6804
.LBB4_6803:                             ;   in Loop: Header=BB4_6801 Depth=3
	s_trap 2
	ds_read_b64 v[1:2], v0
	s_andn2_b64 s[38:39], s[38:39], exec
	s_mov_b32 s44, 0
	s_waitcnt vmcnt(0) lgkmcnt(0)
	flat_load_dword v1, v[1:2] glc
	s_waitcnt vmcnt(0) lgkmcnt(0)
	buffer_wbinvl1_vol
	v_cmp_eq_u32_e32 vcc, 0, v1
	s_and_b64 vcc, vcc, exec
	s_or_b64 s[38:39], s[38:39], vcc
	s_mov_b64 vcc, -1
	s_or_b64 s[36:37], s[36:37], exec
	s_and_saveexec_b64 s[48:49], s[38:39]
	s_cbranch_execz .LBB4_6800
.LBB4_6804:                             ;   in Loop: Header=BB4_6801 Depth=3
	s_sleep 1
	s_trap 2
	ds_read_b64 v[1:2], v0
	s_waitcnt lgkmcnt(0)
	s_andn2_b64 s[36:37], s[36:37], exec
	v_cmp_ge_u64_e32 vcc, v[1:2], v[38:39]
	s_orn2_b64 vcc, vcc, exec
	s_branch .LBB4_6800
.LBB4_6805:                             ;   in Loop: Header=BB4_6678 Depth=2
	s_or_b64 exec, exec, s[30:31]
	s_and_saveexec_b64 s[44:45], s[34:35]
	s_xor_b64 s[44:45], exec, s[44:45]
	s_cbranch_execz .LBB4_6807
; %bb.6806:                             ;   in Loop: Header=BB4_6678 Depth=2
	v_mov_b32_e32 v1, 1
	ds_write_b32 v0, v1
	s_trap 2
.LBB4_6807:                             ;   in Loop: Header=BB4_6678 Depth=2
	s_or_b64 exec, exec, s[94:95]
	;;#ASMSTART
	s_wakeup
	;;#ASMEND
.LBB4_6808:                             ;   in Loop: Header=BB4_6678 Depth=2
	s_or_b64 exec, exec, s[92:93]
.LBB4_6809:                             ;   in Loop: Header=BB4_6678 Depth=2
	s_andn2_saveexec_b64 s[90:91], s[90:91]
	s_cbranch_execz .LBB4_6811
; %bb.6810:                             ;   in Loop: Header=BB4_6678 Depth=2
	;;#ASMSTART
	s_waitcnt lgkmcnt(0) vmcnt(0)
	;;#ASMEND
	s_waitcnt vmcnt(0) lgkmcnt(0)
	s_barrier
.LBB4_6811:                             ;   in Loop: Header=BB4_6678 Depth=2
	s_or_b64 exec, exec, s[90:91]
.LBB4_6812:                             ;   in Loop: Header=BB4_6678 Depth=2
	s_or_b64 exec, exec, s[26:27]
	v_and_b32_e32 v1, 32, v4
	v_cmp_ne_u32_e32 vcc, 0, v1
	s_and_saveexec_b64 s[26:27], vcc
	s_cbranch_execz .LBB4_6677
; %bb.6813:                             ;   in Loop: Header=BB4_6678 Depth=2
	buffer_load_dword v1, off, s[0:3], s33 offset:56 ; 4-byte Folded Reload
	buffer_load_dword v2, off, s[0:3], s33 offset:60 ; 4-byte Folded Reload
	s_waitcnt vmcnt(0)
	v_add_co_u32_e32 v1, vcc, 2, v1
	v_addc_co_u32_e32 v2, vcc, 0, v2, vcc
	buffer_store_dword v1, off, s[0:3], s33 offset:56 ; 4-byte Folded Spill
	s_nop 0
	buffer_store_dword v2, off, s[0:3], s33 offset:60 ; 4-byte Folded Spill
	flat_store_dwordx2 v[32:33], v[1:2]
	s_branch .LBB4_6677
.LBB4_6814:                             ;   in Loop: Header=BB4_47 Depth=1
	s_or_b64 exec, exec, s[40:41]
.LBB4_6815:                             ;   in Loop: Header=BB4_47 Depth=1
	s_or_b64 exec, exec, s[28:29]
	v_cmp_gt_i32_e32 vcc, 2, v2
	s_and_saveexec_b64 s[28:29], vcc
	s_cbranch_execnz .LBB4_6816
; %bb.6928:                             ;   in Loop: Header=BB4_47 Depth=1
	s_getpc_b64 s[98:99]
.Lpost_getpc8:
	s_add_u32 s98, s98, (.LBB4_46-.Lpost_getpc8)&4294967295
	s_addc_u32 s99, s99, (.LBB4_46-.Lpost_getpc8)>>32
	s_setpc_b64 s[98:99]
.LBB4_6816:                             ;   in Loop: Header=BB4_47 Depth=1
	v_cmp_eq_u32_e64 s[42:43], 0, v2
	s_mov_b64 s[40:41], 0
	s_branch .LBB4_6818
.LBB4_6817:                             ;   in Loop: Header=BB4_6818 Depth=2
	s_or_b64 exec, exec, s[26:27]
	v_add_u32_e32 v7, v6, v7
	s_mov_b64 s[42:43], 0
	s_andn2_b64 exec, exec, s[40:41]
	s_cbranch_execnz .LBB4_6818
; %bb.6930:                             ;   in Loop: Header=BB4_47 Depth=1
	s_getpc_b64 s[98:99]
.Lpost_getpc9:
	s_add_u32 s98, s98, (.LBB4_45-.Lpost_getpc9)&4294967295
	s_addc_u32 s99, s99, (.LBB4_45-.Lpost_getpc9)>>32
	s_setpc_b64 s[98:99]
.LBB4_6818:                             ;   Parent Loop BB4_47 Depth=1
                                        ; =>  This Loop Header: Depth=2
                                        ;       Child Loop BB4_6824 Depth 3
                                        ;       Child Loop BB4_6848 Depth 3
	;; [unrolled: 1-line block ×3, first 2 shown]
	v_and_b32_e32 v1, 4, v4
	v_cmp_ne_u32_e32 vcc, 0, v1
	s_and_saveexec_b64 s[90:91], vcc
	s_cbranch_execz .LBB4_6840
; %bb.6819:                             ;   in Loop: Header=BB4_6818 Depth=2
	buffer_load_dword v1, off, s[0:3], s33 offset:56 ; 4-byte Folded Reload
	buffer_load_dword v2, off, s[0:3], s33 offset:60 ; 4-byte Folded Reload
	s_waitcnt vmcnt(0)
	v_add_co_u32_e32 v8, vcc, 2, v1
	v_addc_co_u32_e32 v9, vcc, 0, v2, vcc
	s_waitcnt lgkmcnt(0)
	v_cmp_lt_u64_e32 vcc, v[48:49], v[8:9]
	s_and_saveexec_b64 s[92:93], vcc
	s_cbranch_execz .LBB4_6831
; %bb.6820:                             ;   in Loop: Header=BB4_6818 Depth=2
	v_and_b32_e32 v1, 64, v4
	s_mov_b32 s44, 0
	v_cmp_eq_u32_e32 vcc, 0, v1
	s_mov_b64 s[94:95], 0
                                        ; implicit-def: $sgpr30_sgpr31
                                        ; implicit-def: $sgpr34_sgpr35
                                        ; implicit-def: $sgpr36_sgpr37
	s_branch .LBB4_6824
.LBB4_6821:                             ;   in Loop: Header=BB4_6824 Depth=3
	s_waitcnt vmcnt(0) lgkmcnt(0)
	v_cmp_ge_u64_e64 s[26:27], v[48:49], v[8:9]
	s_or_b64 s[50:51], s[50:51], exec
	s_orn2_b64 s[48:49], s[26:27], exec
.LBB4_6822:                             ;   in Loop: Header=BB4_6824 Depth=3
	s_or_b64 exec, exec, s[54:55]
	s_andn2_b64 s[26:27], s[36:37], exec
	s_and_b64 s[46:47], s[50:51], exec
	s_or_b64 s[36:37], s[26:27], s[46:47]
	s_andn2_b64 s[26:27], s[34:35], exec
	s_and_b64 s[46:47], s[48:49], exec
	s_or_b64 s[34:35], s[26:27], s[46:47]
.LBB4_6823:                             ;   in Loop: Header=BB4_6824 Depth=3
	s_or_b64 exec, exec, s[38:39]
	s_and_b64 s[26:27], exec, s[34:35]
	s_or_b64 s[94:95], s[26:27], s[94:95]
	s_andn2_b64 s[26:27], s[30:31], exec
	s_and_b64 s[46:47], s[36:37], exec
	s_or_b64 s[30:31], s[26:27], s[46:47]
	s_andn2_b64 exec, exec, s[94:95]
	s_cbranch_execz .LBB4_6828
.LBB4_6824:                             ;   Parent Loop BB4_47 Depth=1
                                        ;     Parent Loop BB4_6818 Depth=2
                                        ; =>    This Inner Loop Header: Depth=3
	s_sleep 1
	s_waitcnt vmcnt(0) lgkmcnt(0)
	flat_load_dwordx2 v[48:49], v[32:33] glc
	s_or_b64 s[36:37], s[36:37], exec
	s_or_b64 s[34:35], s[34:35], exec
                                        ; implicit-def: $vgpr2
	s_and_saveexec_b64 s[38:39], vcc
	s_cbranch_execz .LBB4_6823
; %bb.6825:                             ;   in Loop: Header=BB4_6824 Depth=3
	s_cmpk_lt_i32 s44, 0x270f
	s_cselect_b64 s[52:53], -1, 0
	s_cmpk_gt_i32 s44, 0x270e
	s_mov_b64 s[48:49], -1
	s_cbranch_scc0 .LBB4_6827
; %bb.6826:                             ;   in Loop: Header=BB4_6824 Depth=3
	s_trap 2
	ds_read_b64 v[1:2], v0
	s_andn2_b64 s[46:47], s[52:53], exec
	s_mov_b32 s44, 0
	s_mov_b64 s[50:51], 0
	s_waitcnt vmcnt(0) lgkmcnt(0)
	flat_load_dword v2, v[1:2] glc
	s_waitcnt vmcnt(0) lgkmcnt(0)
	buffer_wbinvl1_vol
	v_cmp_eq_u32_e64 s[26:27], 0, v2
	s_and_b64 s[26:27], s[26:27], exec
	s_or_b64 s[52:53], s[46:47], s[26:27]
	s_and_saveexec_b64 s[54:55], s[52:53]
	s_cbranch_execz .LBB4_6822
	s_branch .LBB4_6821
.LBB4_6827:                             ;   in Loop: Header=BB4_6824 Depth=3
	s_add_i32 s44, s44, 1
	s_mov_b64 s[50:51], -1
                                        ; implicit-def: $vgpr2
	s_and_saveexec_b64 s[54:55], s[52:53]
	s_cbranch_execz .LBB4_6822
	s_branch .LBB4_6821
.LBB4_6828:                             ;   in Loop: Header=BB4_6818 Depth=2
	s_or_b64 exec, exec, s[94:95]
	s_xor_b64 s[26:27], s[30:31], -1
	s_and_saveexec_b64 s[44:45], s[26:27]
	s_xor_b64 s[26:27], exec, s[44:45]
	s_cbranch_execz .LBB4_6830
; %bb.6829:                             ;   in Loop: Header=BB4_6818 Depth=2
	v_or_b32_e32 v4, 64, v4
	s_waitcnt lgkmcnt(0)
	ds_write_b32 v0, v2
	s_trap 2
.LBB4_6830:                             ;   in Loop: Header=BB4_6818 Depth=2
	s_or_b64 exec, exec, s[26:27]
.LBB4_6831:                             ;   in Loop: Header=BB4_6818 Depth=2
	s_or_b64 exec, exec, s[92:93]
	v_and_b32_e32 v1, 0x100, v4
	;;#ASMSTART
	s_wakeup
	;;#ASMEND
	v_cmp_ne_u32_e32 vcc, 0, v1
	buffer_load_dword v1, off, s[0:3], s33 offset:56 ; 4-byte Folded Reload
	buffer_load_dword v2, off, s[0:3], s33 offset:60 ; 4-byte Folded Reload
	s_mov_b64 s[26:27], -1
                                        ; implicit-def: $vgpr10_vgpr11
	s_waitcnt vmcnt(0)
	v_and_b32_e32 v1, 7, v1
	s_and_saveexec_b64 s[92:93], vcc
	s_cbranch_execz .LBB4_6835
; %bb.6832:                             ;   in Loop: Header=BB4_6818 Depth=2
	buffer_load_dword v10, off, s[0:3], s33 offset:84 ; 4-byte Folded Reload
	buffer_load_dword v11, off, s[0:3], s33 offset:88 ; 4-byte Folded Reload
	buffer_load_dword v12, off, s[0:3], s33 offset:92 ; 4-byte Folded Reload
	buffer_load_dword v13, off, s[0:3], s33 offset:96 ; 4-byte Folded Reload
	s_waitcnt vmcnt(0)
	v_mad_u64_u32 v[12:13], s[26:27], v1, 24, v[10:11]
                                        ; implicit-def: $vgpr10_vgpr11
	flat_load_dword v2, v[12:13]
	s_waitcnt vmcnt(0) lgkmcnt(0)
	v_cmp_ne_u32_e32 vcc, 1, v2
	v_cmp_eq_u32_e64 s[26:27], 1, v2
	s_and_saveexec_b64 s[94:95], s[26:27]
	s_cbranch_execz .LBB4_6834
; %bb.6833:                             ;   in Loop: Header=BB4_6818 Depth=2
	flat_load_dword v10, v[12:13] offset:4 glc
	s_waitcnt vmcnt(0) lgkmcnt(0)
	v_ashrrev_i32_e32 v11, 31, v10
.LBB4_6834:                             ;   in Loop: Header=BB4_6818 Depth=2
	s_or_b64 exec, exec, s[94:95]
	s_orn2_b64 s[26:27], vcc, exec
.LBB4_6835:                             ;   in Loop: Header=BB4_6818 Depth=2
	s_or_b64 exec, exec, s[92:93]
	s_and_saveexec_b64 s[92:93], s[26:27]
	s_cbranch_execz .LBB4_6837
; %bb.6836:                             ;   in Loop: Header=BB4_6818 Depth=2
	buffer_load_dword v2, off, s[0:3], s33 offset:116 ; 4-byte Folded Reload
	s_waitcnt vmcnt(0)
	v_mad_i64_i32 v[10:11], s[26:27], v1, v2, 0
.LBB4_6837:                             ;   in Loop: Header=BB4_6818 Depth=2
	s_or_b64 exec, exec, s[92:93]
	buffer_load_dword v1, off, s[0:3], s33 offset:76 ; 4-byte Folded Reload
	buffer_load_dword v2, off, s[0:3], s33 offset:80 ; 4-byte Folded Reload
	s_waitcnt vmcnt(0)
	v_add_co_u32_e32 v1, vcc, v1, v10
	v_addc_co_u32_e32 v2, vcc, v2, v11, vcc
	ds_write_b64 v0, v[1:2] offset:720
	v_and_b32_e32 v1, 0x2000, v4
	v_cmp_ne_u32_e32 vcc, 0, v1
	s_and_saveexec_b64 s[26:27], vcc
	s_cbranch_execz .LBB4_6839
; %bb.6838:                             ;   in Loop: Header=BB4_6818 Depth=2
	ds_read_b64 v[1:2], v0 offset:872
	s_waitcnt lgkmcnt(0)
	v_add_co_u32_e32 v1, vcc, 1, v1
	v_addc_co_u32_e32 v2, vcc, 0, v2, vcc
	ds_write_b64 v0, v[1:2] offset:872
.LBB4_6839:                             ;   in Loop: Header=BB4_6818 Depth=2
	s_or_b64 exec, exec, s[26:27]
	buffer_store_dword v8, off, s[0:3], s33 offset:56 ; 4-byte Folded Spill
	s_nop 0
	buffer_store_dword v9, off, s[0:3], s33 offset:60 ; 4-byte Folded Spill
.LBB4_6840:                             ;   in Loop: Header=BB4_6818 Depth=2
	s_or_b64 exec, exec, s[90:91]
	s_xor_b64 s[26:27], s[42:43], -1
	s_and_b64 s[26:27], exec, s[26:27]
	s_or_b64 s[40:41], s[26:27], s[40:41]
	s_and_saveexec_b64 s[26:27], s[10:11]
	s_cbranch_execz .LBB4_6859
; %bb.6841:                             ;   in Loop: Header=BB4_6818 Depth=2
	s_and_saveexec_b64 s[42:43], s[58:59]
	s_xor_b64 s[42:43], exec, s[42:43]
	s_cbranch_execz .LBB4_6856
; %bb.6842:                             ;   in Loop: Header=BB4_6818 Depth=2
	s_and_saveexec_b64 s[90:91], s[16:17]
	s_cbranch_execz .LBB4_6855
; %bb.6843:                             ;   in Loop: Header=BB4_6818 Depth=2
	s_mov_b64 s[94:95], exec
	v_mbcnt_lo_u32_b32 v1, s94, 0
	v_mbcnt_hi_u32_b32 v1, s95, v1
	v_cmp_eq_u32_e32 vcc, 0, v1
	s_waitcnt vmcnt(0) lgkmcnt(0)
	buffer_wbinvl1_vol
	s_and_saveexec_b64 s[92:93], vcc
	s_cbranch_execz .LBB4_6845
; %bb.6844:                             ;   in Loop: Header=BB4_6818 Depth=2
	s_bcnt1_i32_b64 s44, s[94:95]
	v_mov_b32_e32 v2, s44
	ds_add_u64 v0, v[2:3]
	s_trap 2
.LBB4_6845:                             ;   in Loop: Header=BB4_6818 Depth=2
	s_or_b64 exec, exec, s[92:93]
	s_trap 2
	ds_read_b64 v[1:2], v0
	s_waitcnt lgkmcnt(0)
	v_add_co_u32_e32 v38, vcc, v38, v29
	v_addc_co_u32_e32 v39, vcc, 0, v39, vcc
	v_cmp_lt_u64_e32 vcc, v[1:2], v[38:39]
	s_and_saveexec_b64 s[92:93], vcc
	s_cbranch_execz .LBB4_6854
; %bb.6846:                             ;   in Loop: Header=BB4_6818 Depth=2
	s_mov_b32 s44, 0
	s_mov_b64 s[94:95], 0
                                        ; implicit-def: $sgpr30_sgpr31
                                        ; implicit-def: $sgpr34_sgpr35
	s_branch .LBB4_6848
.LBB4_6847:                             ;   in Loop: Header=BB4_6848 Depth=3
	s_or_b64 exec, exec, s[38:39]
	s_and_b64 s[46:47], exec, vcc
	s_or_b64 s[94:95], s[46:47], s[94:95]
	s_andn2_b64 s[46:47], s[30:31], exec
	s_and_b64 vcc, s[34:35], exec
	s_or_b64 s[30:31], s[46:47], vcc
	s_andn2_b64 exec, exec, s[94:95]
	s_cbranch_execz .LBB4_6852
.LBB4_6848:                             ;   Parent Loop BB4_47 Depth=1
                                        ;     Parent Loop BB4_6818 Depth=2
                                        ; =>    This Inner Loop Header: Depth=3
	s_add_i32 s44, s44, 1
	s_cmpk_lg_i32 s44, 0x2710
	s_cselect_b64 s[36:37], -1, 0
	s_and_b64 vcc, exec, s[36:37]
	s_cbranch_vccz .LBB4_6850
; %bb.6849:                             ;   in Loop: Header=BB4_6848 Depth=3
	s_mov_b64 vcc, -1
	s_or_b64 s[34:35], s[34:35], exec
	s_and_saveexec_b64 s[38:39], s[36:37]
	s_cbranch_execz .LBB4_6847
	s_branch .LBB4_6851
.LBB4_6850:                             ;   in Loop: Header=BB4_6848 Depth=3
	s_trap 2
	ds_read_b64 v[1:2], v0
	s_andn2_b64 s[46:47], s[36:37], exec
	s_mov_b32 s44, 0
	s_waitcnt lgkmcnt(0)
	flat_load_dword v1, v[1:2] glc
	s_waitcnt vmcnt(0) lgkmcnt(0)
	buffer_wbinvl1_vol
	v_cmp_eq_u32_e32 vcc, 0, v1
	s_and_b64 vcc, vcc, exec
	s_or_b64 s[36:37], s[46:47], vcc
	s_mov_b64 vcc, -1
	s_or_b64 s[34:35], s[34:35], exec
	s_and_saveexec_b64 s[38:39], s[36:37]
	s_cbranch_execz .LBB4_6847
.LBB4_6851:                             ;   in Loop: Header=BB4_6848 Depth=3
	s_sleep 1
	s_trap 2
	ds_read_b64 v[1:2], v0
	s_waitcnt lgkmcnt(0)
	s_andn2_b64 s[34:35], s[34:35], exec
	v_cmp_ge_u64_e32 vcc, v[1:2], v[38:39]
	s_orn2_b64 vcc, vcc, exec
	s_branch .LBB4_6847
.LBB4_6852:                             ;   in Loop: Header=BB4_6818 Depth=2
	s_or_b64 exec, exec, s[94:95]
	s_and_saveexec_b64 s[44:45], s[30:31]
	s_xor_b64 s[44:45], exec, s[44:45]
	s_cbranch_execz .LBB4_6854
; %bb.6853:                             ;   in Loop: Header=BB4_6818 Depth=2
	v_mov_b32_e32 v1, 1
	ds_write_b32 v0, v1
	s_trap 2
.LBB4_6854:                             ;   in Loop: Header=BB4_6818 Depth=2
	s_or_b64 exec, exec, s[92:93]
	;;#ASMSTART
	s_wakeup
	;;#ASMEND
.LBB4_6855:                             ;   in Loop: Header=BB4_6818 Depth=2
	s_or_b64 exec, exec, s[90:91]
.LBB4_6856:                             ;   in Loop: Header=BB4_6818 Depth=2
	s_andn2_saveexec_b64 s[42:43], s[42:43]
	s_cbranch_execz .LBB4_6858
; %bb.6857:                             ;   in Loop: Header=BB4_6818 Depth=2
	s_waitcnt vmcnt(0) lgkmcnt(0)
	buffer_wbinvl1_vol
	s_barrier
.LBB4_6858:                             ;   in Loop: Header=BB4_6818 Depth=2
	s_or_b64 exec, exec, s[42:43]
.LBB4_6859:                             ;   in Loop: Header=BB4_6818 Depth=2
	s_or_b64 exec, exec, s[26:27]
	v_sub_u32_e32 v1, v5, v7
	v_min_i32_e32 v6, v6, v1
	s_and_saveexec_b64 s[26:27], s[24:25]
	s_xor_b64 s[26:27], exec, s[26:27]
	s_cbranch_execz .LBB4_6863
; %bb.6860:                             ;   in Loop: Header=BB4_6818 Depth=2
	s_trap 2
	ds_read_b32 v1, v0
	v_cmp_lt_i32_e32 vcc, 0, v6
	s_waitcnt lgkmcnt(0)
	v_readfirstlane_b32 s42, v1
	s_cmp_eq_u32 s42, 0
	s_cselect_b64 s[42:43], -1, 0
	v_and_b32_e32 v1, 16, v4
	s_and_b64 s[42:43], vcc, s[42:43]
	v_cmp_ne_u32_e32 vcc, 0, v1
	s_and_b64 s[44:45], vcc, s[42:43]
	s_and_saveexec_b64 s[42:43], s[44:45]
	s_cbranch_execz .LBB4_6862
; %bb.6861:                             ;   in Loop: Header=BB4_6818 Depth=2
	s_waitcnt vmcnt(0)
	buffer_wbinvl1_vol
.LBB4_6862:                             ;   in Loop: Header=BB4_6818 Depth=2
	s_or_b64 exec, exec, s[42:43]
.LBB4_6863:                             ;   in Loop: Header=BB4_6818 Depth=2
	s_andn2_saveexec_b64 s[26:27], s[26:27]
	s_cbranch_execz .LBB4_6882
; %bb.6864:                             ;   in Loop: Header=BB4_6818 Depth=2
	s_and_saveexec_b64 s[42:43], s[58:59]
	s_xor_b64 s[42:43], exec, s[42:43]
	s_cbranch_execz .LBB4_6879
; %bb.6865:                             ;   in Loop: Header=BB4_6818 Depth=2
	s_and_saveexec_b64 s[90:91], s[16:17]
	s_cbranch_execz .LBB4_6878
; %bb.6866:                             ;   in Loop: Header=BB4_6818 Depth=2
	s_mov_b64 s[94:95], exec
	v_mbcnt_lo_u32_b32 v1, s94, 0
	v_mbcnt_hi_u32_b32 v1, s95, v1
	v_cmp_eq_u32_e32 vcc, 0, v1
	;;#ASMSTART
	s_waitcnt lgkmcnt(0) vmcnt(0)
	;;#ASMEND
	s_and_saveexec_b64 s[92:93], vcc
	s_cbranch_execz .LBB4_6868
; %bb.6867:                             ;   in Loop: Header=BB4_6818 Depth=2
	s_bcnt1_i32_b64 s44, s[94:95]
	v_mov_b32_e32 v2, s44
	s_waitcnt lgkmcnt(0)
	ds_add_u64 v0, v[2:3]
	s_trap 2
.LBB4_6868:                             ;   in Loop: Header=BB4_6818 Depth=2
	s_or_b64 exec, exec, s[92:93]
	s_trap 2
	ds_read_b64 v[1:2], v0
	s_waitcnt lgkmcnt(0)
	v_add_co_u32_e32 v38, vcc, v38, v29
	v_addc_co_u32_e32 v39, vcc, 0, v39, vcc
	v_cmp_lt_u64_e32 vcc, v[1:2], v[38:39]
	s_and_saveexec_b64 s[92:93], vcc
	s_cbranch_execz .LBB4_6877
; %bb.6869:                             ;   in Loop: Header=BB4_6818 Depth=2
	s_mov_b32 s44, 0
	s_mov_b64 s[94:95], 0
                                        ; implicit-def: $sgpr30_sgpr31
                                        ; implicit-def: $sgpr34_sgpr35
	s_branch .LBB4_6871
.LBB4_6870:                             ;   in Loop: Header=BB4_6871 Depth=3
	s_or_b64 exec, exec, s[38:39]
	s_and_b64 s[46:47], exec, vcc
	s_or_b64 s[94:95], s[46:47], s[94:95]
	s_andn2_b64 s[46:47], s[30:31], exec
	s_and_b64 vcc, s[34:35], exec
	s_or_b64 s[30:31], s[46:47], vcc
	s_andn2_b64 exec, exec, s[94:95]
	s_cbranch_execz .LBB4_6875
.LBB4_6871:                             ;   Parent Loop BB4_47 Depth=1
                                        ;     Parent Loop BB4_6818 Depth=2
                                        ; =>    This Inner Loop Header: Depth=3
	s_add_i32 s44, s44, 1
	s_cmpk_lg_i32 s44, 0x2710
	s_cselect_b64 s[36:37], -1, 0
	s_and_b64 vcc, exec, s[36:37]
	s_cbranch_vccz .LBB4_6873
; %bb.6872:                             ;   in Loop: Header=BB4_6871 Depth=3
	s_mov_b64 vcc, -1
	s_or_b64 s[34:35], s[34:35], exec
	s_and_saveexec_b64 s[38:39], s[36:37]
	s_cbranch_execz .LBB4_6870
	s_branch .LBB4_6874
.LBB4_6873:                             ;   in Loop: Header=BB4_6871 Depth=3
	s_trap 2
	ds_read_b64 v[1:2], v0
	s_andn2_b64 s[46:47], s[36:37], exec
	s_mov_b32 s44, 0
	s_waitcnt vmcnt(0) lgkmcnt(0)
	flat_load_dword v1, v[1:2] glc
	s_waitcnt vmcnt(0) lgkmcnt(0)
	buffer_wbinvl1_vol
	v_cmp_eq_u32_e32 vcc, 0, v1
	s_and_b64 vcc, vcc, exec
	s_or_b64 s[36:37], s[46:47], vcc
	s_mov_b64 vcc, -1
	s_or_b64 s[34:35], s[34:35], exec
	s_and_saveexec_b64 s[38:39], s[36:37]
	s_cbranch_execz .LBB4_6870
.LBB4_6874:                             ;   in Loop: Header=BB4_6871 Depth=3
	s_sleep 1
	s_trap 2
	ds_read_b64 v[1:2], v0
	s_waitcnt lgkmcnt(0)
	s_andn2_b64 s[34:35], s[34:35], exec
	v_cmp_ge_u64_e32 vcc, v[1:2], v[38:39]
	s_orn2_b64 vcc, vcc, exec
	s_branch .LBB4_6870
.LBB4_6875:                             ;   in Loop: Header=BB4_6818 Depth=2
	s_or_b64 exec, exec, s[94:95]
	s_and_saveexec_b64 s[44:45], s[30:31]
	s_xor_b64 s[44:45], exec, s[44:45]
	s_cbranch_execz .LBB4_6877
; %bb.6876:                             ;   in Loop: Header=BB4_6818 Depth=2
	v_mov_b32_e32 v1, 1
	ds_write_b32 v0, v1
	s_trap 2
.LBB4_6877:                             ;   in Loop: Header=BB4_6818 Depth=2
	s_or_b64 exec, exec, s[92:93]
	;;#ASMSTART
	s_wakeup
	;;#ASMEND
.LBB4_6878:                             ;   in Loop: Header=BB4_6818 Depth=2
	s_or_b64 exec, exec, s[90:91]
.LBB4_6879:                             ;   in Loop: Header=BB4_6818 Depth=2
	s_andn2_saveexec_b64 s[42:43], s[42:43]
	s_cbranch_execz .LBB4_6881
; %bb.6880:                             ;   in Loop: Header=BB4_6818 Depth=2
	;;#ASMSTART
	s_waitcnt lgkmcnt(0) vmcnt(0)
	;;#ASMEND
	s_waitcnt vmcnt(0) lgkmcnt(0)
	s_barrier
.LBB4_6881:                             ;   in Loop: Header=BB4_6818 Depth=2
	s_or_b64 exec, exec, s[42:43]
.LBB4_6882:                             ;   in Loop: Header=BB4_6818 Depth=2
	s_or_b64 exec, exec, s[26:27]
	v_and_b32_e32 v1, 32, v4
	v_cmp_ne_u32_e32 vcc, 0, v1
	s_and_saveexec_b64 s[26:27], vcc
	s_cbranch_execz .LBB4_6817
; %bb.6883:                             ;   in Loop: Header=BB4_6818 Depth=2
	buffer_load_dword v1, off, s[0:3], s33 offset:56 ; 4-byte Folded Reload
	buffer_load_dword v2, off, s[0:3], s33 offset:60 ; 4-byte Folded Reload
	s_waitcnt vmcnt(0)
	v_add_co_u32_e32 v1, vcc, 2, v1
	v_addc_co_u32_e32 v2, vcc, 0, v2, vcc
	buffer_store_dword v1, off, s[0:3], s33 offset:56 ; 4-byte Folded Spill
	s_nop 0
	buffer_store_dword v2, off, s[0:3], s33 offset:60 ; 4-byte Folded Spill
	flat_store_dwordx2 v[32:33], v[1:2]
	s_branch .LBB4_6817
.LBB4_6884:
	s_or_b64 exec, exec, s[60:61]
	v_readlane_b32 s28, v62, 2
	v_readlane_b32 s29, v62, 3
.LBB4_6885:
	v_readlane_b32 s4, v62, 0
	v_readlane_b32 s5, v62, 1
	s_or_b64 exec, exec, s[4:5]
	v_and_b32_e32 v0, 0x800, v4
	v_cmp_eq_u32_e32 vcc, 0, v0
	s_and_saveexec_b64 s[6:7], vcc
	s_cbranch_execz .LBB4_6918
; %bb.6886:
	v_and_b32_e32 v0, 48, v4
	v_cmp_ne_u32_e32 vcc, 0, v0
	s_and_saveexec_b64 s[4:5], vcc
	s_cbranch_execz .LBB4_6888
; %bb.6887:
	buffer_load_dword v0, off, s[0:3], s33 offset:312 ; 4-byte Folded Reload
	buffer_load_dword v1, off, s[0:3], s33 offset:316 ; 4-byte Folded Reload
	;; [unrolled: 1-line block ×4, first 2 shown]
	s_waitcnt vmcnt(0)
	flat_store_dwordx2 v[0:1], v[2:3] offset:104
.LBB4_6888:
	s_or_b64 exec, exec, s[4:5]
	s_movk_i32 s4, 0x88
	v_and_b32_e32 v0, 0x88, v4
	v_cmp_eq_u32_e32 vcc, s4, v0
	s_and_saveexec_b64 s[10:11], vcc
	s_cbranch_execz .LBB4_6898
; %bb.6889:
	buffer_load_dword v0, off, s[0:3], s33 offset:56 ; 4-byte Folded Reload
	buffer_load_dword v1, off, s[0:3], s33 offset:60 ; 4-byte Folded Reload
	;; [unrolled: 1-line block ×6, first 2 shown]
	s_mov_b32 s22, 0
	s_waitcnt vmcnt(0)
	v_add_u32_e32 v0, 6, v0
	v_and_b32_e32 v0, 7, v0
	v_mad_u64_u32 v[2:3], s[4:5], v0, 24, v[5:6]
	v_and_b32_e32 v5, 64, v4
	v_cmp_eq_u32_e64 s[4:5], 0, v5
	flat_load_dwordx2 v[0:1], v[2:3] offset:8 glc
	s_waitcnt vmcnt(0) lgkmcnt(0)
	v_cmp_ne_u64_e32 vcc, -1, v[0:1]
	s_and_b64 s[4:5], vcc, s[4:5]
	s_and_b64 exec, exec, s[4:5]
	s_cbranch_execz .LBB4_6898
; %bb.6890:
	s_mov_b64 s[4:5], 0
                                        ; implicit-def: $sgpr12_sgpr13
                                        ; implicit-def: $sgpr14_sgpr15
	s_branch .LBB4_6893
.LBB4_6891:                             ;   in Loop: Header=BB4_6893 Depth=1
	flat_load_dwordx2 v[5:6], v[2:3] offset:8 glc
	s_waitcnt vmcnt(0)
	s_andn2_b64 s[14:15], s[14:15], exec
	s_waitcnt lgkmcnt(0)
	v_cmp_eq_u64_e32 vcc, -1, v[5:6]
	s_orn2_b64 s[18:19], vcc, exec
.LBB4_6892:                             ;   in Loop: Header=BB4_6893 Depth=1
	s_or_b64 exec, exec, s[20:21]
	s_and_b64 s[16:17], exec, s[18:19]
	s_or_b64 s[4:5], s[16:17], s[4:5]
	s_andn2_b64 s[12:13], s[12:13], exec
	s_and_b64 s[16:17], s[14:15], exec
	s_or_b64 s[12:13], s[12:13], s[16:17]
	s_andn2_b64 exec, exec, s[4:5]
	s_cbranch_execz .LBB4_6896
.LBB4_6893:                             ; =>This Inner Loop Header: Depth=1
	s_cmpk_lt_i32 s22, 0x270f
	s_cselect_b64 s[16:17], -1, 0
	s_and_b64 vcc, exec, s[16:17]
	s_cbranch_vccnz .LBB4_6895
; %bb.6894:                             ;   in Loop: Header=BB4_6893 Depth=1
	s_trap 2
	ds_read_b64 v[0:1], v0
	s_andn2_b64 s[16:17], s[16:17], exec
	s_mov_b32 s22, 0
	s_waitcnt lgkmcnt(0)
	flat_load_dword v0, v[0:1] glc
	s_waitcnt vmcnt(0) lgkmcnt(0)
	buffer_wbinvl1_vol
	v_cmp_eq_u32_e32 vcc, 0, v0
	s_and_b64 s[18:19], vcc, exec
	s_or_b64 s[16:17], s[16:17], s[18:19]
	s_mov_b64 s[18:19], -1
	s_or_b64 s[14:15], s[14:15], exec
	s_and_saveexec_b64 s[20:21], s[16:17]
	s_cbranch_execz .LBB4_6892
	s_branch .LBB4_6891
.LBB4_6895:                             ;   in Loop: Header=BB4_6893 Depth=1
	s_add_i32 s22, s22, 1
                                        ; implicit-def: $vgpr0
	s_mov_b64 s[18:19], -1
	s_or_b64 s[14:15], s[14:15], exec
	s_and_saveexec_b64 s[20:21], s[16:17]
	s_cbranch_execz .LBB4_6892
	s_branch .LBB4_6891
.LBB4_6896:
	s_or_b64 exec, exec, s[4:5]
	s_and_saveexec_b64 s[4:5], s[12:13]
	s_xor_b64 s[4:5], exec, s[4:5]
	s_cbranch_execz .LBB4_6898
; %bb.6897:
	ds_write_b32 v0, v0
	s_trap 2
.LBB4_6898:
	s_or_b64 exec, exec, s[10:11]
	v_and_b32_e32 v0, 0x2000, v4
	v_cmp_ne_u32_e32 vcc, 0, v0
	s_and_saveexec_b64 s[4:5], vcc
	s_cbranch_execz .LBB4_6900
; %bb.6899:
	s_trap 2
	ds_read_b64 v[0:1], v0
	buffer_load_dword v2, off, s[0:3], s33 offset:328 ; 4-byte Folded Reload
	buffer_load_dword v3, off, s[0:3], s33 offset:332 ; 4-byte Folded Reload
	s_waitcnt vmcnt(0) lgkmcnt(0)
	flat_store_dwordx2 v[2:3], v[0:1] offset:16
.LBB4_6900:
	s_or_b64 exec, exec, s[4:5]
	buffer_load_dword v0, off, s[0:3], s33 offset:308 ; 4-byte Folded Reload
	s_waitcnt vmcnt(0)
	v_cmp_ne_u32_e32 vcc, 64, v0
	s_and_b64 exec, exec, vcc
	s_cbranch_execz .LBB4_6918
; %bb.6901:
	buffer_load_dword v0, off, s[0:3], s33 offset:308 ; 4-byte Folded Reload
	buffer_load_dword v1, off, s[0:3], s33 offset:324 ; 4-byte Folded Reload
	s_waitcnt vmcnt(0)
	v_cmp_ne_u32_sdwa s[4:5], v0, v1 src0_sel:DWORD src1_sel:WORD_0
	s_and_saveexec_b64 s[10:11], s[4:5]
	s_xor_b64 s[4:5], exec, s[10:11]
	s_cbranch_execz .LBB4_6916
; %bb.6902:
	buffer_load_dword v0, off, s[0:3], s33 offset:320 ; 4-byte Folded Reload
	s_waitcnt vmcnt(0)
	v_and_b32_e32 v0, 63, v0
	v_cmp_eq_u32_e32 vcc, 0, v0
	s_and_saveexec_b64 s[10:11], vcc
	s_cbranch_execz .LBB4_6915
; %bb.6903:
	s_mov_b64 s[14:15], exec
	v_mbcnt_lo_u32_b32 v0, s14, 0
	v_mbcnt_hi_u32_b32 v0, s15, v0
	v_cmp_eq_u32_e32 vcc, 0, v0
	s_waitcnt lgkmcnt(0)
	buffer_wbinvl1_vol
	s_and_saveexec_b64 s[12:13], vcc
	s_cbranch_execz .LBB4_6905
; %bb.6904:
	s_bcnt1_i32_b64 s14, s[14:15]
	v_mov_b32_e32 v0, s14
	v_mov_b32_e32 v1, 0
	ds_add_u64 v0, v[0:1]
	s_trap 2
.LBB4_6905:
	s_or_b64 exec, exec, s[12:13]
	buffer_load_dword v0, off, s[0:3], s33 offset:308 ; 4-byte Folded Reload
	s_trap 2
	s_waitcnt vmcnt(0)
	v_lshrrev_b32_e32 v0, 6, v0
	ds_read_b64 v[2:3], v0
	s_waitcnt lgkmcnt(0)
	v_add_co_u32_e32 v0, vcc, v38, v0
	v_addc_co_u32_e32 v1, vcc, 0, v39, vcc
	v_cmp_lt_u64_e32 vcc, v[2:3], v[0:1]
	s_and_saveexec_b64 s[12:13], vcc
	s_cbranch_execz .LBB4_6914
; %bb.6906:
	s_mov_b32 s26, 0
	s_mov_b64 s[14:15], 0
                                        ; implicit-def: $sgpr16_sgpr17
                                        ; implicit-def: $sgpr18_sgpr19
	s_branch .LBB4_6908
.LBB4_6907:                             ;   in Loop: Header=BB4_6908 Depth=1
	s_or_b64 exec, exec, s[22:23]
	s_and_b64 s[20:21], exec, s[24:25]
	s_or_b64 s[14:15], s[20:21], s[14:15]
	s_andn2_b64 s[16:17], s[16:17], exec
	s_and_b64 s[20:21], s[18:19], exec
	s_or_b64 s[16:17], s[16:17], s[20:21]
	s_andn2_b64 exec, exec, s[14:15]
	s_cbranch_execz .LBB4_6912
.LBB4_6908:                             ; =>This Inner Loop Header: Depth=1
	s_add_i32 s26, s26, 1
	s_cmpk_lg_i32 s26, 0x2710
	s_cselect_b64 s[20:21], -1, 0
	s_and_b64 vcc, exec, s[20:21]
	s_cbranch_vccz .LBB4_6910
; %bb.6909:                             ;   in Loop: Header=BB4_6908 Depth=1
	s_mov_b64 s[24:25], -1
	s_or_b64 s[18:19], s[18:19], exec
	s_and_saveexec_b64 s[22:23], s[20:21]
	s_cbranch_execz .LBB4_6907
	s_branch .LBB4_6911
.LBB4_6910:                             ;   in Loop: Header=BB4_6908 Depth=1
	s_trap 2
	ds_read_b64 v[2:3], v0
	s_andn2_b64 s[20:21], s[20:21], exec
	s_mov_b32 s26, 0
	s_waitcnt lgkmcnt(0)
	flat_load_dword v2, v[2:3] glc
	s_waitcnt vmcnt(0) lgkmcnt(0)
	buffer_wbinvl1_vol
	v_cmp_eq_u32_e32 vcc, 0, v2
	s_and_b64 s[22:23], vcc, exec
	s_or_b64 s[20:21], s[20:21], s[22:23]
	s_mov_b64 s[24:25], -1
	s_or_b64 s[18:19], s[18:19], exec
	s_and_saveexec_b64 s[22:23], s[20:21]
	s_cbranch_execz .LBB4_6907
.LBB4_6911:                             ;   in Loop: Header=BB4_6908 Depth=1
	s_sleep 1
	s_trap 2
	ds_read_b64 v[2:3], v0
	s_waitcnt lgkmcnt(0)
	s_andn2_b64 s[18:19], s[18:19], exec
	v_cmp_ge_u64_e32 vcc, v[2:3], v[0:1]
	s_orn2_b64 s[24:25], vcc, exec
	s_branch .LBB4_6907
.LBB4_6912:
	s_or_b64 exec, exec, s[14:15]
	s_and_saveexec_b64 s[14:15], s[16:17]
	s_xor_b64 s[14:15], exec, s[14:15]
	s_cbranch_execz .LBB4_6914
; %bb.6913:
	v_mov_b32_e32 v0, 1
	ds_write_b32 v0, v0
	s_trap 2
.LBB4_6914:
	s_or_b64 exec, exec, s[12:13]
	;;#ASMSTART
	s_wakeup
	;;#ASMEND
.LBB4_6915:
	s_or_b64 exec, exec, s[10:11]
.LBB4_6916:
	s_andn2_saveexec_b64 s[4:5], s[4:5]
	s_cbranch_execz .LBB4_6918
; %bb.6917:
	s_waitcnt lgkmcnt(0)
	buffer_wbinvl1_vol
	s_barrier
.LBB4_6918:
	s_or_b64 exec, exec, s[6:7]
.LBB4_6919:
	s_andn2_saveexec_b64 s[26:27], s[28:29]
	s_cbranch_execz .LBB4_6921
; %bb.6920:
	s_getpc_b64 s[4:5]
	s_add_u32 s4, s4, __PRETTY_FUNCTION__._ZN10PrimitivesI14__hip_fp8_e4m38FuncProdIS0_E12FanSymmetricILi1EELi0E11ProtoSimpleILi2ELi2ELi0ELi2ELi0ELi0EELi0ELb0ELi0ELi0ELi0EEC2EiiPKiS9_PKvPvmhhhP15ncclDevWorkCollP14ncclDevWorkP2pii@rel32@lo+4
	s_addc_u32 s5, s5, __PRETTY_FUNCTION__._ZN10PrimitivesI14__hip_fp8_e4m38FuncProdIS0_E12FanSymmetricILi1EELi0E11ProtoSimpleILi2ELi2ELi0ELi2ELi0ELi0EELi0ELb0ELi0ELi0ELi0EEC2EiiPKiS9_PKvPvmhhhP15ncclDevWorkCollP14ncclDevWorkP2pii@rel32@hi+12
	s_getpc_b64 s[6:7]
	s_add_u32 s6, s6, __assert_fail@rel32@lo+4
	s_addc_u32 s7, s7, __assert_fail@rel32@hi+12
	v_mov_b32_e32 v0, s4
	v_mov_b32_e32 v1, s5
	s_swappc_b64 s[30:31], s[6:7]
	; divergent unreachable
.LBB4_6921:
	s_or_b64 exec, exec, s[26:27]
	buffer_load_dword v61, off, s[0:3], s33 ; 4-byte Folded Reload
	buffer_load_dword v60, off, s[0:3], s33 offset:4 ; 4-byte Folded Reload
	buffer_load_dword v59, off, s[0:3], s33 offset:8 ; 4-byte Folded Reload
	buffer_load_dword v58, off, s[0:3], s33 offset:12 ; 4-byte Folded Reload
	buffer_load_dword v57, off, s[0:3], s33 offset:16 ; 4-byte Folded Reload
	buffer_load_dword v56, off, s[0:3], s33 offset:20 ; 4-byte Folded Reload
	buffer_load_dword v47, off, s[0:3], s33 offset:24 ; 4-byte Folded Reload
	buffer_load_dword v46, off, s[0:3], s33 offset:28 ; 4-byte Folded Reload
	buffer_load_dword v45, off, s[0:3], s33 offset:32 ; 4-byte Folded Reload
	buffer_load_dword v44, off, s[0:3], s33 offset:36 ; 4-byte Folded Reload
	buffer_load_dword v43, off, s[0:3], s33 offset:40 ; 4-byte Folded Reload
	buffer_load_dword v42, off, s[0:3], s33 offset:44 ; 4-byte Folded Reload
	buffer_load_dword v41, off, s[0:3], s33 offset:48 ; 4-byte Folded Reload
	buffer_load_dword v40, off, s[0:3], s33 offset:52 ; 4-byte Folded Reload
	v_readlane_b32 s30, v63, 32
	v_readlane_b32 s31, v63, 33
	;; [unrolled: 1-line block ×34, first 2 shown]
	s_mov_b32 s32, s33
	v_readlane_b32 s4, v63, 34
	s_or_saveexec_b64 s[6:7], -1
	buffer_load_dword v63, off, s[0:3], s33 offset:336 ; 4-byte Folded Reload
	buffer_load_dword v62, off, s[0:3], s33 offset:340 ; 4-byte Folded Reload
	s_mov_b64 exec, s[6:7]
	s_mov_b32 s33, s4
	s_waitcnt vmcnt(0) lgkmcnt(0)
	s_setpc_b64 s[30:31]
.Lfunc_end4:
	.size	_ZN12_GLOBAL__N_17runRingI14__hip_fp8_e4m38FuncProdIS1_E11ProtoSimpleILi2ELi2ELi0ELi2ELi0ELi0EELi0ELi0ELi2ELi0EEEviiP15ncclDevWorkColl, .Lfunc_end4-_ZN12_GLOBAL__N_17runRingI14__hip_fp8_e4m38FuncProdIS1_E11ProtoSimpleILi2ELi2ELi0ELi2ELi0ELi0EELi0ELi0ELi2ELi0EEEviiP15ncclDevWorkColl
                                        ; -- End function
	.set .L_ZN12_GLOBAL__N_17runRingI14__hip_fp8_e4m38FuncProdIS1_E11ProtoSimpleILi2ELi2ELi0ELi2ELi0ELi0EELi0ELi0ELi2ELi0EEEviiP15ncclDevWorkColl.num_vgpr, max(64, .L__assert_fail.num_vgpr)
	.set .L_ZN12_GLOBAL__N_17runRingI14__hip_fp8_e4m38FuncProdIS1_E11ProtoSimpleILi2ELi2ELi0ELi2ELi0ELi0EELi0ELi0ELi2ELi0EEEviiP15ncclDevWorkColl.num_agpr, max(0, .L__assert_fail.num_agpr)
	.set .L_ZN12_GLOBAL__N_17runRingI14__hip_fp8_e4m38FuncProdIS1_E11ProtoSimpleILi2ELi2ELi0ELi2ELi0ELi0EELi0ELi0ELi2ELi0EEEviiP15ncclDevWorkColl.numbered_sgpr, max(100, .L__assert_fail.numbered_sgpr)
	.set .L_ZN12_GLOBAL__N_17runRingI14__hip_fp8_e4m38FuncProdIS1_E11ProtoSimpleILi2ELi2ELi0ELi2ELi0ELi0EELi0ELi0ELi2ELi0EEEviiP15ncclDevWorkColl.num_named_barrier, max(0, .L__assert_fail.num_named_barrier)
	.set .L_ZN12_GLOBAL__N_17runRingI14__hip_fp8_e4m38FuncProdIS1_E11ProtoSimpleILi2ELi2ELi0ELi2ELi0ELi0EELi0ELi0ELi2ELi0EEEviiP15ncclDevWorkColl.private_seg_size, 352+max(.L__assert_fail.private_seg_size)
	.set .L_ZN12_GLOBAL__N_17runRingI14__hip_fp8_e4m38FuncProdIS1_E11ProtoSimpleILi2ELi2ELi0ELi2ELi0ELi0EELi0ELi0ELi2ELi0EEEviiP15ncclDevWorkColl.uses_vcc, or(1, .L__assert_fail.uses_vcc)
	.set .L_ZN12_GLOBAL__N_17runRingI14__hip_fp8_e4m38FuncProdIS1_E11ProtoSimpleILi2ELi2ELi0ELi2ELi0ELi0EELi0ELi0ELi2ELi0EEEviiP15ncclDevWorkColl.uses_flat_scratch, or(0, .L__assert_fail.uses_flat_scratch)
	.set .L_ZN12_GLOBAL__N_17runRingI14__hip_fp8_e4m38FuncProdIS1_E11ProtoSimpleILi2ELi2ELi0ELi2ELi0ELi0EELi0ELi0ELi2ELi0EEEviiP15ncclDevWorkColl.has_dyn_sized_stack, or(0, .L__assert_fail.has_dyn_sized_stack)
	.set .L_ZN12_GLOBAL__N_17runRingI14__hip_fp8_e4m38FuncProdIS1_E11ProtoSimpleILi2ELi2ELi0ELi2ELi0ELi0EELi0ELi0ELi2ELi0EEEviiP15ncclDevWorkColl.has_recursion, or(1, .L__assert_fail.has_recursion)
	.set .L_ZN12_GLOBAL__N_17runRingI14__hip_fp8_e4m38FuncProdIS1_E11ProtoSimpleILi2ELi2ELi0ELi2ELi0ELi0EELi0ELi0ELi2ELi0EEEviiP15ncclDevWorkColl.has_indirect_call, or(0, .L__assert_fail.has_indirect_call)
	.section	.AMDGPU.csdata,"",@progbits
; Function info:
; codeLenInByte = 204572
; TotalNumSgprs: 104
; NumVgprs: 64
; ScratchSize: 416
; MemoryBound: 1
	.text
	.p2align	2                               ; -- Begin function _Z51ncclDevFunc_AllReduce_RING_SIMPLE_Prod_f8e4m3_0_0_2v
	.type	_Z51ncclDevFunc_AllReduce_RING_SIMPLE_Prod_f8e4m3_0_0_2v,@function
_Z51ncclDevFunc_AllReduce_RING_SIMPLE_Prod_f8e4m3_0_0_2v: ; @_Z51ncclDevFunc_AllReduce_RING_SIMPLE_Prod_f8e4m3_0_0_2v
; %bb.0:
	s_waitcnt vmcnt(0) expcnt(0) lgkmcnt(0)
	s_mov_b32 s4, s33
	s_mov_b32 s33, s32
	s_or_saveexec_b64 s[6:7], -1
	buffer_store_dword v43, off, s[0:3], s33 offset:20 ; 4-byte Folded Spill
	buffer_store_dword v44, off, s[0:3], s33 offset:24 ; 4-byte Folded Spill
	s_mov_b64 exec, s[6:7]
	v_writelane_b32 v44, s4, 38
	v_writelane_b32 v44, s100, 36
	;; [unrolled: 1-line block ×3, first 2 shown]
	s_addk_i32 s32, 0x800
	buffer_store_dword v40, off, s[0:3], s33 offset:12 ; 4-byte Folded Spill
	buffer_store_dword v41, off, s[0:3], s33 offset:8 ; 4-byte Folded Spill
	;; [unrolled: 1-line block ×3, first 2 shown]
	buffer_store_dword v62, off, s[0:3], s33 ; 4-byte Folded Spill
	v_writelane_b32 v44, s34, 0
	v_writelane_b32 v44, s35, 1
	;; [unrolled: 1-line block ×36, first 2 shown]
	s_trap 2
	ds_read_b32 v0, v0
                                        ; implicit-def: $vgpr43 : SGPR spill to VGPR lane
	v_mov_b32_e32 v40, v31
	v_writelane_b32 v43, s12, 0
	v_writelane_b32 v43, s8, 1
	;; [unrolled: 1-line block ×3, first 2 shown]
	s_waitcnt lgkmcnt(0)
	v_cmp_gt_i32_e32 vcc, 1, v0
	s_cbranch_vccnz .LBB5_8
; %bb.1:
	s_mov_b32 s6, 0
	v_and_b32_e32 v41, 0x3ff, v40
	v_mov_b32_e32 v42, 6
	s_branch .LBB5_3
.LBB5_2:                                ;   in Loop: Header=BB5_3 Depth=1
	s_or_b64 exec, exec, s[8:9]
	s_trap 2
	ds_read_b32 v0, v0
	s_add_i32 s6, s6, 1
	s_waitcnt lgkmcnt(0)
	v_cmp_lt_i32_e32 vcc, s6, v0
	s_cbranch_vccz .LBB5_8
.LBB5_3:                                ; =>This Inner Loop Header: Depth=1
	s_trap 2
	ds_read_b32 v0, v0
	s_cmp_eq_u32 s6, 0
	s_cbranch_scc1 .LBB5_6
; %bb.4:                                ;   in Loop: Header=BB5_3 Depth=1
	s_trap 2
	s_waitcnt lgkmcnt(0)
	ds_read_b32 v1, v0
	s_waitcnt lgkmcnt(0)
	v_xor_b32_e32 v1, v1, v0
	v_and_b32_e32 v1, 0xff0000, v1
	v_cmp_eq_u32_e32 vcc, 0, v1
	s_cbranch_vccnz .LBB5_6
; %bb.5:                                ;   in Loop: Header=BB5_3 Depth=1
	s_waitcnt vmcnt(0)
	s_barrier
	ds_read_b32 v0, v0
.LBB5_6:                                ;   in Loop: Header=BB5_3 Depth=1
	s_waitcnt lgkmcnt(0)
	v_lshlrev_b32_sdwa v1, v42, v0 dst_sel:DWORD dst_unused:UNUSED_PAD src0_sel:DWORD src1_sel:BYTE_2
	v_cmp_lt_u32_e32 vcc, v41, v1
	s_and_saveexec_b64 s[8:9], vcc
	s_cbranch_execz .LBB5_2
; %bb.7:                                ;   in Loop: Header=BB5_3 Depth=1
	v_writelane_b32 v43, s6, 3
	v_writelane_b32 v43, s8, 4
	s_mov_b64 s[4:5], src_shared_base
	s_getpc_b64 s[6:7]
	s_add_u32 s6, s6, _ZN12_GLOBAL__N_17runRingI14__hip_fp8_e4m38FuncProdIS1_E11ProtoSimpleILi2ELi2ELi0ELi2ELi0ELi0EELi0ELi0ELi2ELi0EEEviiP15ncclDevWorkColl@rel32@lo+4
	s_addc_u32 s7, s7, _ZN12_GLOBAL__N_17runRingI14__hip_fp8_e4m38FuncProdIS1_E11ProtoSimpleILi2ELi2ELi0ELi2ELi0ELi0EELi0ELi0ELi2ELi0EEEviiP15ncclDevWorkColl@rel32@hi+12
	v_writelane_b32 v43, s9, 5
	s_or_saveexec_b64 s[100:101], -1
	buffer_store_dword v43, off, s[0:3], s33 offset:16 ; 4-byte Folded Spill
	s_mov_b64 exec, s[100:101]
	v_readlane_b32 s8, v43, 1
	v_readlane_b32 s9, v43, 2
	;; [unrolled: 1-line block ×3, first 2 shown]
	v_mov_b32_e32 v31, v40
	v_mov_b32_e32 v0, v41
	v_mov_b32_e32 v3, s5
	s_swappc_b64 s[30:31], s[6:7]
	s_or_saveexec_b64 s[100:101], -1
	buffer_load_dword v43, off, s[0:3], s33 offset:16 ; 4-byte Folded Reload
	s_mov_b64 exec, s[100:101]
	s_waitcnt vmcnt(0)
	v_readlane_b32 s8, v43, 4
	v_readlane_b32 s9, v43, 5
	;; [unrolled: 1-line block ×3, first 2 shown]
	s_branch .LBB5_2
.LBB5_8:
	buffer_load_dword v62, off, s[0:3], s33 ; 4-byte Folded Reload
	buffer_load_dword v42, off, s[0:3], s33 offset:4 ; 4-byte Folded Reload
	buffer_load_dword v41, off, s[0:3], s33 offset:8 ; 4-byte Folded Reload
	;; [unrolled: 1-line block ×3, first 2 shown]
	v_readlane_b32 s30, v44, 34
	v_readlane_b32 s31, v44, 35
	v_readlane_b32 s99, v44, 33
	v_readlane_b32 s98, v44, 32
	v_readlane_b32 s97, v44, 31
	v_readlane_b32 s96, v44, 30
	v_readlane_b32 s87, v44, 29
	v_readlane_b32 s86, v44, 28
	v_readlane_b32 s85, v44, 27
	v_readlane_b32 s84, v44, 26
	v_readlane_b32 s83, v44, 25
	v_readlane_b32 s82, v44, 24
	v_readlane_b32 s81, v44, 23
	v_readlane_b32 s80, v44, 22
	v_readlane_b32 s71, v44, 21
	v_readlane_b32 s70, v44, 20
	v_readlane_b32 s69, v44, 19
	v_readlane_b32 s68, v44, 18
	v_readlane_b32 s67, v44, 17
	v_readlane_b32 s66, v44, 16
	v_readlane_b32 s65, v44, 15
	v_readlane_b32 s64, v44, 14
	v_readlane_b32 s55, v44, 13
	v_readlane_b32 s54, v44, 12
	v_readlane_b32 s53, v44, 11
	v_readlane_b32 s52, v44, 10
	v_readlane_b32 s51, v44, 9
	v_readlane_b32 s50, v44, 8
	v_readlane_b32 s49, v44, 7
	v_readlane_b32 s48, v44, 6
	v_readlane_b32 s39, v44, 5
	v_readlane_b32 s38, v44, 4
	v_readlane_b32 s37, v44, 3
	v_readlane_b32 s36, v44, 2
	v_readlane_b32 s35, v44, 1
	v_readlane_b32 s34, v44, 0
	s_mov_b32 s32, s33
	v_readlane_b32 s4, v44, 38
	v_readlane_b32 s100, v44, 36
	;; [unrolled: 1-line block ×3, first 2 shown]
	s_or_saveexec_b64 s[6:7], -1
	buffer_load_dword v43, off, s[0:3], s33 offset:20 ; 4-byte Folded Reload
	buffer_load_dword v44, off, s[0:3], s33 offset:24 ; 4-byte Folded Reload
	s_mov_b64 exec, s[6:7]
	s_mov_b32 s33, s4
	s_waitcnt vmcnt(0)
	s_setpc_b64 s[30:31]
.Lfunc_end5:
	.size	_Z51ncclDevFunc_AllReduce_RING_SIMPLE_Prod_f8e4m3_0_0_2v, .Lfunc_end5-_Z51ncclDevFunc_AllReduce_RING_SIMPLE_Prod_f8e4m3_0_0_2v
                                        ; -- End function
	.set .L_Z51ncclDevFunc_AllReduce_RING_SIMPLE_Prod_f8e4m3_0_0_2v.num_vgpr, max(63, .L_ZN12_GLOBAL__N_17runRingI14__hip_fp8_e4m38FuncProdIS1_E11ProtoSimpleILi2ELi2ELi0ELi2ELi0ELi0EELi0ELi0ELi2ELi0EEEviiP15ncclDevWorkColl.num_vgpr)
	.set .L_Z51ncclDevFunc_AllReduce_RING_SIMPLE_Prod_f8e4m3_0_0_2v.num_agpr, max(0, .L_ZN12_GLOBAL__N_17runRingI14__hip_fp8_e4m38FuncProdIS1_E11ProtoSimpleILi2ELi2ELi0ELi2ELi0ELi0EELi0ELi0ELi2ELi0EEEviiP15ncclDevWorkColl.num_agpr)
	.set .L_Z51ncclDevFunc_AllReduce_RING_SIMPLE_Prod_f8e4m3_0_0_2v.numbered_sgpr, max(102, .L_ZN12_GLOBAL__N_17runRingI14__hip_fp8_e4m38FuncProdIS1_E11ProtoSimpleILi2ELi2ELi0ELi2ELi0ELi0EELi0ELi0ELi2ELi0EEEviiP15ncclDevWorkColl.numbered_sgpr)
	.set .L_Z51ncclDevFunc_AllReduce_RING_SIMPLE_Prod_f8e4m3_0_0_2v.num_named_barrier, max(0, .L_ZN12_GLOBAL__N_17runRingI14__hip_fp8_e4m38FuncProdIS1_E11ProtoSimpleILi2ELi2ELi0ELi2ELi0ELi0EELi0ELi0ELi2ELi0EEEviiP15ncclDevWorkColl.num_named_barrier)
	.set .L_Z51ncclDevFunc_AllReduce_RING_SIMPLE_Prod_f8e4m3_0_0_2v.private_seg_size, 32+max(.L_ZN12_GLOBAL__N_17runRingI14__hip_fp8_e4m38FuncProdIS1_E11ProtoSimpleILi2ELi2ELi0ELi2ELi0ELi0EELi0ELi0ELi2ELi0EEEviiP15ncclDevWorkColl.private_seg_size)
	.set .L_Z51ncclDevFunc_AllReduce_RING_SIMPLE_Prod_f8e4m3_0_0_2v.uses_vcc, or(1, .L_ZN12_GLOBAL__N_17runRingI14__hip_fp8_e4m38FuncProdIS1_E11ProtoSimpleILi2ELi2ELi0ELi2ELi0ELi0EELi0ELi0ELi2ELi0EEEviiP15ncclDevWorkColl.uses_vcc)
	.set .L_Z51ncclDevFunc_AllReduce_RING_SIMPLE_Prod_f8e4m3_0_0_2v.uses_flat_scratch, or(0, .L_ZN12_GLOBAL__N_17runRingI14__hip_fp8_e4m38FuncProdIS1_E11ProtoSimpleILi2ELi2ELi0ELi2ELi0ELi0EELi0ELi0ELi2ELi0EEEviiP15ncclDevWorkColl.uses_flat_scratch)
	.set .L_Z51ncclDevFunc_AllReduce_RING_SIMPLE_Prod_f8e4m3_0_0_2v.has_dyn_sized_stack, or(0, .L_ZN12_GLOBAL__N_17runRingI14__hip_fp8_e4m38FuncProdIS1_E11ProtoSimpleILi2ELi2ELi0ELi2ELi0ELi0EELi0ELi0ELi2ELi0EEEviiP15ncclDevWorkColl.has_dyn_sized_stack)
	.set .L_Z51ncclDevFunc_AllReduce_RING_SIMPLE_Prod_f8e4m3_0_0_2v.has_recursion, or(1, .L_ZN12_GLOBAL__N_17runRingI14__hip_fp8_e4m38FuncProdIS1_E11ProtoSimpleILi2ELi2ELi0ELi2ELi0ELi0EELi0ELi0ELi2ELi0EEEviiP15ncclDevWorkColl.has_recursion)
	.set .L_Z51ncclDevFunc_AllReduce_RING_SIMPLE_Prod_f8e4m3_0_0_2v.has_indirect_call, or(0, .L_ZN12_GLOBAL__N_17runRingI14__hip_fp8_e4m38FuncProdIS1_E11ProtoSimpleILi2ELi2ELi0ELi2ELi0ELi0EELi0ELi0ELi2ELi0EEEviiP15ncclDevWorkColl.has_indirect_call)
	.section	.AMDGPU.csdata,"",@progbits
; Function info:
; codeLenInByte = 1124
; TotalNumSgprs: 106
; NumVgprs: 64
; ScratchSize: 448
; MemoryBound: 0
	.text
	.p2align	2                               ; -- Begin function _ZN12_GLOBAL__N_17runRingI14__hip_fp8_e4m38FuncProdIS1_E11ProtoSimpleILi2ELi2ELi0ELi4ELi0ELi0EELi0ELi0ELi4ELi0EEEviiP15ncclDevWorkColl
	.type	_ZN12_GLOBAL__N_17runRingI14__hip_fp8_e4m38FuncProdIS1_E11ProtoSimpleILi2ELi2ELi0ELi4ELi0ELi0EELi0ELi0ELi4ELi0EEEviiP15ncclDevWorkColl,@function
_ZN12_GLOBAL__N_17runRingI14__hip_fp8_e4m38FuncProdIS1_E11ProtoSimpleILi2ELi2ELi0ELi4ELi0ELi0EELi0ELi0ELi4ELi0EEEviiP15ncclDevWorkColl: ; @_ZN12_GLOBAL__N_17runRingI14__hip_fp8_e4m38FuncProdIS1_E11ProtoSimpleILi2ELi2ELi0ELi4ELi0ELi0EELi0ELi0ELi4ELi0EEEviiP15ncclDevWorkColl
; %bb.0:
	s_waitcnt vmcnt(0) expcnt(0) lgkmcnt(0)
	s_mov_b32 s4, s33
	s_mov_b32 s33, s32
	s_or_saveexec_b64 s[6:7], -1
	buffer_store_dword v63, off, s[0:3], s33 offset:468 ; 4-byte Folded Spill
	buffer_store_dword v62, off, s[0:3], s33 offset:472 ; 4-byte Folded Spill
	s_mov_b64 exec, s[6:7]
	v_writelane_b32 v63, s4, 34
	s_addk_i32 s32, 0x7800
	buffer_store_dword v40, off, s[0:3], s33 offset:52 ; 4-byte Folded Spill
	buffer_store_dword v41, off, s[0:3], s33 offset:48 ; 4-byte Folded Spill
	;; [unrolled: 1-line block ×13, first 2 shown]
	buffer_store_dword v61, off, s[0:3], s33 ; 4-byte Folded Spill
	v_writelane_b32 v63, s34, 0
	v_writelane_b32 v63, s35, 1
	;; [unrolled: 1-line block ×34, first 2 shown]
	v_mov_b32_e32 v18, v1
	buffer_store_dword v0, off, s[0:3], s33 offset:268 ; 4-byte Folded Spill
	s_trap 2
	flat_load_dword v1, v[2:3]
	ds_read_b32 v6, v0
                                        ; implicit-def: $vgpr7_vgpr8
	s_mov_b64 s[28:29], s[8:9]
                                        ; kill: killed $vgpr7_vgpr8
                                        ; implicit-def: $vgpr7_vgpr8
                                        ; implicit-def: $vgpr4_vgpr5
	buffer_store_dword v7, off, s[0:3], s33 offset:408 ; 4-byte Folded Spill
	s_nop 0
	buffer_store_dword v8, off, s[0:3], s33 offset:412 ; 4-byte Folded Spill
	buffer_store_dword v9, off, s[0:3], s33 offset:416 ; 4-byte Folded Spill
	;; [unrolled: 1-line block ×3, first 2 shown]
	s_waitcnt lgkmcnt(0)
	v_readfirstlane_b32 s66, v6
	s_waitcnt vmcnt(0)
	v_cmp_ne_u32_sdwa s[4:5], v6, v1 src0_sel:DWORD src1_sel:BYTE_0
	s_and_saveexec_b64 s[6:7], s[4:5]
	s_xor_b64 s[4:5], exec, s[6:7]
	s_cbranch_execz .LBB6_6
; %bb.1:
                                        ; implicit-def: $vgpr7_vgpr8
	v_not_b32_sdwa v0, v1 dst_sel:DWORD dst_unused:UNUSED_PAD src0_sel:BYTE_0
	v_cmp_ne_u32_sdwa s[6:7], v6, v1 src0_sel:DWORD src1_sel:BYTE_1
                                        ; kill: killed $vgpr7_vgpr8
                                        ; implicit-def: $vgpr7_vgpr8
                                        ; implicit-def: $vgpr4_vgpr5
	buffer_store_dword v7, off, s[0:3], s33 offset:408 ; 4-byte Folded Spill
	s_nop 0
	buffer_store_dword v8, off, s[0:3], s33 offset:412 ; 4-byte Folded Spill
	buffer_store_dword v9, off, s[0:3], s33 offset:416 ; 4-byte Folded Spill
	;; [unrolled: 1-line block ×3, first 2 shown]
	s_and_saveexec_b64 s[8:9], s[6:7]
	s_xor_b64 s[6:7], exec, s[8:9]
	s_cbranch_execz .LBB6_3
; %bb.2:
	flat_load_dwordx4 v[7:10], v[2:3] offset:72
	flat_load_dwordx2 v[4:5], v[2:3] offset:96
	v_add_u32_e32 v0, v6, v0
	v_ashrrev_i32_e32 v1, 31, v0
	s_waitcnt vmcnt(0) lgkmcnt(0)
	v_mul_lo_u32 v1, v9, v1
	v_mad_u64_u32 v[6:7], s[8:9], v9, v0, v[7:8]
	v_mul_lo_u32 v0, v10, v0
	v_lshrrev_b64 v[4:5], 12, v[4:5]
	v_add3_u32 v7, v0, v7, v1
	v_mov_b32_e32 v0, v9
	v_mov_b32_e32 v1, v10
	buffer_store_dword v6, off, s[0:3], s33 offset:424 ; 4-byte Folded Spill
	s_nop 0
	buffer_store_dword v7, off, s[0:3], s33 offset:428 ; 4-byte Folded Spill
	buffer_store_dword v0, off, s[0:3], s33 offset:408 ; 4-byte Folded Spill
	s_nop 0
	buffer_store_dword v1, off, s[0:3], s33 offset:412 ; 4-byte Folded Spill
	buffer_store_dword v2, off, s[0:3], s33 offset:416 ; 4-byte Folded Spill
	;; [unrolled: 1-line block ×3, first 2 shown]
                                        ; implicit-def: $vgpr1
                                        ; implicit-def: $vgpr0
.LBB6_3:
	s_andn2_saveexec_b64 s[6:7], s[6:7]
	s_cbranch_execz .LBB6_5
; %bb.4:
	flat_load_dwordx4 v[4:7], v[2:3] offset:72
	flat_load_dwordx4 v[8:11], v[2:3] offset:88
	v_add_u32_sdwa v0, v1, v0 dst_sel:DWORD dst_unused:UNUSED_PAD src0_sel:BYTE_1 src1_sel:DWORD
	v_ashrrev_i32_e32 v1, 31, v0
	s_waitcnt vmcnt(0) lgkmcnt(0)
	v_mul_lo_u32 v1, v6, v1
	v_mad_u64_u32 v[4:5], s[8:9], v6, v0, v[4:5]
	v_mul_lo_u32 v0, v7, v0
	v_add3_u32 v5, v0, v5, v1
	buffer_store_dword v4, off, s[0:3], s33 offset:424 ; 4-byte Folded Spill
	s_nop 0
	buffer_store_dword v5, off, s[0:3], s33 offset:428 ; 4-byte Folded Spill
	v_mov_b32_e32 v0, v8
	v_mov_b32_e32 v1, v9
	v_lshrrev_b32_e32 v4, 1, v11
	buffer_store_dword v0, off, s[0:3], s33 offset:408 ; 4-byte Folded Spill
	s_nop 0
	buffer_store_dword v1, off, s[0:3], s33 offset:412 ; 4-byte Folded Spill
	buffer_store_dword v2, off, s[0:3], s33 offset:416 ; 4-byte Folded Spill
	;; [unrolled: 1-line block ×3, first 2 shown]
.LBB6_5:
	s_or_b64 exec, exec, s[6:7]
.LBB6_6:
	s_andn2_saveexec_b64 s[4:5], s[4:5]
	s_cbranch_execz .LBB6_8
; %bb.7:
	flat_load_dwordx2 v[0:1], v[2:3] offset:96
	flat_load_dwordx2 v[4:5], v[2:3] offset:72
	s_waitcnt vmcnt(0) lgkmcnt(0)
	buffer_store_dword v4, off, s[0:3], s33 offset:408 ; 4-byte Folded Spill
	s_nop 0
	buffer_store_dword v5, off, s[0:3], s33 offset:412 ; 4-byte Folded Spill
	buffer_store_dword v6, off, s[0:3], s33 offset:416 ; 4-byte Folded Spill
	;; [unrolled: 1-line block ×3, first 2 shown]
	v_lshlrev_b64 v[4:5], 9, v[0:1]
	v_mov_b32_e32 v0, 0
	v_mov_b32_e32 v1, 0
	buffer_store_dword v0, off, s[0:3], s33 offset:424 ; 4-byte Folded Spill
	s_nop 0
	buffer_store_dword v1, off, s[0:3], s33 offset:428 ; 4-byte Folded Spill
.LBB6_8:
	s_or_b64 exec, exec, s[4:5]
	s_trap 2
	ds_read_b64 v[0:1], v0
	s_waitcnt lgkmcnt(0)
	v_cmp_ne_u32_e32 vcc, -1, v0
	v_cndmask_b32_e64 v7, 0, 1, vcc
	v_cmp_ne_u32_e32 vcc, -1, v1
	v_addc_co_u32_e64 v5, s[4:5], 0, v7, vcc
	v_lshlrev_b32_e32 v0, 1, v5
	v_cmp_le_u32_e64 s[4:5], v0, v18
	s_and_saveexec_b64 s[6:7], s[4:5]
	s_xor_b64 s[6:7], exec, s[6:7]
                                        ; implicit-def: $vgpr62 : SGPR spill to VGPR lane
	v_writelane_b32 v62, s6, 0
	v_writelane_b32 v62, s7, 1
	s_cbranch_execnz .LBB6_9
; %bb.11151:
	s_getpc_b64 s[98:99]
.Lpost_getpc13:
	s_add_u32 s98, s98, (.LBB6_11142-.Lpost_getpc13)&4294967295
	s_addc_u32 s99, s99, (.LBB6_11142-.Lpost_getpc13)>>32
	s_setpc_b64 s[98:99]
.LBB6_9:
	flat_load_dwordx4 v[10:13], v[2:3] offset:16
	flat_load_dwordx2 v[14:15], v[2:3] offset:104
	flat_load_ushort v1, v[2:3] offset:8
	flat_load_dword v0, v[2:3] offset:4
	s_trap 2
	s_load_dword s4, s[28:29], 0x0
	v_mov_b32_e32 v6, 0
	s_waitcnt lgkmcnt(0)
	s_cmp_lt_u32 s12, s4
	s_cselect_b32 s4, 12, 18
	s_add_u32 s4, s28, s4
	s_addc_u32 s5, s29, 0
	global_load_ushort v6, v6, s[4:5]
	s_waitcnt vmcnt(0)
	buffer_store_dword v6, off, s[0:3], s33 offset:448 ; 4-byte Folded Spill
	ds_read_b32 v6, v0
	s_waitcnt lgkmcnt(0)
	v_readfirstlane_b32 s24, v6
	buffer_load_dword v6, off, s[0:3], s33 offset:268 ; 4-byte Folded Reload
	s_waitcnt vmcnt(0)
	v_cmp_ge_i32_e64 s[4:5], v6, v7
	v_mov_b32_e32 v6, 4
	s_and_saveexec_b64 s[6:7], s[4:5]
	s_cbranch_execz .LBB6_19
; %bb.10:
	buffer_load_dword v6, off, s[0:3], s33 offset:268 ; 4-byte Folded Reload
	s_waitcnt vmcnt(0)
	v_cmp_ge_u32_e64 s[4:5], v6, v5
                                        ; implicit-def: $vgpr6
	s_and_saveexec_b64 s[8:9], s[4:5]
	s_xor_b64 s[4:5], exec, s[8:9]
	s_cbranch_execz .LBB6_16
; %bb.11:
	buffer_load_dword v8, off, s[0:3], s33 offset:268 ; 4-byte Folded Reload
	v_cndmask_b32_e64 v6, 0, 1, vcc
	v_sub_u32_e32 v6, v18, v6
	s_waitcnt vmcnt(0)
	v_cmp_ge_u32_e32 vcc, v8, v6
	s_and_saveexec_b64 s[8:9], vcc
	s_xor_b64 s[10:11], exec, s[8:9]
; %bb.12:
                                        ; implicit-def: $vgpr5
; %bb.13:
	s_or_saveexec_b64 s[10:11], s[10:11]
	v_mov_b32_e32 v6, 16
	s_xor_b64 exec, exec, s[10:11]
	s_cbranch_execz .LBB6_15
; %bb.14:
	buffer_load_dword v6, off, s[0:3], s33 offset:268 ; 4-byte Folded Reload
	v_sub_u32_e32 v5, v18, v5
	s_waitcnt vmcnt(0)
	v_cmp_lt_i32_e32 vcc, v6, v5
	v_cndmask_b32_e64 v6, 32, 0, vcc
.LBB6_15:
	s_or_b64 exec, exec, s[10:11]
.LBB6_16:
	s_andn2_saveexec_b64 s[4:5], s[4:5]
; %bb.17:
	v_mov_b32_e32 v6, 8
; %bb.18:
	s_or_b64 exec, exec, s[4:5]
.LBB6_19:
	s_or_b64 exec, exec, s[6:7]
	v_and_b32_e32 v5, 36, v6
	v_cmp_ne_u32_e32 vcc, 0, v5
	v_mov_b32_e32 v5, -1
	buffer_store_dword v6, off, s[0:3], s33 offset:72 ; 4-byte Folded Spill
	s_and_saveexec_b64 s[4:5], vcc
	s_cbranch_execz .LBB6_21
; %bb.20:
	s_trap 2
	ds_read_b32 v5, v0
.LBB6_21:
	s_or_b64 exec, exec, s[4:5]
	buffer_load_dword v6, off, s[0:3], s33 offset:72 ; 4-byte Folded Reload
	s_waitcnt vmcnt(0)
	v_and_b32_e32 v6, 24, v6
	v_cmp_ne_u32_e64 s[4:5], 0, v6
	s_and_saveexec_b64 s[6:7], s[4:5]
	s_cbranch_execz .LBB6_23
; %bb.22:
	s_trap 2
	s_waitcnt lgkmcnt(0)
	ds_read_b32 v5, v0
.LBB6_23:
	s_or_b64 exec, exec, s[6:7]
	v_mov_b32_e32 v8, 0
	v_mov_b32_e32 v9, 0
	buffer_store_dword v8, off, s[0:3], s33 offset:440 ; 4-byte Folded Spill
	s_nop 0
	buffer_store_dword v9, off, s[0:3], s33 offset:444 ; 4-byte Folded Spill
	v_mov_b32_e32 v8, 0
	v_lshrrev_b64 v[0:1], 31, v[0:1]
	v_mov_b32_e32 v9, 0
	buffer_store_dword v8, off, s[0:3], s33 offset:212 ; 4-byte Folded Spill
	s_nop 0
	buffer_store_dword v9, off, s[0:3], s33 offset:216 ; 4-byte Folded Spill
	buffer_store_dword v10, off, s[0:3], s33 offset:220 ; 4-byte Folded Spill
	;; [unrolled: 1-line block ×3, first 2 shown]
	v_and_b32_e32 v8, 3, v0
                                        ; implicit-def: $vgpr0_vgpr1
                                        ; kill: killed $vgpr0_vgpr1
                                        ; implicit-def: $vgpr0
                                        ; kill: killed $vgpr0
                                        ; implicit-def: $vgpr0_vgpr1
                                        ; kill: killed $vgpr0_vgpr1
                                        ; implicit-def: $vgpr0_vgpr1
                                        ; kill: killed $vgpr0_vgpr1
	;; [unrolled: 2-line block ×4, first 2 shown]
	s_and_saveexec_b64 s[4:5], vcc
	s_cbranch_execz .LBB6_33
; %bb.24:
	s_trap 2
	ds_read_b64 v[0:1], v0
	s_waitcnt lgkmcnt(1)
	v_ashrrev_i32_e32 v6, 31, v5
	v_lshlrev_b64 v[16:17], 3, v[5:6]
	v_and_b32_e32 v6, 0xffff, v8
	s_movk_i32 s6, 0xa8
	s_waitcnt lgkmcnt(0)
	v_add_co_u32_e32 v0, vcc, v0, v16
	v_addc_co_u32_e32 v1, vcc, v1, v17, vcc
	flat_load_dwordx2 v[0:1], v[0:1]
                                        ; implicit-def: $vgpr16_vgpr17
                                        ; kill: killed $vgpr16_vgpr17
	s_waitcnt vmcnt(0) lgkmcnt(0)
	v_mad_u64_u32 v[0:1], s[6:7], v6, s6, v[0:1]
	flat_load_dword v6, v[0:1] offset:640
	s_waitcnt vmcnt(0) lgkmcnt(0)
	v_cmp_eq_u32_e32 vcc, 1, v6
	s_and_saveexec_b64 s[6:7], vcc
	s_cbranch_execz .LBB6_26
; %bb.25:
	flat_load_dwordx2 v[19:20], v[0:1] offset:648
	s_waitcnt vmcnt(0) lgkmcnt(0)
	flat_load_dwordx2 v[16:17], v[19:20]
	s_trap 2
	s_waitcnt vmcnt(0) lgkmcnt(0)
	ds_write_b64 v0, v[16:17]
	flat_load_dwordx2 v[16:17], v[19:20] offset:8
	s_waitcnt vmcnt(0) lgkmcnt(0)
	ds_write_b64 v0, v[16:17]
	buffer_store_dword v19, off, s[0:3], s33 offset:460 ; 4-byte Folded Spill
	s_nop 0
	buffer_store_dword v20, off, s[0:3], s33 offset:464 ; 4-byte Folded Spill
	buffer_load_dword v6, off, s[0:3], s33 offset:72 ; 4-byte Folded Reload
	flat_load_dwordx2 v[16:17], v[19:20] offset:16
	s_waitcnt vmcnt(0)
	v_or_b32_e32 v6, 0x2000, v6
	buffer_store_dword v6, off, s[0:3], s33 offset:72 ; 4-byte Folded Spill
	s_waitcnt lgkmcnt(0)
	ds_write_b64 v0, v[16:17]
.LBB6_26:
	s_or_b64 exec, exec, s[6:7]
	flat_load_dwordx2 v[16:17], v[0:1] offset:608
	buffer_load_dword v6, off, s[0:3], s33 offset:72 ; 4-byte Folded Reload
	s_waitcnt vmcnt(0) lgkmcnt(0)
	v_add_co_u32_e32 v9, vcc, 3, v16
	v_and_b32_e32 v6, 32, v6
	v_addc_co_u32_e32 v17, vcc, 0, v17, vcc
	v_and_b32_e32 v16, -4, v9
	buffer_store_dword v16, off, s[0:3], s33 offset:84 ; 4-byte Folded Spill
	s_nop 0
	buffer_store_dword v17, off, s[0:3], s33 offset:88 ; 4-byte Folded Spill
	v_cmp_ne_u32_e32 vcc, 0, v6
                                        ; implicit-def: $vgpr16_vgpr17
                                        ; kill: killed $vgpr16_vgpr17
	s_and_saveexec_b64 s[6:7], vcc
	s_cbranch_execz .LBB6_28
; %bb.27:
	flat_load_dwordx2 v[16:17], v[0:1] offset:560
	s_waitcnt vmcnt(0) lgkmcnt(0)
	buffer_store_dword v16, off, s[0:3], s33 offset:64 ; 4-byte Folded Spill
	s_nop 0
	buffer_store_dword v17, off, s[0:3], s33 offset:68 ; 4-byte Folded Spill
	buffer_load_dword v19, off, s[0:3], s33 offset:84 ; 4-byte Folded Reload
	buffer_load_dword v20, off, s[0:3], s33 offset:88 ; 4-byte Folded Reload
	s_waitcnt vmcnt(0)
	flat_store_dwordx2 v[16:17], v[19:20]
.LBB6_28:
	s_or_b64 exec, exec, s[6:7]
	v_add_co_u32_e32 v16, vcc, 0x1f8, v0
	v_addc_co_u32_e32 v17, vcc, 0, v1, vcc
	buffer_store_dword v16, off, s[0:3], s33 offset:440 ; 4-byte Folded Spill
	s_nop 0
	buffer_store_dword v17, off, s[0:3], s33 offset:444 ; 4-byte Folded Spill
	buffer_load_dword v6, off, s[0:3], s33 offset:72 ; 4-byte Folded Reload
	v_mov_b32_e32 v16, 0
	v_mov_b32_e32 v17, 0
	buffer_store_dword v16, off, s[0:3], s33 offset:212 ; 4-byte Folded Spill
	s_nop 0
	buffer_store_dword v17, off, s[0:3], s33 offset:216 ; 4-byte Folded Spill
	buffer_store_dword v18, off, s[0:3], s33 offset:220 ; 4-byte Folded Spill
	;; [unrolled: 1-line block ×3, first 2 shown]
                                        ; implicit-def: $vgpr16_vgpr17
                                        ; kill: killed $vgpr16_vgpr17
                                        ; implicit-def: $vgpr16_vgpr17
                                        ; kill: killed $vgpr16_vgpr17
	s_waitcnt vmcnt(0)
	v_and_b32_e32 v6, 4, v6
	v_cmp_ne_u32_e32 vcc, 0, v6
                                        ; implicit-def: $vgpr6
                                        ; kill: killed $vgpr6
	s_and_saveexec_b64 s[6:7], vcc
	s_cbranch_execz .LBB6_32
; %bb.29:
	buffer_load_dword v6, off, s[0:3], s33 offset:72 ; 4-byte Folded Reload
	s_waitcnt vmcnt(0)
	v_and_b32_e32 v6, 0x800, v6
	v_cmp_eq_u32_e32 vcc, 0, v6
	s_and_saveexec_b64 s[10:11], vcc
	s_cbranch_execz .LBB6_31
; %bb.30:
	s_trap 2
	buffer_load_dword v16, off, s[0:3], s33 offset:440 ; 4-byte Folded Reload
	buffer_load_dword v17, off, s[0:3], s33 offset:444 ; 4-byte Folded Reload
	s_waitcnt vmcnt(0)
	ds_write_b64 v0, v[16:17]
.LBB6_31:
	s_or_b64 exec, exec, s[10:11]
	flat_load_dwordx2 v[16:17], v[0:1] offset:552
	s_waitcnt vmcnt(0) lgkmcnt(0)
	buffer_store_dword v16, off, s[0:3], s33 offset:64 ; 4-byte Folded Spill
	s_nop 0
	buffer_store_dword v17, off, s[0:3], s33 offset:68 ; 4-byte Folded Spill
	flat_load_dwordx2 v[16:17], v[16:17] glc
	s_waitcnt vmcnt(0) lgkmcnt(0)
	buffer_store_dword v16, off, s[0:3], s33 offset:56 ; 4-byte Folded Spill
	s_nop 0
	buffer_store_dword v17, off, s[0:3], s33 offset:60 ; 4-byte Folded Spill
	flat_load_dwordx2 v[19:20], v[0:1] offset:600
	flat_load_dword v6, v[0:1] offset:576
	s_waitcnt vmcnt(0) lgkmcnt(0)
	v_mov_b32_e32 v16, v19
	flat_load_dwordx2 v[0:1], v[0:1] offset:520
	v_mov_b32_e32 v17, v20
	buffer_store_dword v6, off, s[0:3], s33 offset:244 ; 4-byte Folded Spill
	s_waitcnt vmcnt(0) lgkmcnt(0)
	buffer_store_dword v0, off, s[0:3], s33 offset:204 ; 4-byte Folded Spill
	s_nop 0
	buffer_store_dword v1, off, s[0:3], s33 offset:208 ; 4-byte Folded Spill
	buffer_load_dword v1, off, s[0:3], s33 offset:72 ; 4-byte Folded Reload
	s_nop 0
	buffer_store_dword v16, off, s[0:3], s33 offset:212 ; 4-byte Folded Spill
	s_nop 0
	buffer_store_dword v17, off, s[0:3], s33 offset:216 ; 4-byte Folded Spill
	buffer_store_dword v18, off, s[0:3], s33 offset:220 ; 4-byte Folded Spill
	;; [unrolled: 1-line block ×3, first 2 shown]
	v_cmp_eq_u64_e32 vcc, 0, v[19:20]
	s_waitcnt vmcnt(4)
	v_or_b32_e32 v0, 0x100, v1
	v_cndmask_b32_e32 v1, v0, v1, vcc
	buffer_store_dword v1, off, s[0:3], s33 offset:72 ; 4-byte Folded Spill
.LBB6_32:
	s_or_b64 exec, exec, s[6:7]
.LBB6_33:
	s_or_b64 exec, exec, s[4:5]
	buffer_load_dword v0, off, s[0:3], s33 offset:72 ; 4-byte Folded Reload
	s_waitcnt vmcnt(0)
	v_and_b32_e32 v0, 24, v0
	v_cmp_ne_u32_e32 vcc, 0, v0
                                        ; implicit-def: $vgpr0_vgpr1
                                        ; kill: killed $vgpr0_vgpr1
	s_and_saveexec_b64 s[4:5], vcc
	s_cbranch_execz .LBB6_41
; %bb.34:
	s_trap 2
	ds_read_b64 v[0:1], v0
	s_waitcnt lgkmcnt(0)
	v_ashrrev_i32_e32 v6, 31, v5
	v_lshlrev_b64 v[5:6], 3, v[5:6]
	s_movk_i32 s6, 0xa8
	v_add_co_u32_e32 v0, vcc, v0, v5
	v_addc_co_u32_e32 v1, vcc, v1, v6, vcc
	flat_load_dwordx2 v[0:1], v[0:1]
	v_and_b32_e32 v5, 0xffff, v8
	s_waitcnt vmcnt(0) lgkmcnt(0)
	v_mad_u64_u32 v[0:1], s[6:7], v5, s6, v[0:1]
	buffer_store_dword v0, off, s[0:3], s33 offset:440 ; 4-byte Folded Spill
	s_nop 0
	buffer_store_dword v1, off, s[0:3], s33 offset:444 ; 4-byte Folded Spill
	flat_load_dwordx4 v[19:22], v[0:1] offset:96
	s_nop 0
	buffer_load_dword v1, off, s[0:3], s33 offset:72 ; 4-byte Folded Reload
	s_waitcnt vmcnt(0) lgkmcnt(0)
	buffer_store_dword v19, off, s[0:3], s33 offset:212 ; 4-byte Folded Spill
	s_nop 0
	buffer_store_dword v20, off, s[0:3], s33 offset:216 ; 4-byte Folded Spill
	buffer_store_dword v21, off, s[0:3], s33 offset:220 ; 4-byte Folded Spill
	;; [unrolled: 1-line block ×3, first 2 shown]
	v_or_b32_e32 v0, 0x100, v1
	v_cmp_eq_u64_e32 vcc, 0, v[19:20]
	v_cndmask_b32_e32 v1, v0, v1, vcc
	v_and_b32_e32 v0, 16, v1
	v_cmp_ne_u32_e32 vcc, 0, v0
	buffer_store_dword v1, off, s[0:3], s33 offset:72 ; 4-byte Folded Spill
                                        ; implicit-def: $vgpr0_vgpr1
                                        ; kill: killed $vgpr0_vgpr1
	s_and_saveexec_b64 s[6:7], vcc
	s_cbranch_execz .LBB6_36
; %bb.35:
	buffer_load_dword v0, off, s[0:3], s33 offset:440 ; 4-byte Folded Reload
	buffer_load_dword v1, off, s[0:3], s33 offset:444 ; 4-byte Folded Reload
	s_waitcnt vmcnt(0)
	flat_load_dwordx2 v[5:6], v[0:1] offset:48
	s_waitcnt vmcnt(0) lgkmcnt(0)
	buffer_store_dword v5, off, s[0:3], s33 offset:64 ; 4-byte Folded Spill
	s_nop 0
	buffer_store_dword v6, off, s[0:3], s33 offset:68 ; 4-byte Folded Spill
	flat_load_dwordx2 v[5:6], v[0:1] offset:120
	s_waitcnt vmcnt(0) lgkmcnt(0)
	buffer_store_dword v5, off, s[0:3], s33 offset:228 ; 4-byte Folded Spill
	s_nop 0
	buffer_store_dword v6, off, s[0:3], s33 offset:232 ; 4-byte Folded Spill
	;; [unrolled: 5-line block ×3, first 2 shown]
.LBB6_36:
	s_or_b64 exec, exec, s[6:7]
	buffer_load_dword v19, off, s[0:3], s33 offset:212 ; 4-byte Folded Reload
	buffer_load_dword v20, off, s[0:3], s33 offset:216 ; 4-byte Folded Reload
	;; [unrolled: 1-line block ×4, first 2 shown]
	s_waitcnt vmcnt(1)
	v_add_co_u32_e32 v0, vcc, 3, v21
	s_waitcnt vmcnt(0)
	v_addc_co_u32_e32 v1, vcc, 0, v22, vcc
	v_and_b32_e32 v0, -4, v0
	buffer_store_dword v0, off, s[0:3], s33 offset:84 ; 4-byte Folded Spill
	s_nop 0
	buffer_store_dword v1, off, s[0:3], s33 offset:88 ; 4-byte Folded Spill
	buffer_load_dword v0, off, s[0:3], s33 offset:72 ; 4-byte Folded Reload
	s_waitcnt vmcnt(0)
	v_and_b32_e32 v0, 8, v0
	v_cmp_ne_u32_e32 vcc, 0, v0
	s_and_saveexec_b64 s[6:7], vcc
	s_cbranch_execz .LBB6_40
; %bb.37:
	buffer_load_dword v0, off, s[0:3], s33 offset:72 ; 4-byte Folded Reload
	s_waitcnt vmcnt(0)
	v_and_b32_e32 v0, 0x800, v0
	v_cmp_eq_u32_e32 vcc, 0, v0
	s_and_saveexec_b64 s[10:11], vcc
	s_cbranch_execz .LBB6_39
; %bb.38:
	s_trap 2
	buffer_load_dword v0, off, s[0:3], s33 offset:440 ; 4-byte Folded Reload
	buffer_load_dword v1, off, s[0:3], s33 offset:444 ; 4-byte Folded Reload
	s_waitcnt vmcnt(0)
	ds_write_b64 v0, v[0:1]
.LBB6_39:
	s_or_b64 exec, exec, s[10:11]
	buffer_load_dword v0, off, s[0:3], s33 offset:440 ; 4-byte Folded Reload
	buffer_load_dword v1, off, s[0:3], s33 offset:444 ; 4-byte Folded Reload
	s_waitcnt vmcnt(0)
	flat_load_dwordx2 v[5:6], v[0:1] offset:56
	s_waitcnt vmcnt(0) lgkmcnt(0)
	buffer_store_dword v5, off, s[0:3], s33 offset:64 ; 4-byte Folded Spill
	s_nop 0
	buffer_store_dword v6, off, s[0:3], s33 offset:68 ; 4-byte Folded Spill
	flat_load_dwordx2 v[5:6], v[5:6] glc
	s_waitcnt vmcnt(0) lgkmcnt(0)
	buffer_store_dword v5, off, s[0:3], s33 offset:56 ; 4-byte Folded Spill
	s_nop 0
	buffer_store_dword v6, off, s[0:3], s33 offset:60 ; 4-byte Folded Spill
	flat_load_dword v5, v[0:1] offset:72
	s_nop 0
	flat_load_dwordx2 v[0:1], v[0:1] offset:16
	s_waitcnt vmcnt(0) lgkmcnt(0)
	buffer_store_dword v5, off, s[0:3], s33 offset:244 ; 4-byte Folded Spill
	buffer_store_dword v0, off, s[0:3], s33 offset:204 ; 4-byte Folded Spill
	s_nop 0
	buffer_store_dword v1, off, s[0:3], s33 offset:208 ; 4-byte Folded Spill
.LBB6_40:
	s_or_b64 exec, exec, s[6:7]
.LBB6_41:
	s_or_b64 exec, exec, s[4:5]
	buffer_load_dword v0, off, s[0:3], s33 offset:268 ; 4-byte Folded Reload
	s_waitcnt vmcnt(0)
	v_cmp_eq_u32_e64 s[4:5], 0, v0
	s_and_saveexec_b64 s[6:7], s[4:5]
	s_cbranch_execz .LBB6_43
; %bb.42:
	flat_load_dwordx2 v[0:1], v[2:3] offset:32
	s_waitcnt lgkmcnt(0)
	v_mov_b32_e32 v5, v12
	v_mov_b32_e32 v6, v13
	;; [unrolled: 1-line block ×4, first 2 shown]
	s_waitcnt vmcnt(0)
	ds_write2_b64 v0, v[5:6], v[8:9] offset1:1
	s_trap 2
	ds_write_b64 v0, v[0:1]
	ds_write_b64 v0, v[14:15]
.LBB6_43:
	s_or_b64 exec, exec, s[6:7]
	v_mov_b32_e32 v0, 0
	v_mov_b32_e32 v1, 0
	buffer_store_dword v0, off, s[0:3], s33 offset:76 ; 4-byte Folded Spill
	s_nop 0
	buffer_store_dword v1, off, s[0:3], s33 offset:80 ; 4-byte Folded Spill
	buffer_load_dword v8, off, s[0:3], s33 offset:408 ; 4-byte Folded Reload
	buffer_load_dword v9, off, s[0:3], s33 offset:412 ; 4-byte Folded Reload
	;; [unrolled: 1-line block ×4, first 2 shown]
	s_waitcnt vmcnt(0)
	v_cmp_lt_i64_e32 vcc, 0, v[8:9]
	s_mov_b64 s[6:7], exec
	v_writelane_b32 v62, s6, 2
	v_writelane_b32 v62, s7, 3
	s_and_b64 s[6:7], s[6:7], vcc
	s_mov_b64 exec, s[6:7]
	s_cbranch_execnz .LBB6_44
; %bb.11153:
	s_getpc_b64 s[98:99]
.Lpost_getpc14:
	s_add_u32 s98, s98, (.LBB6_11108-.Lpost_getpc14)&4294967295
	s_addc_u32 s99, s99, (.LBB6_11108-.Lpost_getpc14)>>32
	s_setpc_b64 s[98:99]
.LBB6_44:
	flat_load_dword v0, v[2:3] offset:4
	v_and_b32_e32 v20, 0x3ffffe00, v4
	buffer_load_dword v3, off, s[0:3], s33 offset:268 ; 4-byte Folded Reload
	buffer_load_dword v2, off, s[0:3], s33 offset:244 ; 4-byte Folded Reload
	v_and_b32_e32 v1, 63, v31
	buffer_store_dword v31, off, s[0:3], s33 offset:456 ; 4-byte Folded Spill
	v_lshrrev_b32_e32 v49, 6, v18
	v_and_b32_e32 v6, 0x3fc0, v18
	v_cmp_eq_u32_e64 s[16:17], 0, v1
	s_ashr_i32 s67, s66, 31
	v_mad_i64_i32 v[8:9], s[8:9], v20, s66, 0
	s_add_u32 s8, s66, -1
	s_movk_i32 s20, 0x400
	s_addc_u32 s83, s67, -1
	s_add_i32 s84, s66, s66
	s_not_b32 s9, s66
	s_cmp_gt_i32 s66, 0
	s_cselect_b32 s9, s9, -1
	s_ashr_i32 s21, s24, 31
	s_add_i32 s85, s9, s84
	s_lshr_b32 s9, s21, 25
	v_mov_b32_e32 v21, 0
	s_add_i32 s24, s24, s9
	s_ashr_i32 s87, s24, 7
	s_ashr_i32 s86, s85, 31
	s_cmp_gt_i32 s66, 2
	s_cselect_b64 s[72:73], -1, 0
	s_add_i32 s9, s66, 1
	v_writelane_b32 v62, s28, 4
	s_mov_b32 s56, -1
	v_writelane_b32 v62, s29, 5
	s_mov_b32 s57, 0xffffff
	v_cmp_eq_u32_e64 s[6:7], 64, v18
	v_cmp_ne_u32_e64 s[10:11], 64, v18
	s_movk_i32 s68, 0xffc0
	s_mov_b64 s[60:61], 0
	s_movk_i32 s69, 0xfc00
	s_movk_i32 s70, 0x1000
	;; [unrolled: 1-line block ×5, first 2 shown]
	s_mov_b64 s[62:63], 0x7f800000
	v_lshlrev_b32_e32 v56, 12, v49
	s_mov_b64 s[78:79], 0x43e00001
	s_movk_i32 s47, 0x7a
	s_mov_b64 s[88:89], 0xffffff
	s_waitcnt vmcnt(0) lgkmcnt(0)
	v_and_b32_e32 v0, 1, v0
	v_cmp_eq_u32_e64 s[24:25], 1, v0
	v_cmp_ge_i32_e32 vcc, v3, v18
	v_ashrrev_i32_e32 v2, 31, v2
	buffer_store_dword v2, off, s[0:3], s33 offset:264 ; 4-byte Folded Spill
	s_trap 2
	buffer_store_dword v18, off, s[0:3], s33 offset:452 ; 4-byte Folded Spill
	buffer_load_dword v2, off, s[0:3], s33 offset:448 ; 4-byte Folded Reload
	buffer_load_dword v4, off, s[0:3], s33 offset:228 ; 4-byte Folded Reload
	;; [unrolled: 1-line block ×3, first 2 shown]
	s_xor_b64 s[74:75], s[24:25], -1
	s_cmp_ge_i32 s9, s66
	s_cselect_b32 s26, s66, 0
	s_sub_i32 s97, s9, s26
	s_add_i32 s96, s66, -2
	s_xor_b64 s[76:77], vcc, -1
	s_ashr_i32 s46, s97, 31
	s_waitcnt vmcnt(2)
	v_cmp_ne_u32_sdwa s[58:59], v18, v2 src0_sel:DWORD src1_sel:WORD_0
	s_waitcnt vmcnt(0)
	v_cmp_eq_u64_e64 s[12:13], 0, v[4:5]
	v_cmp_ne_u64_e64 s[14:15], 0, v[4:5]
	v_mov_b32_e32 v4, 0
	v_mov_b32_e32 v5, 0
	v_ashrrev_i32_e32 v2, 31, v3
	buffer_store_dword v4, off, s[0:3], s33 offset:76 ; 4-byte Folded Spill
	s_nop 0
	buffer_store_dword v5, off, s[0:3], s33 offset:80 ; 4-byte Folded Spill
	v_lshrrev_b32_e32 v1, 26, v2
	v_lshlrev_b32_e32 v2, 13, v49
	v_lshlrev_b32_e32 v4, 11, v49
	buffer_store_dword v2, off, s[0:3], s33 offset:372 ; 4-byte Folded Spill
	v_lshlrev_b32_e32 v2, 10, v49
	buffer_store_dword v4, off, s[0:3], s33 offset:192 ; 4-byte Folded Spill
	v_subrev_u32_e32 v4, 64, v6
	v_add_u32_e32 v1, v3, v1
	buffer_store_dword v2, off, s[0:3], s33 offset:236 ; 4-byte Folded Spill
	v_add_u32_e32 v10, 0xfffffc00, v2
	v_ashrrev_i32_e32 v2, 31, v4
	buffer_store_dword v4, off, s[0:3], s33 offset:248 ; 4-byte Folded Spill
	v_add_co_u32_e64 v4, s[18:19], 64, v4
	buffer_store_dword v6, off, s[0:3], s33 offset:196 ; 4-byte Folded Spill
	v_ashrrev_i32_e32 v11, 6, v1
	v_and_b32_e32 v1, 0xffffffc0, v1
	buffer_store_dword v4, off, s[0:3], s33 offset:256 ; 4-byte Folded Spill
	buffer_store_dword v2, off, s[0:3], s33 offset:252 ; 4-byte Folded Spill
	v_addc_co_u32_e64 v2, s[18:19], 0, v2, s[18:19]
	v_ashrrev_i32_e32 v12, 31, v10
	v_sub_u32_e32 v3, v3, v1
	v_lshlrev_b32_e32 v1, 13, v11
	v_add_co_u32_e64 v4, s[18:19], s20, v10
	buffer_store_dword v2, off, s[0:3], s33 offset:260 ; 4-byte Folded Spill
	buffer_store_dword v11, off, s[0:3], s33 offset:240 ; 4-byte Folded Spill
	;; [unrolled: 1-line block ×5, first 2 shown]
	v_addc_co_u32_e64 v4, s[18:19], 0, v12, s[18:19]
	v_lshl_add_u32 v1, v3, 4, v1
	v_lshlrev_b32_e32 v2, 12, v11
	v_cmp_gt_i32_e64 s[18:19], 1, v3
	v_cmp_lt_i32_e64 s[20:21], v3, v7
	buffer_store_dword v3, off, s[0:3], s33 offset:332 ; 4-byte Folded Spill
	v_cmp_le_i32_e64 s[22:23], v3, v7
	v_ashrrev_i32_e32 v3, 31, v1
	buffer_store_dword v4, off, s[0:3], s33 offset:284 ; 4-byte Folded Spill
	buffer_store_dword v3, off, s[0:3], s33 offset:380 ; 4-byte Folded Spill
	;; [unrolled: 1-line block ×3, first 2 shown]
	v_sub_u32_e32 v1, v1, v2
	buffer_store_dword v1, off, s[0:3], s33 offset:312 ; 4-byte Folded Spill
	v_ashrrev_i32_e32 v1, 31, v1
	buffer_store_dword v1, off, s[0:3], s33 offset:316 ; 4-byte Folded Spill
	buffer_store_dword v20, off, s[0:3], s33 offset:364 ; 4-byte Folded Spill
	s_nop 0
	buffer_store_dword v21, off, s[0:3], s33 offset:368 ; 4-byte Folded Spill
	buffer_load_dword v0, off, s[0:3], s33 offset:408 ; 4-byte Folded Reload
	buffer_load_dword v1, off, s[0:3], s33 offset:412 ; 4-byte Folded Reload
	;; [unrolled: 1-line block ×4, first 2 shown]
	v_mov_b32_e32 v5, 0
	v_mov_b32_e32 v7, v8
	;; [unrolled: 1-line block ×4, first 2 shown]
	buffer_store_dword v49, off, s[0:3], s33 offset:92 ; 4-byte Folded Spill
	buffer_store_dword v7, off, s[0:3], s33 offset:432 ; 4-byte Folded Spill
	s_nop 0
	buffer_store_dword v8, off, s[0:3], s33 offset:436 ; 4-byte Folded Spill
	buffer_store_dword v56, off, s[0:3], s33 offset:200 ; 4-byte Folded Spill
	s_branch .LBB6_47
.LBB6_45:                               ;   in Loop: Header=BB6_47 Depth=1
	s_or_b64 exec, exec, s[40:41]
.LBB6_46:                               ;   in Loop: Header=BB6_47 Depth=1
	s_or_b64 exec, exec, s[28:29]
	buffer_load_dword v5, off, s[0:3], s33 offset:388 ; 4-byte Folded Reload
	buffer_load_dword v6, off, s[0:3], s33 offset:392 ; 4-byte Folded Reload
	;; [unrolled: 1-line block ×8, first 2 shown]
	s_waitcnt vmcnt(0)
	v_add_co_u32_e32 v5, vcc, v5, v7
	v_addc_co_u32_e32 v6, vcc, v6, v8, vcc
	v_cmp_ge_i64_e32 vcc, v[5:6], v[0:1]
	s_or_b64 s[60:61], vcc, s[60:61]
	s_andn2_b64 exec, exec, s[60:61]
	s_cbranch_execnz .LBB6_47
; %bb.11155:
	s_getpc_b64 s[98:99]
.Lpost_getpc15:
	s_add_u32 s98, s98, (.LBB6_11107-.Lpost_getpc15)&4294967295
	s_addc_u32 s99, s99, (.LBB6_11107-.Lpost_getpc15)>>32
	s_setpc_b64 s[98:99]
.LBB6_47:                               ; =>This Loop Header: Depth=1
                                        ;     Child Loop BB6_57 Depth 2
                                        ;       Child Loop BB6_65 Depth 3
                                        ;       Child Loop BB6_89 Depth 3
	;; [unrolled: 1-line block ×9, first 2 shown]
                                        ;     Child Loop BB6_199 Depth 2
                                        ;       Child Loop BB6_205 Depth 3
                                        ;       Child Loop BB6_229 Depth 3
	;; [unrolled: 1-line block ×3, first 2 shown]
                                        ;     Child Loop BB6_271 Depth 2
                                        ;       Child Loop BB6_274 Depth 3
                                        ;         Child Loop BB6_282 Depth 4
                                        ;         Child Loop BB6_310 Depth 4
                                        ;         Child Loop BB6_329 Depth 4
                                        ;         Child Loop BB6_356 Depth 4
                                        ;         Child Loop BB6_2153 Depth 4
                                        ;         Child Loop BB6_2609 Depth 4
                                        ;         Child Loop BB6_3638 Depth 4
                                        ;         Child Loop BB6_3678 Depth 4
                                        ;         Child Loop BB6_3697 Depth 4
                                        ;       Child Loop BB6_3716 Depth 3
                                        ;         Child Loop BB6_3722 Depth 4
                                        ;         Child Loop BB6_3750 Depth 4
                                        ;         Child Loop BB6_3769 Depth 4
                                        ;     Child Loop BB6_3791 Depth 2
                                        ;       Child Loop BB6_3799 Depth 3
                                        ;       Child Loop BB6_3827 Depth 3
	;; [unrolled: 1-line block ×9, first 2 shown]
                                        ;         Child Loop BB6_6100 Depth 4
                                        ;       Child Loop BB6_6130 Depth 3
                                        ;       Child Loop BB6_7158 Depth 3
                                        ;         Child Loop BB6_7191 Depth 4
                                        ;       Child Loop BB6_10526 Depth 3
                                        ;       Child Loop BB6_10545 Depth 3
                                        ;     Child Loop BB6_10563 Depth 2
                                        ;       Child Loop BB6_10569 Depth 3
                                        ;       Child Loop BB6_10597 Depth 3
	;; [unrolled: 1-line block ×3, first 2 shown]
                                        ;     Child Loop BB6_10639 Depth 2
                                        ;       Child Loop BB6_10642 Depth 3
                                        ;         Child Loop BB6_10650 Depth 4
                                        ;         Child Loop BB6_10678 Depth 4
	;; [unrolled: 1-line block ×9, first 2 shown]
                                        ;           Child Loop BB6_10732 Depth 5
                                        ;         Child Loop BB6_10741 Depth 4
                                        ;         Child Loop BB6_10746 Depth 4
                                        ;           Child Loop BB6_10747 Depth 5
                                        ;         Child Loop BB6_10785 Depth 4
                                        ;         Child Loop BB6_10804 Depth 4
                                        ;       Child Loop BB6_10822 Depth 3
                                        ;         Child Loop BB6_10828 Depth 4
                                        ;         Child Loop BB6_10856 Depth 4
	;; [unrolled: 1-line block ×3, first 2 shown]
                                        ;     Child Loop BB6_10901 Depth 2
                                        ;       Child Loop BB6_10909 Depth 3
                                        ;       Child Loop BB6_10933 Depth 3
	;; [unrolled: 1-line block ×9, first 2 shown]
                                        ;     Child Loop BB6_11041 Depth 2
                                        ;       Child Loop BB6_11047 Depth 3
                                        ;       Child Loop BB6_11071 Depth 3
	;; [unrolled: 1-line block ×3, first 2 shown]
	s_waitcnt vmcnt(0)
	v_sub_co_u32_e32 v0, vcc, v0, v5
	s_waitcnt vmcnt(6)
	v_subb_co_u32_e32 v1, vcc, v1, v6, vcc
	buffer_store_dword v0, off, s[0:3], s33 offset:356 ; 4-byte Folded Spill
	s_nop 0
	buffer_store_dword v1, off, s[0:3], s33 offset:360 ; 4-byte Folded Spill
	v_cmp_lt_i64_e32 vcc, v[0:1], v[7:8]
	s_and_saveexec_b64 s[28:29], vcc
	s_cbranch_execz .LBB6_53
; %bb.48:                               ;   in Loop: Header=BB6_47 Depth=1
	buffer_load_dword v2, off, s[0:3], s33 offset:356 ; 4-byte Folded Reload
	buffer_load_dword v3, off, s[0:3], s33 offset:360 ; 4-byte Folded Reload
	v_mov_b32_e32 v0, s83
	s_waitcnt vmcnt(0)
	v_add_co_u32_e32 v2, vcc, s8, v2
	s_waitcnt vmcnt(0)
	v_addc_co_u32_e32 v3, vcc, v0, v3, vcc
	v_or_b32_e32 v1, s67, v3
	v_mov_b32_e32 v0, v21
	v_cmp_ne_u64_e32 vcc, 0, v[0:1]
                                        ; implicit-def: $vgpr0_vgpr1
	s_and_saveexec_b64 s[26:27], vcc
	s_xor_b64 s[40:41], exec, s[26:27]
	s_cbranch_execz .LBB6_50
; %bb.49:                               ;   in Loop: Header=BB6_47 Depth=1
	s_ashr_i32 s42, s67, 31
	s_add_u32 s26, s66, s42
	s_mov_b32 s43, s42
	s_addc_u32 s27, s67, s42
	s_xor_b64 s[90:91], s[26:27], s[42:43]
	v_cvt_f32_u32_e32 v0, s90
	v_cvt_f32_u32_e32 v1, s91
	s_sub_u32 s9, 0, s90
	s_subb_u32 s43, 0, s91
	v_ashrrev_i32_e32 v4, 31, v3
	v_mac_f32_e32 v0, 0x4f800000, v1
	v_rcp_f32_e32 v0, v0
	v_mov_b32_e32 v12, v6
	v_mov_b32_e32 v11, v5
	v_mul_f32_e32 v0, 0x5f7ffffc, v0
	v_mul_f32_e32 v1, 0x2f800000, v0
	v_trunc_f32_e32 v1, v1
	v_mac_f32_e32 v0, 0xcf800000, v1
	v_cvt_u32_f32_e32 v1, v1
	v_cvt_u32_f32_e32 v0, v0
	v_readfirstlane_b32 s44, v1
	v_readfirstlane_b32 s26, v0
	s_mul_i32 s27, s9, s44
	s_mul_hi_u32 s92, s9, s26
	s_mul_i32 s45, s43, s26
	s_add_i32 s27, s92, s27
	s_add_i32 s27, s27, s45
	s_mul_i32 s93, s9, s26
	s_mul_i32 s92, s26, s27
	s_mul_hi_u32 s94, s26, s93
	s_mul_hi_u32 s45, s26, s27
	s_add_u32 s92, s94, s92
	s_addc_u32 s45, 0, s45
	s_mul_hi_u32 s95, s44, s93
	s_mul_i32 s93, s44, s93
	s_add_u32 s92, s92, s93
	s_mul_hi_u32 s94, s44, s27
	s_addc_u32 s45, s45, s95
	s_addc_u32 s92, s94, 0
	s_mul_i32 s27, s44, s27
	s_add_u32 s27, s45, s27
	s_addc_u32 s45, 0, s92
	s_add_u32 s92, s26, s27
	s_cselect_b64 s[26:27], -1, 0
	s_cmp_lg_u64 s[26:27], 0
	s_addc_u32 s44, s44, s45
	s_mul_i32 s26, s9, s44
	s_mul_hi_u32 s27, s9, s92
	s_add_i32 s26, s27, s26
	s_mul_i32 s43, s43, s92
	s_add_i32 s26, s26, s43
	s_mul_i32 s9, s9, s92
	s_mul_hi_u32 s43, s44, s9
	s_mul_i32 s45, s44, s9
	s_mul_i32 s94, s92, s26
	s_mul_hi_u32 s9, s92, s9
	s_mul_hi_u32 s93, s92, s26
	s_add_u32 s9, s9, s94
	s_addc_u32 s93, 0, s93
	s_add_u32 s9, s9, s45
	s_mul_hi_u32 s27, s44, s26
	s_addc_u32 s9, s93, s43
	s_addc_u32 s27, s27, 0
	s_mul_i32 s26, s44, s26
	s_add_u32 s9, s9, s26
	s_addc_u32 s43, 0, s27
	s_add_u32 s9, s92, s9
	s_cselect_b64 s[26:27], -1, 0
	s_cmp_lg_u64 s[26:27], 0
	v_add_co_u32_e32 v0, vcc, v2, v4
	s_addc_u32 s43, s44, s43
	v_xor_b32_e32 v5, v0, v4
	v_addc_co_u32_e32 v2, vcc, v3, v4, vcc
	v_mad_u64_u32 v[0:1], s[26:27], v5, s43, 0
	v_mul_hi_u32 v3, v5, s9
	v_xor_b32_e32 v6, v2, v4
	v_add_co_u32_e32 v7, vcc, v3, v0
	v_addc_co_u32_e32 v8, vcc, 0, v1, vcc
	v_mad_u64_u32 v[0:1], s[26:27], v6, s9, 0
	v_mad_u64_u32 v[2:3], s[26:27], v6, s43, 0
	v_add_co_u32_e32 v0, vcc, v7, v0
	v_addc_co_u32_e32 v0, vcc, v8, v1, vcc
	v_addc_co_u32_e32 v1, vcc, 0, v3, vcc
	v_add_co_u32_e32 v2, vcc, v0, v2
	v_addc_co_u32_e32 v3, vcc, 0, v1, vcc
	v_mul_lo_u32 v7, s91, v2
	v_mul_lo_u32 v8, s90, v3
	v_mad_u64_u32 v[0:1], s[26:27], s90, v2, 0
	v_add3_u32 v1, v1, v8, v7
	v_sub_u32_e32 v7, v6, v1
	v_mov_b32_e32 v8, s91
	v_sub_co_u32_e32 v0, vcc, v5, v0
	v_subb_co_u32_e64 v5, s[26:27], v7, v8, vcc
	v_subrev_co_u32_e64 v7, s[26:27], s90, v0
	v_subbrev_co_u32_e64 v5, s[26:27], 0, v5, s[26:27]
	v_cmp_le_u32_e64 s[26:27], s91, v5
	v_cndmask_b32_e64 v8, 0, -1, s[26:27]
	v_cmp_le_u32_e64 s[26:27], s90, v7
	v_cndmask_b32_e64 v7, 0, -1, s[26:27]
	v_cmp_eq_u32_e64 s[26:27], s91, v5
	v_cndmask_b32_e64 v5, v8, v7, s[26:27]
	v_add_co_u32_e64 v7, s[26:27], 2, v2
	v_subb_co_u32_e32 v1, vcc, v6, v1, vcc
	v_addc_co_u32_e64 v8, s[26:27], 0, v3, s[26:27]
	v_cmp_le_u32_e32 vcc, s91, v1
	v_add_co_u32_e64 v9, s[26:27], 1, v2
	v_cndmask_b32_e64 v6, 0, -1, vcc
	v_cmp_le_u32_e32 vcc, s90, v0
	v_addc_co_u32_e64 v10, s[26:27], 0, v3, s[26:27]
	v_cndmask_b32_e64 v0, 0, -1, vcc
	v_cmp_eq_u32_e32 vcc, s91, v1
	v_cmp_ne_u32_e64 s[26:27], 0, v5
	v_cndmask_b32_e32 v0, v6, v0, vcc
	v_cndmask_b32_e64 v5, v10, v8, s[26:27]
	v_cmp_ne_u32_e32 vcc, 0, v0
	v_cndmask_b32_e64 v1, v9, v7, s[26:27]
	v_cndmask_b32_e32 v0, v3, v5, vcc
	v_cndmask_b32_e32 v1, v2, v1, vcc
	v_xor_b32_e32 v2, s42, v4
	v_xor_b32_e32 v3, v0, v2
	;; [unrolled: 1-line block ×3, first 2 shown]
	v_mov_b32_e32 v5, v11
	v_sub_co_u32_e32 v0, vcc, v0, v2
	v_mov_b32_e32 v6, v12
	v_subb_co_u32_e32 v1, vcc, v3, v2, vcc
                                        ; implicit-def: $vgpr2
.LBB6_50:                               ;   in Loop: Header=BB6_47 Depth=1
	s_andn2_saveexec_b64 s[40:41], s[40:41]
	s_cbranch_execz .LBB6_52
; %bb.51:                               ;   in Loop: Header=BB6_47 Depth=1
	v_cvt_f32_u32_e32 v0, s66
	s_sub_i32 s9, 0, s66
	v_rcp_iflag_f32_e32 v0, v0
	v_mul_f32_e32 v0, 0x4f7ffffe, v0
	v_cvt_u32_f32_e32 v0, v0
	v_mul_lo_u32 v1, s9, v0
	v_mul_hi_u32 v1, v0, v1
	v_add_u32_e32 v0, v0, v1
	v_mul_hi_u32 v0, v2, v0
	v_mul_lo_u32 v1, v0, s66
	v_sub_u32_e32 v1, v2, v1
	v_cmp_le_u32_e32 vcc, s66, v1
	v_subrev_u32_e32 v2, s66, v1
	v_cndmask_b32_e32 v1, v1, v2, vcc
	v_cmp_le_u32_e64 s[26:27], s66, v1
	v_add_u32_e32 v1, 1, v0
	v_cndmask_b32_e32 v0, v0, v1, vcc
	v_add_u32_e32 v1, 1, v0
	v_cndmask_b32_e64 v20, v0, v1, s[26:27]
	v_mov_b32_e32 v0, v20
	v_mov_b32_e32 v1, v21
.LBB6_52:                               ;   in Loop: Header=BB6_47 Depth=1
	s_or_b64 exec, exec, s[40:41]
	v_add_co_u32_e32 v0, vcc, 15, v0
	v_addc_co_u32_e32 v1, vcc, 0, v1, vcc
	v_and_b32_e32 v0, -16, v0
	buffer_store_dword v0, off, s[0:3], s33 offset:364 ; 4-byte Folded Spill
	s_nop 0
	buffer_store_dword v1, off, s[0:3], s33 offset:368 ; 4-byte Folded Spill
.LBB6_53:                               ;   in Loop: Header=BB6_47 Depth=1
	s_or_b64 exec, exec, s[28:29]
	buffer_load_dword v2, off, s[0:3], s33 offset:364 ; 4-byte Folded Reload
	buffer_load_dword v3, off, s[0:3], s33 offset:368 ; 4-byte Folded Reload
	v_mov_b32_e32 v7, 0
	s_waitcnt vmcnt(0)
	v_mul_lo_u32 v1, v2, s86
	s_waitcnt vmcnt(0)
	v_mul_lo_u32 v0, v3, s85
	v_mad_u64_u32 v[8:9], s[26:27], v2, s85, 0
	v_add3_u32 v9, v9, v1, v0
	buffer_load_dword v0, off, s[0:3], s33 offset:424 ; 4-byte Folded Reload
	buffer_load_dword v1, off, s[0:3], s33 offset:428 ; 4-byte Folded Reload
	s_waitcnt vmcnt(0)
	v_add_co_u32_e32 v0, vcc, v5, v0
	buffer_store_dword v0, off, s[0:3], s33 offset:288 ; 4-byte Folded Spill
	buffer_store_dword v5, off, s[0:3], s33 offset:388 ; 4-byte Folded Spill
	s_nop 0
	buffer_store_dword v6, off, s[0:3], s33 offset:392 ; 4-byte Folded Spill
	s_waitcnt vmcnt(3)
	v_addc_co_u32_e32 v0, vcc, v6, v1, vcc
	buffer_store_dword v0, off, s[0:3], s33 offset:292 ; 4-byte Folded Spill
	buffer_load_dword v0, off, s[0:3], s33 offset:356 ; 4-byte Folded Reload
	s_nop 0
	buffer_load_dword v1, off, s[0:3], s33 offset:360 ; 4-byte Folded Reload
	s_waitcnt vmcnt(0)
	v_sub_co_u32_e32 v0, vcc, v0, v8
	s_waitcnt vmcnt(0)
	v_subb_co_u32_e32 v1, vcc, v1, v9, vcc
	v_cmp_lt_i64_e32 vcc, v[2:3], v[0:1]
	v_cndmask_b32_e32 v1, v0, v2, vcc
	v_max_i32_e32 v6, 0, v1
	v_add_u32_e32 v2, 31, v6
	v_lshrrev_b32_e32 v2, 1, v2
	v_and_b32_e32 v2, 0x3ffffff0, v2
	v_cmp_lt_i32_e32 vcc, 0, v1
	v_mov_b32_e32 v0, 0
	v_max_i32_e32 v4, s87, v2
	s_and_b64 s[26:27], s[76:77], vcc
	s_and_saveexec_b64 s[28:29], s[26:27]
	s_cbranch_execz .LBB6_195
; %bb.54:                               ;   in Loop: Header=BB6_47 Depth=1
	s_mov_b32 s44, 1
	s_mov_b64 s[42:43], -1
	v_mov_b32_e32 v7, 0
	s_mov_b64 s[40:41], 0
	s_branch .LBB6_57
.LBB6_55:                               ;   in Loop: Header=BB6_57 Depth=2
	s_or_b64 exec, exec, s[90:91]
	buffer_load_dword v2, off, s[0:3], s33 offset:84 ; 4-byte Folded Reload
	buffer_load_dword v3, off, s[0:3], s33 offset:88 ; 4-byte Folded Reload
	;; [unrolled: 1-line block ×4, first 2 shown]
	s_waitcnt vmcnt(0)
	v_add_co_u32_e32 v2, vcc, 2, v2
	v_addc_co_u32_e32 v3, vcc, 0, v3, vcc
	buffer_store_dword v2, off, s[0:3], s33 offset:84 ; 4-byte Folded Spill
	s_nop 0
	buffer_store_dword v3, off, s[0:3], s33 offset:88 ; 4-byte Folded Spill
	flat_store_dwordx2 v[0:1], v[2:3]
.LBB6_56:                               ;   in Loop: Header=BB6_57 Depth=2
	s_or_b64 exec, exec, s[26:27]
	v_add_u32_e32 v7, v4, v7
	v_cmp_ge_i32_e32 vcc, v7, v6
	s_xor_b64 s[26:27], s[42:43], -1
	s_or_b64 s[26:27], s[26:27], vcc
	s_and_b64 s[26:27], exec, s[26:27]
	s_or_b64 s[40:41], s[26:27], s[40:41]
	s_mov_b64 s[42:43], 0
	v_mov_b32_e32 v0, s44
	s_mov_b32 s44, 2
	s_andn2_b64 exec, exec, s[40:41]
	s_cbranch_execz .LBB6_194
.LBB6_57:                               ;   Parent Loop BB6_47 Depth=1
                                        ; =>  This Loop Header: Depth=2
                                        ;       Child Loop BB6_65 Depth 3
                                        ;       Child Loop BB6_89 Depth 3
	;; [unrolled: 1-line block ×9, first 2 shown]
	s_and_saveexec_b64 s[26:27], s[4:5]
	s_cbranch_execz .LBB6_59
; %bb.58:                               ;   in Loop: Header=BB6_57 Depth=2
	s_trap 2
	buffer_load_dword v2, off, s[0:3], s33 offset:288 ; 4-byte Folded Reload
	ds_read_b64 v[0:1], v0
	v_mov_b32_e32 v20, v21
	s_waitcnt vmcnt(0) lgkmcnt(0)
	v_add_co_u32_e32 v0, vcc, v0, v2
	buffer_load_dword v2, off, s[0:3], s33 offset:292 ; 4-byte Folded Reload
	s_waitcnt vmcnt(0)
	v_addc_co_u32_e32 v1, vcc, v1, v2, vcc
	v_add_co_u32_e32 v0, vcc, v0, v8
	v_addc_co_u32_e32 v1, vcc, v1, v9, vcc
	v_ashrrev_i32_e32 v2, 31, v7
	v_add_co_u32_e32 v0, vcc, v0, v7
	v_addc_co_u32_e32 v1, vcc, v1, v2, vcc
	ds_write_b64 v0, v[0:1]
	ds_write_b64 v0, v[20:21]
.LBB6_59:                               ;   in Loop: Header=BB6_57 Depth=2
	s_or_b64 exec, exec, s[26:27]
	v_sub_u32_e32 v0, v6, v7
	v_min_i32_e32 v4, v4, v0
	buffer_load_dword v0, off, s[0:3], s33 offset:72 ; 4-byte Folded Reload
	s_waitcnt vmcnt(0)
	v_and_b32_e32 v0, 8, v0
	v_cmp_ne_u32_e32 vcc, 0, v0
	s_and_saveexec_b64 s[90:91], vcc
	s_cbranch_execz .LBB6_81
; %bb.60:                               ;   in Loop: Header=BB6_57 Depth=2
	buffer_load_dword v0, off, s[0:3], s33 offset:56 ; 4-byte Folded Reload
	buffer_load_dword v1, off, s[0:3], s33 offset:60 ; 4-byte Folded Reload
	;; [unrolled: 1-line block ×4, first 2 shown]
	s_waitcnt vmcnt(0)
	v_add_co_u32_e32 v0, vcc, 8, v0
	s_waitcnt vmcnt(2)
	v_addc_co_u32_e32 v1, vcc, 0, v1, vcc
	s_waitcnt vmcnt(1)
	v_add_co_u32_e32 v10, vcc, 2, v2
	s_waitcnt vmcnt(0)
	v_addc_co_u32_e32 v11, vcc, 0, v3, vcc
	v_cmp_lt_u64_e32 vcc, v[0:1], v[10:11]
	s_and_saveexec_b64 s[92:93], vcc
	s_cbranch_execz .LBB6_72
; %bb.61:                               ;   in Loop: Header=BB6_57 Depth=2
	buffer_load_dword v0, off, s[0:3], s33 offset:72 ; 4-byte Folded Reload
	s_mov_b32 s45, 0
	s_mov_b64 s[94:95], 0
                                        ; implicit-def: $sgpr30_sgpr31
                                        ; implicit-def: $sgpr34_sgpr35
                                        ; implicit-def: $sgpr36_sgpr37
	s_waitcnt vmcnt(0)
	v_and_b32_e32 v0, 64, v0
	v_cmp_eq_u32_e32 vcc, 0, v0
	s_branch .LBB6_65
.LBB6_62:                               ;   in Loop: Header=BB6_65 Depth=3
	buffer_load_dword v1, off, s[0:3], s33 offset:56 ; 4-byte Folded Reload
	buffer_load_dword v2, off, s[0:3], s33 offset:60 ; 4-byte Folded Reload
	s_or_b64 s[50:51], s[50:51], exec
	s_waitcnt vmcnt(1)
	v_add_co_u32_e64 v1, s[26:27], 8, v1
	s_waitcnt vmcnt(0)
	v_addc_co_u32_e64 v2, s[26:27], 0, v2, s[26:27]
	v_cmp_ge_u64_e64 s[26:27], v[1:2], v[10:11]
	s_orn2_b64 s[48:49], s[26:27], exec
.LBB6_63:                               ;   in Loop: Header=BB6_65 Depth=3
	s_or_b64 exec, exec, s[54:55]
	s_andn2_b64 s[26:27], s[36:37], exec
	s_and_b64 s[36:37], s[50:51], exec
	s_or_b64 s[36:37], s[26:27], s[36:37]
	s_andn2_b64 s[26:27], s[34:35], exec
	s_and_b64 s[34:35], s[48:49], exec
	s_or_b64 s[34:35], s[26:27], s[34:35]
.LBB6_64:                               ;   in Loop: Header=BB6_65 Depth=3
	s_or_b64 exec, exec, s[38:39]
	s_and_b64 s[26:27], exec, s[34:35]
	s_or_b64 s[94:95], s[26:27], s[94:95]
	s_andn2_b64 s[26:27], s[30:31], exec
	s_and_b64 s[30:31], s[36:37], exec
	s_or_b64 s[30:31], s[26:27], s[30:31]
	s_andn2_b64 exec, exec, s[94:95]
	s_cbranch_execz .LBB6_69
.LBB6_65:                               ;   Parent Loop BB6_47 Depth=1
                                        ;     Parent Loop BB6_57 Depth=2
                                        ; =>    This Inner Loop Header: Depth=3
	s_sleep 1
	buffer_load_dword v0, off, s[0:3], s33 offset:64 ; 4-byte Folded Reload
	buffer_load_dword v1, off, s[0:3], s33 offset:68 ; 4-byte Folded Reload
	s_or_b64 s[36:37], s[36:37], exec
	s_or_b64 s[34:35], s[34:35], exec
	s_waitcnt vmcnt(0)
	flat_load_dwordx2 v[0:1], v[0:1] glc
	s_waitcnt vmcnt(0) lgkmcnt(0)
	buffer_store_dword v0, off, s[0:3], s33 offset:56 ; 4-byte Folded Spill
	s_nop 0
	buffer_store_dword v1, off, s[0:3], s33 offset:60 ; 4-byte Folded Spill
                                        ; implicit-def: $vgpr0
	s_and_saveexec_b64 s[38:39], vcc
	s_cbranch_execz .LBB6_64
; %bb.66:                               ;   in Loop: Header=BB6_65 Depth=3
	s_cmpk_lt_i32 s45, 0x270f
	s_cselect_b64 s[52:53], -1, 0
	s_cmpk_gt_i32 s45, 0x270e
	s_mov_b64 s[48:49], -1
	s_cbranch_scc0 .LBB6_68
; %bb.67:                               ;   in Loop: Header=BB6_65 Depth=3
	s_trap 2
	ds_read_b64 v[0:1], v0
	s_andn2_b64 s[52:53], s[52:53], exec
	s_mov_b32 s45, 0
	s_mov_b64 s[50:51], 0
	s_waitcnt vmcnt(0) lgkmcnt(0)
	flat_load_dword v0, v[0:1] glc
	s_waitcnt vmcnt(0) lgkmcnt(0)
	buffer_wbinvl1_vol
	v_cmp_eq_u32_e64 s[26:27], 0, v0
	s_and_b64 s[26:27], s[26:27], exec
	s_or_b64 s[52:53], s[52:53], s[26:27]
	s_and_saveexec_b64 s[54:55], s[52:53]
	s_cbranch_execz .LBB6_63
	s_branch .LBB6_62
.LBB6_68:                               ;   in Loop: Header=BB6_65 Depth=3
	s_add_i32 s45, s45, 1
	s_mov_b64 s[50:51], -1
                                        ; implicit-def: $vgpr0
	s_and_saveexec_b64 s[54:55], s[52:53]
	s_cbranch_execz .LBB6_63
	s_branch .LBB6_62
.LBB6_69:                               ;   in Loop: Header=BB6_57 Depth=2
	s_or_b64 exec, exec, s[94:95]
	s_xor_b64 s[26:27], s[30:31], -1
	s_and_saveexec_b64 s[94:95], s[26:27]
	s_xor_b64 s[26:27], exec, s[94:95]
	s_cbranch_execz .LBB6_71
; %bb.70:                               ;   in Loop: Header=BB6_57 Depth=2
	ds_write_b32 v0, v0
	s_trap 2
	buffer_load_dword v0, off, s[0:3], s33 offset:72 ; 4-byte Folded Reload
	s_waitcnt vmcnt(0)
	v_or_b32_e32 v0, 64, v0
	buffer_store_dword v0, off, s[0:3], s33 offset:72 ; 4-byte Folded Spill
.LBB6_71:                               ;   in Loop: Header=BB6_57 Depth=2
	s_or_b64 exec, exec, s[26:27]
.LBB6_72:                               ;   in Loop: Header=BB6_57 Depth=2
	s_or_b64 exec, exec, s[92:93]
	;;#ASMSTART
	s_wakeup
	;;#ASMEND
	buffer_load_dword v0, off, s[0:3], s33 offset:72 ; 4-byte Folded Reload
	s_mov_b64 s[26:27], -1
	s_waitcnt vmcnt(0)
	v_and_b32_e32 v0, 0x100, v0
	v_cmp_ne_u32_e32 vcc, 0, v0
	buffer_load_dword v0, off, s[0:3], s33 offset:84 ; 4-byte Folded Reload
	buffer_load_dword v1, off, s[0:3], s33 offset:88 ; 4-byte Folded Reload
	s_waitcnt vmcnt(0)
	v_and_b32_e32 v12, 7, v0
                                        ; implicit-def: $vgpr0_vgpr1
	s_and_saveexec_b64 s[92:93], vcc
	s_cbranch_execz .LBB6_76
; %bb.73:                               ;   in Loop: Header=BB6_57 Depth=2
	buffer_load_dword v0, off, s[0:3], s33 offset:212 ; 4-byte Folded Reload
	buffer_load_dword v1, off, s[0:3], s33 offset:216 ; 4-byte Folded Reload
	;; [unrolled: 1-line block ×4, first 2 shown]
	v_ashrrev_i32_e32 v5, 31, v4
	s_waitcnt vmcnt(0)
	v_mad_u64_u32 v[2:3], s[26:27], v12, 24, v[0:1]
	flat_load_dword v0, v[2:3]
	s_nop 0
	flat_store_dwordx2 v[2:3], v[4:5] offset:8
	s_waitcnt vmcnt(0) lgkmcnt(0)
	v_cmp_ne_u32_e32 vcc, 1, v0
	v_cmp_eq_u32_e64 s[26:27], 1, v0
                                        ; implicit-def: $vgpr0_vgpr1
	s_and_saveexec_b64 s[94:95], s[26:27]
	s_cbranch_execz .LBB6_75
; %bb.74:                               ;   in Loop: Header=BB6_57 Depth=2
	flat_load_dword v0, v[2:3] offset:4 glc
	s_waitcnt vmcnt(0) lgkmcnt(0)
	v_ashrrev_i32_e32 v1, 31, v0
.LBB6_75:                               ;   in Loop: Header=BB6_57 Depth=2
	s_or_b64 exec, exec, s[94:95]
	s_orn2_b64 s[26:27], vcc, exec
.LBB6_76:                               ;   in Loop: Header=BB6_57 Depth=2
	s_or_b64 exec, exec, s[92:93]
	s_and_saveexec_b64 s[92:93], s[26:27]
	s_cbranch_execz .LBB6_78
; %bb.77:                               ;   in Loop: Header=BB6_57 Depth=2
	buffer_load_dword v0, off, s[0:3], s33 offset:244 ; 4-byte Folded Reload
	s_waitcnt vmcnt(0)
	v_mad_i64_i32 v[0:1], s[26:27], v12, v0, 0
.LBB6_78:                               ;   in Loop: Header=BB6_57 Depth=2
	s_or_b64 exec, exec, s[92:93]
	buffer_load_dword v2, off, s[0:3], s33 offset:204 ; 4-byte Folded Reload
	buffer_load_dword v3, off, s[0:3], s33 offset:208 ; 4-byte Folded Reload
	s_waitcnt vmcnt(0)
	v_add_co_u32_e32 v0, vcc, v2, v0
	s_waitcnt vmcnt(0)
	v_addc_co_u32_e32 v1, vcc, v3, v1, vcc
	ds_write_b64 v0, v[0:1] offset:784
	buffer_load_dword v0, off, s[0:3], s33 offset:72 ; 4-byte Folded Reload
	s_waitcnt vmcnt(0)
	v_and_b32_e32 v0, 0x2000, v0
	v_cmp_ne_u32_e32 vcc, 0, v0
	s_and_saveexec_b64 s[26:27], vcc
	s_cbranch_execz .LBB6_80
; %bb.79:                               ;   in Loop: Header=BB6_57 Depth=2
	ds_read_b64 v[0:1], v0 offset:872
	s_waitcnt lgkmcnt(0)
	v_add_co_u32_e32 v0, vcc, 1, v0
	v_addc_co_u32_e32 v1, vcc, 0, v1, vcc
	ds_write_b64 v0, v[0:1] offset:872
.LBB6_80:                               ;   in Loop: Header=BB6_57 Depth=2
	s_or_b64 exec, exec, s[26:27]
	buffer_store_dword v10, off, s[0:3], s33 offset:84 ; 4-byte Folded Spill
	s_nop 0
	buffer_store_dword v11, off, s[0:3], s33 offset:88 ; 4-byte Folded Spill
.LBB6_81:                               ;   in Loop: Header=BB6_57 Depth=2
	s_or_b64 exec, exec, s[90:91]
	s_and_saveexec_b64 s[26:27], s[10:11]
	s_cbranch_execz .LBB6_100
; %bb.82:                               ;   in Loop: Header=BB6_57 Depth=2
	s_and_saveexec_b64 s[90:91], s[58:59]
	s_xor_b64 s[90:91], exec, s[90:91]
	s_cbranch_execz .LBB6_97
; %bb.83:                               ;   in Loop: Header=BB6_57 Depth=2
	s_and_saveexec_b64 s[92:93], s[16:17]
	s_cbranch_execz .LBB6_96
; %bb.84:                               ;   in Loop: Header=BB6_57 Depth=2
	s_mov_b64 s[30:31], exec
	v_mbcnt_lo_u32_b32 v0, s30, 0
	v_mbcnt_hi_u32_b32 v0, s31, v0
	v_cmp_eq_u32_e32 vcc, 0, v0
	s_waitcnt vmcnt(0) lgkmcnt(0)
	buffer_wbinvl1_vol
	s_and_saveexec_b64 s[94:95], vcc
	s_cbranch_execz .LBB6_86
; %bb.85:                               ;   in Loop: Header=BB6_57 Depth=2
	s_bcnt1_i32_b64 s9, s[30:31]
	v_mov_b32_e32 v20, s9
	ds_add_u64 v0, v[20:21]
	s_trap 2
.LBB6_86:                               ;   in Loop: Header=BB6_57 Depth=2
	s_or_b64 exec, exec, s[94:95]
	s_trap 2
	ds_read_b64 v[0:1], v0
	s_waitcnt lgkmcnt(0)
	buffer_load_dword v2, off, s[0:3], s33 offset:76 ; 4-byte Folded Reload
	buffer_load_dword v3, off, s[0:3], s33 offset:80 ; 4-byte Folded Reload
	s_waitcnt vmcnt(1)
	v_add_co_u32_e32 v2, vcc, v2, v49
	s_waitcnt vmcnt(0)
	v_addc_co_u32_e32 v3, vcc, 0, v3, vcc
	buffer_store_dword v2, off, s[0:3], s33 offset:76 ; 4-byte Folded Spill
	s_nop 0
	buffer_store_dword v3, off, s[0:3], s33 offset:80 ; 4-byte Folded Spill
	v_cmp_lt_u64_e32 vcc, v[0:1], v[2:3]
	s_and_saveexec_b64 s[94:95], vcc
	s_cbranch_execz .LBB6_95
; %bb.87:                               ;   in Loop: Header=BB6_57 Depth=2
	s_mov_b32 s9, 0
	s_mov_b64 s[30:31], 0
                                        ; implicit-def: $sgpr34_sgpr35
                                        ; implicit-def: $sgpr36_sgpr37
	s_branch .LBB6_89
.LBB6_88:                               ;   in Loop: Header=BB6_89 Depth=3
	s_or_b64 exec, exec, s[48:49]
	s_and_b64 vcc, exec, vcc
	s_or_b64 s[30:31], vcc, s[30:31]
	s_andn2_b64 vcc, s[34:35], exec
	s_and_b64 s[34:35], s[36:37], exec
	s_or_b64 s[34:35], vcc, s[34:35]
	s_andn2_b64 exec, exec, s[30:31]
	s_cbranch_execz .LBB6_93
.LBB6_89:                               ;   Parent Loop BB6_47 Depth=1
                                        ;     Parent Loop BB6_57 Depth=2
                                        ; =>    This Inner Loop Header: Depth=3
	s_add_i32 s9, s9, 1
	s_cmpk_lg_i32 s9, 0x2710
	s_cselect_b64 s[38:39], -1, 0
	s_and_b64 vcc, exec, s[38:39]
	s_cbranch_vccz .LBB6_91
; %bb.90:                               ;   in Loop: Header=BB6_89 Depth=3
	s_mov_b64 vcc, -1
	s_or_b64 s[36:37], s[36:37], exec
	s_and_saveexec_b64 s[48:49], s[38:39]
	s_cbranch_execz .LBB6_88
	s_branch .LBB6_92
.LBB6_91:                               ;   in Loop: Header=BB6_89 Depth=3
	s_trap 2
	ds_read_b64 v[0:1], v0
	s_andn2_b64 s[38:39], s[38:39], exec
	s_mov_b32 s9, 0
	s_waitcnt vmcnt(0) lgkmcnt(0)
	flat_load_dword v0, v[0:1] glc
	s_waitcnt vmcnt(0) lgkmcnt(0)
	buffer_wbinvl1_vol
	v_cmp_eq_u32_e32 vcc, 0, v0
	s_and_b64 vcc, vcc, exec
	s_or_b64 s[38:39], s[38:39], vcc
	s_mov_b64 vcc, -1
	s_or_b64 s[36:37], s[36:37], exec
	s_and_saveexec_b64 s[48:49], s[38:39]
	s_cbranch_execz .LBB6_88
.LBB6_92:                               ;   in Loop: Header=BB6_89 Depth=3
	s_sleep 1
	s_trap 2
	ds_read_b64 v[0:1], v0
	s_waitcnt lgkmcnt(0)
	buffer_load_dword v2, off, s[0:3], s33 offset:76 ; 4-byte Folded Reload
	buffer_load_dword v3, off, s[0:3], s33 offset:80 ; 4-byte Folded Reload
	s_andn2_b64 s[36:37], s[36:37], exec
	s_waitcnt vmcnt(0)
	v_cmp_ge_u64_e32 vcc, v[0:1], v[2:3]
	s_orn2_b64 vcc, vcc, exec
	s_branch .LBB6_88
.LBB6_93:                               ;   in Loop: Header=BB6_57 Depth=2
	s_or_b64 exec, exec, s[30:31]
	s_and_saveexec_b64 vcc, s[34:35]
	s_xor_b64 vcc, exec, vcc
	s_cbranch_execz .LBB6_95
; %bb.94:                               ;   in Loop: Header=BB6_57 Depth=2
	v_mov_b32_e32 v0, 1
	ds_write_b32 v0, v0
	s_trap 2
.LBB6_95:                               ;   in Loop: Header=BB6_57 Depth=2
	s_or_b64 exec, exec, s[94:95]
	;;#ASMSTART
	s_wakeup
	;;#ASMEND
.LBB6_96:                               ;   in Loop: Header=BB6_57 Depth=2
	s_or_b64 exec, exec, s[92:93]
.LBB6_97:                               ;   in Loop: Header=BB6_57 Depth=2
	s_andn2_saveexec_b64 s[90:91], s[90:91]
	s_cbranch_execz .LBB6_99
; %bb.98:                               ;   in Loop: Header=BB6_57 Depth=2
	s_waitcnt vmcnt(0) lgkmcnt(0)
	buffer_wbinvl1_vol
	s_barrier
.LBB6_99:                               ;   in Loop: Header=BB6_57 Depth=2
	s_or_b64 exec, exec, s[90:91]
.LBB6_100:                              ;   in Loop: Header=BB6_57 Depth=2
	s_or_b64 exec, exec, s[26:27]
	s_trap 2
	buffer_load_dword v1, off, s[0:3], s33 offset:72 ; 4-byte Folded Reload
	ds_read_b32 v0, v0
	s_xor_b64 s[26:27], s[6:7], -1
	s_waitcnt vmcnt(0)
	v_and_b32_e32 v1, 0x4000, v1
	v_cmp_ne_u32_e32 vcc, 0, v1
	s_and_b64 s[90:91], s[26:27], vcc
	s_and_saveexec_b64 s[26:27], s[90:91]
	s_cbranch_execz .LBB6_119
; %bb.101:                              ;   in Loop: Header=BB6_57 Depth=2
	s_and_saveexec_b64 s[90:91], s[58:59]
	s_xor_b64 s[90:91], exec, s[90:91]
	s_cbranch_execz .LBB6_116
; %bb.102:                              ;   in Loop: Header=BB6_57 Depth=2
	s_and_saveexec_b64 s[92:93], s[16:17]
	s_cbranch_execz .LBB6_115
; %bb.103:                              ;   in Loop: Header=BB6_57 Depth=2
	s_mov_b64 s[30:31], exec
	v_mbcnt_lo_u32_b32 v1, s30, 0
	v_mbcnt_hi_u32_b32 v1, s31, v1
	v_cmp_eq_u32_e32 vcc, 0, v1
	s_waitcnt lgkmcnt(0)
	buffer_wbinvl1_vol
	s_and_saveexec_b64 s[94:95], vcc
	s_cbranch_execz .LBB6_105
; %bb.104:                              ;   in Loop: Header=BB6_57 Depth=2
	s_bcnt1_i32_b64 s9, s[30:31]
	v_mov_b32_e32 v20, s9
	ds_add_u64 v0, v[20:21]
	s_trap 2
.LBB6_105:                              ;   in Loop: Header=BB6_57 Depth=2
	s_or_b64 exec, exec, s[94:95]
	s_trap 2
	ds_read_b64 v[1:2], v0
	s_waitcnt lgkmcnt(0)
	buffer_load_dword v10, off, s[0:3], s33 offset:76 ; 4-byte Folded Reload
	buffer_load_dword v11, off, s[0:3], s33 offset:80 ; 4-byte Folded Reload
	s_waitcnt vmcnt(1)
	v_add_co_u32_e32 v10, vcc, v10, v49
	s_waitcnt vmcnt(0)
	v_addc_co_u32_e32 v11, vcc, 0, v11, vcc
	buffer_store_dword v10, off, s[0:3], s33 offset:76 ; 4-byte Folded Spill
	s_nop 0
	buffer_store_dword v11, off, s[0:3], s33 offset:80 ; 4-byte Folded Spill
	v_cmp_lt_u64_e32 vcc, v[1:2], v[10:11]
	s_and_saveexec_b64 s[94:95], vcc
	s_cbranch_execz .LBB6_114
; %bb.106:                              ;   in Loop: Header=BB6_57 Depth=2
	s_mov_b32 s9, 0
	s_mov_b64 s[30:31], 0
                                        ; implicit-def: $sgpr34_sgpr35
                                        ; implicit-def: $sgpr36_sgpr37
	s_branch .LBB6_108
.LBB6_107:                              ;   in Loop: Header=BB6_108 Depth=3
	s_or_b64 exec, exec, s[48:49]
	s_and_b64 vcc, exec, vcc
	s_or_b64 s[30:31], vcc, s[30:31]
	s_andn2_b64 vcc, s[34:35], exec
	s_and_b64 s[34:35], s[36:37], exec
	s_or_b64 s[34:35], vcc, s[34:35]
	s_andn2_b64 exec, exec, s[30:31]
	s_cbranch_execz .LBB6_112
.LBB6_108:                              ;   Parent Loop BB6_47 Depth=1
                                        ;     Parent Loop BB6_57 Depth=2
                                        ; =>    This Inner Loop Header: Depth=3
	s_add_i32 s9, s9, 1
	s_cmpk_lg_i32 s9, 0x2710
	s_cselect_b64 s[38:39], -1, 0
	s_and_b64 vcc, exec, s[38:39]
	s_cbranch_vccz .LBB6_110
; %bb.109:                              ;   in Loop: Header=BB6_108 Depth=3
	s_mov_b64 vcc, -1
	s_or_b64 s[36:37], s[36:37], exec
	s_and_saveexec_b64 s[48:49], s[38:39]
	s_cbranch_execz .LBB6_107
	s_branch .LBB6_111
.LBB6_110:                              ;   in Loop: Header=BB6_108 Depth=3
	s_trap 2
	ds_read_b64 v[1:2], v0
	s_andn2_b64 s[38:39], s[38:39], exec
	s_mov_b32 s9, 0
	s_waitcnt vmcnt(0) lgkmcnt(0)
	flat_load_dword v1, v[1:2] glc
	s_waitcnt vmcnt(0) lgkmcnt(0)
	buffer_wbinvl1_vol
	v_cmp_eq_u32_e32 vcc, 0, v1
	s_and_b64 vcc, vcc, exec
	s_or_b64 s[38:39], s[38:39], vcc
	s_mov_b64 vcc, -1
	s_or_b64 s[36:37], s[36:37], exec
	s_and_saveexec_b64 s[48:49], s[38:39]
	s_cbranch_execz .LBB6_107
.LBB6_111:                              ;   in Loop: Header=BB6_108 Depth=3
	s_sleep 1
	s_trap 2
	ds_read_b64 v[1:2], v0
	s_waitcnt lgkmcnt(0)
	buffer_load_dword v10, off, s[0:3], s33 offset:76 ; 4-byte Folded Reload
	buffer_load_dword v11, off, s[0:3], s33 offset:80 ; 4-byte Folded Reload
	s_andn2_b64 s[36:37], s[36:37], exec
	s_waitcnt vmcnt(0)
	v_cmp_ge_u64_e32 vcc, v[1:2], v[10:11]
	s_orn2_b64 vcc, vcc, exec
	s_branch .LBB6_107
.LBB6_112:                              ;   in Loop: Header=BB6_57 Depth=2
	s_or_b64 exec, exec, s[30:31]
	s_and_saveexec_b64 vcc, s[34:35]
	s_xor_b64 vcc, exec, vcc
	s_cbranch_execz .LBB6_114
; %bb.113:                              ;   in Loop: Header=BB6_57 Depth=2
	v_mov_b32_e32 v1, 1
	ds_write_b32 v0, v1
	s_trap 2
.LBB6_114:                              ;   in Loop: Header=BB6_57 Depth=2
	s_or_b64 exec, exec, s[94:95]
	;;#ASMSTART
	s_wakeup
	;;#ASMEND
.LBB6_115:                              ;   in Loop: Header=BB6_57 Depth=2
	s_or_b64 exec, exec, s[92:93]
.LBB6_116:                              ;   in Loop: Header=BB6_57 Depth=2
	s_andn2_saveexec_b64 s[90:91], s[90:91]
	s_cbranch_execz .LBB6_118
; %bb.117:                              ;   in Loop: Header=BB6_57 Depth=2
	s_waitcnt vmcnt(0) lgkmcnt(0)
	buffer_wbinvl1_vol
	s_barrier
.LBB6_118:                              ;   in Loop: Header=BB6_57 Depth=2
	s_or_b64 exec, exec, s[90:91]
.LBB6_119:                              ;   in Loop: Header=BB6_57 Depth=2
	s_or_b64 exec, exec, s[26:27]
	s_trap 2
	s_waitcnt lgkmcnt(0)
	ds_read_b64 v[10:11], v0
	s_waitcnt lgkmcnt(0)
	v_cmp_eq_u64_e32 vcc, 0, v[10:11]
	s_cbranch_vccnz .LBB6_127
; %bb.120:                              ;   in Loop: Header=BB6_57 Depth=2
	s_trap 2
	ds_read_b64 v[12:13], v0
	s_waitcnt lgkmcnt(0)
	v_cmp_eq_u64_e32 vcc, 0, v[12:13]
	s_cbranch_vccnz .LBB6_127
; %bb.121:                              ;   in Loop: Header=BB6_57 Depth=2
	s_mov_b64 s[26:27], -1
	s_and_saveexec_b64 s[90:91], s[18:19]
	s_cbranch_execz .LBB6_123
; %bb.122:                              ;   in Loop: Header=BB6_57 Depth=2
	ds_read_b32 v1, v0 offset:720
	s_waitcnt lgkmcnt(0)
	v_and_b32_e32 v1, 15, v1
	v_cmp_eq_u32_e32 vcc, 0, v1
	s_orn2_b64 s[26:27], vcc, exec
.LBB6_123:                              ;   in Loop: Header=BB6_57 Depth=2
	s_or_b64 exec, exec, s[90:91]
	s_and_saveexec_b64 s[90:91], s[20:21]
	s_cbranch_execz .LBB6_125
; %bb.124:                              ;   in Loop: Header=BB6_57 Depth=2
	ds_read_b32 v1, v0 offset:784
	s_waitcnt lgkmcnt(0)
	v_and_b32_e32 v1, 15, v1
	v_cmp_eq_u32_e32 vcc, 0, v1
	s_and_b64 s[92:93], s[26:27], vcc
	s_andn2_b64 s[26:27], s[26:27], exec
	s_and_b64 s[92:93], s[92:93], exec
	s_or_b64 s[26:27], s[26:27], s[92:93]
.LBB6_125:                              ;   in Loop: Header=BB6_57 Depth=2
	s_or_b64 exec, exec, s[90:91]
	buffer_load_dword v3, off, s[0:3], s33 offset:268 ; 4-byte Folded Reload
	buffer_load_dword v16, off, s[0:3], s33 offset:240 ; 4-byte Folded Reload
	v_cmp_eq_u32_e32 vcc, 0, v0
	s_xor_b64 s[26:27], s[26:27], -1
	v_cndmask_b32_e32 v2, 0, v4, vcc
	v_cndmask_b32_e64 v0, 0, 1, s[26:27]
	s_mov_b64 s[92:93], -1
	v_cmp_ne_u32_e32 vcc, 0, v0
	v_mov_b32_e32 v0, 0
	v_mov_b32_e32 v1, v2
	s_cbranch_vccz .LBB6_133
; %bb.126:                              ;   in Loop: Header=BB6_57 Depth=2
	s_and_saveexec_b64 s[26:27], s[92:93]
	s_cbranch_execnz .LBB6_146
	s_branch .LBB6_154
.LBB6_127:                              ;   in Loop: Header=BB6_57 Depth=2
	s_mov_b64 s[26:27], 0
	s_and_saveexec_b64 s[90:91], s[10:11]
	s_cbranch_execnz .LBB6_155
.LBB6_128:                              ;   in Loop: Header=BB6_57 Depth=2
	s_or_b64 exec, exec, s[90:91]
                                        ; implicit-def: $vgpr0
	s_and_saveexec_b64 s[90:91], s[24:25]
	s_xor_b64 s[90:91], exec, s[90:91]
	s_cbranch_execz .LBB6_173
.LBB6_129:                              ;   in Loop: Header=BB6_57 Depth=2
	buffer_load_dword v1, off, s[0:3], s33 offset:72 ; 4-byte Folded Reload
	s_waitcnt vmcnt(0)
	v_and_b32_e32 v0, 16, v1
	v_and_b32_e32 v1, 16, v1
	v_cmp_ne_u32_e32 vcc, 0, v1
	s_and_b64 s[92:93], vcc, s[26:27]
	s_and_saveexec_b64 s[26:27], s[92:93]
	s_cbranch_execz .LBB6_131
; %bb.130:                              ;   in Loop: Header=BB6_57 Depth=2
	v_mov_b32_e32 v0, 1
	s_waitcnt lgkmcnt(0)
	buffer_wbinvl1_vol
.LBB6_131:                              ;   in Loop: Header=BB6_57 Depth=2
	s_or_b64 exec, exec, s[26:27]
	s_andn2_saveexec_b64 s[26:27], s[90:91]
	s_cbranch_execnz .LBB6_174
.LBB6_132:                              ;   in Loop: Header=BB6_57 Depth=2
	s_or_b64 exec, exec, s[26:27]
	v_cmp_ne_u32_e32 vcc, 0, v0
	s_and_saveexec_b64 s[26:27], vcc
	s_cbranch_execz .LBB6_56
	s_branch .LBB6_192
.LBB6_133:                              ;   in Loop: Header=BB6_57 Depth=2
	buffer_load_dword v1, off, s[0:3], s33 offset:240 ; 4-byte Folded Reload
	v_ashrrev_i32_e32 v0, 31, v2
	v_lshrrev_b32_e32 v0, 19, v0
	v_add_u32_e32 v0, v2, v0
	v_ashrrev_i32_e32 v0, 13, v0
	s_waitcnt vmcnt(0)
	v_sub_u32_e32 v5, v0, v1
	v_cmp_lt_i32_e32 vcc, 0, v5
	s_and_saveexec_b64 s[90:91], vcc
	s_cbranch_execz .LBB6_137
; %bb.134:                              ;   in Loop: Header=BB6_57 Depth=2
	buffer_load_dword v3, off, s[0:3], s33 offset:372 ; 4-byte Folded Reload
	buffer_load_dword v20, off, s[0:3], s33 offset:376 ; 4-byte Folded Reload
	buffer_load_dword v57, off, s[0:3], s33 offset:380 ; 4-byte Folded Reload
	v_mov_b32_e32 v15, v13
	v_mov_b32_e32 v17, v11
	s_mov_b64 s[92:93], 0
	v_mov_b32_e32 v14, v12
	v_mov_b32_e32 v16, v10
	;; [unrolled: 1-line block ×3, first 2 shown]
.LBB6_135:                              ;   Parent Loop BB6_47 Depth=1
                                        ;     Parent Loop BB6_57 Depth=2
                                        ; =>    This Inner Loop Header: Depth=3
	s_waitcnt vmcnt(1)
	v_add_co_u32_e32 v18, vcc, v20, v16
	s_waitcnt vmcnt(0)
	v_addc_co_u32_e32 v19, vcc, v57, v17, vcc
	global_load_dwordx4 v[22:25], v[18:19], off glc slc
	global_load_dwordx4 v[26:29], v[18:19], off offset:1024 glc slc
	global_load_dwordx4 v[30:33], v[18:19], off offset:2048 glc slc
	;; [unrolled: 1-line block ×3, first 2 shown]
	v_add_co_u32_e32 v18, vcc, s70, v18
	v_addc_co_u32_e32 v19, vcc, 0, v19, vcc
	global_load_dwordx4 v[48:51], v[18:19], off glc slc
	global_load_dwordx4 v[52:55], v[18:19], off offset:1024 glc slc
	global_load_dwordx4 v[38:41], v[18:19], off offset:2048 glc slc
	;; [unrolled: 1-line block ×3, first 2 shown]
	v_add_co_u32_e32 v18, vcc, v20, v14
	v_addc_co_u32_e32 v19, vcc, v57, v15, vcc
	v_add_co_u32_e32 v16, vcc, v16, v3
	v_addc_co_u32_e32 v17, vcc, 0, v17, vcc
	v_sub_u32_e32 v5, v5, v1
	v_add_co_u32_e32 v14, vcc, v14, v3
	v_addc_co_u32_e32 v15, vcc, 0, v15, vcc
	v_cmp_gt_i32_e64 s[26:27], 1, v5
	v_add_co_u32_e32 v46, vcc, s70, v18
	s_or_b64 s[92:93], s[26:27], s[92:93]
	v_addc_co_u32_e32 v47, vcc, 0, v19, vcc
	s_waitcnt vmcnt(7)
	global_store_dwordx4 v[18:19], v[22:25], off glc slc
	s_waitcnt vmcnt(7)
	global_store_dwordx4 v[18:19], v[26:29], off offset:1024 glc slc
	s_waitcnt vmcnt(7)
	global_store_dwordx4 v[18:19], v[30:33], off offset:2048 glc slc
	;; [unrolled: 2-line block ×3, first 2 shown]
	s_waitcnt vmcnt(7)
	global_store_dwordx4 v[46:47], v[48:51], off glc slc
	s_waitcnt vmcnt(7)
	global_store_dwordx4 v[46:47], v[52:55], off offset:1024 glc slc
	s_waitcnt vmcnt(7)
	global_store_dwordx4 v[46:47], v[38:41], off offset:2048 glc slc
	;; [unrolled: 2-line block ×3, first 2 shown]
	s_andn2_b64 exec, exec, s[92:93]
	s_cbranch_execnz .LBB6_135
; %bb.136:                              ;   in Loop: Header=BB6_57 Depth=2
	s_or_b64 exec, exec, s[92:93]
	v_mov_b32_e32 v49, v1
.LBB6_137:                              ;   in Loop: Header=BB6_57 Depth=2
	s_or_b64 exec, exec, s[90:91]
	v_lshlrev_b32_e32 v14, 13, v0
	v_cmp_ne_u32_e32 vcc, v2, v14
	s_mov_b64 s[92:93], 0
	v_mov_b32_e32 v0, 0
                                        ; implicit-def: $vgpr1
                                        ; implicit-def: $vgpr3
                                        ; implicit-def: $vgpr16
	s_and_saveexec_b64 s[90:91], vcc
	s_cbranch_execz .LBB6_145
; %bb.138:                              ;   in Loop: Header=BB6_57 Depth=2
	buffer_load_dword v1, off, s[0:3], s33 offset:332 ; 4-byte Folded Reload
	v_lshlrev_b32_e32 v0, 6, v5
	v_sub_u32_e32 v3, v2, v14
	v_ashrrev_i32_e32 v15, 31, v3
	v_lshrrev_b32_e32 v15, 22, v15
	v_add_u32_e32 v15, v3, v15
	v_ashrrev_i32_e32 v17, 10, v15
	v_and_b32_e32 v15, 0xfffffc00, v15
	v_sub_u32_e32 v18, v3, v15
	v_cmp_lt_i32_e32 vcc, 15, v18
	s_waitcnt vmcnt(0)
	v_sub_u32_e32 v0, v1, v0
	v_ashrrev_i32_e32 v1, 31, v0
	v_lshrrev_b32_e32 v1, 26, v1
	v_add_u32_e32 v1, v0, v1
	v_ashrrev_i32_e32 v16, 6, v1
	v_and_b32_e32 v1, 0xffffffc0, v1
	v_sub_u32_e32 v5, v0, v1
	v_lshlrev_b32_e32 v0, 4, v5
	v_lshl_add_u32 v1, v16, 10, v0
	v_sub_u32_e32 v0, v3, v1
	v_addc_co_u32_e64 v3, s[26:27], 0, v17, vcc
	v_sub_u32_e32 v17, v3, v16
	v_cmp_lt_i32_e64 s[26:27], 15, v0
	s_and_saveexec_b64 s[92:93], s[26:27]
	s_cbranch_execz .LBB6_142
; %bb.139:                              ;   in Loop: Header=BB6_57 Depth=2
	buffer_load_dword v16, off, s[0:3], s33 offset:236 ; 4-byte Folded Reload
	v_add_u32_e32 v1, v1, v14
	v_ashrrev_i32_e32 v3, 31, v1
	s_mov_b64 s[94:95], 0
.LBB6_140:                              ;   Parent Loop BB6_47 Depth=1
                                        ;     Parent Loop BB6_57 Depth=2
                                        ; =>    This Inner Loop Header: Depth=3
	v_add_co_u32_e64 v19, s[26:27], v10, v1
	v_addc_co_u32_e64 v20, s[26:27], v11, v3, s[26:27]
	global_load_dwordx4 v[22:25], v[19:20], off glc slc
	v_add_co_u32_e64 v19, s[26:27], v12, v1
	v_addc_co_u32_e64 v20, s[26:27], v13, v3, s[26:27]
	s_waitcnt vmcnt(1)
	v_add_co_u32_e64 v1, s[26:27], v1, v16
	v_sub_u32_e32 v0, v0, v16
	v_addc_co_u32_e64 v3, s[26:27], 0, v3, s[26:27]
	v_cmp_gt_i32_e64 s[26:27], 16, v0
	v_sub_u32_e32 v17, v17, v49
	s_or_b64 s[94:95], s[26:27], s[94:95]
	s_waitcnt vmcnt(0)
	global_store_dwordx4 v[19:20], v[22:25], off glc slc
	s_andn2_b64 exec, exec, s[94:95]
	s_cbranch_execnz .LBB6_140
; %bb.141:                              ;   in Loop: Header=BB6_57 Depth=2
	s_or_b64 exec, exec, s[94:95]
.LBB6_142:                              ;   in Loop: Header=BB6_57 Depth=2
	s_or_b64 exec, exec, s[92:93]
	v_and_b32_e32 v19, 15, v2
	v_cndmask_b32_e32 v1, v18, v19, vcc
	v_mov_b32_e32 v0, 0
	v_cmp_ne_u32_e64 s[26:27], 0, v1
	s_mov_b64 s[94:95], 0
                                        ; implicit-def: $vgpr3
                                        ; implicit-def: $vgpr16
	s_and_saveexec_b64 s[92:93], s[26:27]
	s_cbranch_execz .LBB6_144
; %bb.143:                              ;   in Loop: Header=BB6_57 Depth=2
	v_sub_u32_e32 v0, v18, v19
	v_cndmask_b32_e32 v0, 0, v0, vcc
	v_cmp_lt_i32_e32 vcc, 0, v17
	v_cndmask_b32_e32 v3, 0, v49, vcc
	v_sub_u32_e32 v3, v3, v17
	v_lshl_add_u32 v3, v3, 6, v5
	v_ashrrev_i32_e32 v5, 31, v3
	v_lshrrev_b32_e32 v5, 26, v5
	v_add_u32_e32 v5, v3, v5
	v_add3_u32 v0, v15, v14, v0
	v_ashrrev_i32_e32 v16, 6, v5
	s_mov_b64 s[94:95], exec
.LBB6_144:                              ;   in Loop: Header=BB6_57 Depth=2
	s_or_b64 exec, exec, s[92:93]
	s_and_b64 s[92:93], s[94:95], exec
.LBB6_145:                              ;   in Loop: Header=BB6_57 Depth=2
	s_or_b64 exec, exec, s[90:91]
	s_and_saveexec_b64 s[26:27], s[92:93]
	s_cbranch_execz .LBB6_154
.LBB6_146:                              ;   in Loop: Header=BB6_57 Depth=2
	v_ashrrev_i32_e32 v5, 31, v1
	v_lshrrev_b32_e32 v5, 21, v5
	v_add_u32_e32 v5, v1, v5
	v_ashrrev_i32_e32 v15, 11, v5
	s_waitcnt vmcnt(0)
	v_sub_u32_e32 v5, v15, v16
	v_ashrrev_i32_e32 v14, 31, v3
	v_cmp_lt_i32_e32 vcc, 0, v5
	v_lshrrev_b32_e32 v14, 26, v14
	s_and_saveexec_b64 s[90:91], vcc
	s_cbranch_execz .LBB6_150
; %bb.147:                              ;   in Loop: Header=BB6_57 Depth=2
	buffer_load_dword v46, off, s[0:3], s33 offset:192 ; 4-byte Folded Reload
	v_add_u32_e32 v17, v3, v14
	v_and_b32_e32 v17, 0xffffffc0, v17
	v_sub_u32_e32 v17, v3, v17
	v_lshlrev_b32_e32 v16, 11, v16
	v_add3_u32 v16, v0, v17, v16
	v_ashrrev_i32_e32 v17, 31, v16
	s_mov_b64 s[92:93], 0
	v_mov_b32_e32 v45, v49
.LBB6_148:                              ;   Parent Loop BB6_47 Depth=1
                                        ;     Parent Loop BB6_57 Depth=2
                                        ; =>    This Inner Loop Header: Depth=3
	v_add_co_u32_e32 v18, vcc, v16, v10
	v_addc_co_u32_e32 v19, vcc, v17, v11, vcc
	flat_load_ubyte v20, v[18:19] glc slc
	flat_load_ubyte v22, v[18:19] offset:64 glc slc
	flat_load_ubyte v23, v[18:19] offset:128 glc slc
	;; [unrolled: 1-line block ×31, first 2 shown]
	v_add_co_u32_e32 v18, vcc, v16, v12
	v_addc_co_u32_e32 v19, vcc, v17, v13, vcc
	s_waitcnt vmcnt(0)
	v_add_co_u32_e32 v10, vcc, v10, v46
	v_addc_co_u32_e32 v11, vcc, 0, v11, vcc
	v_add_co_u32_e32 v12, vcc, v12, v46
	v_sub_u32_e32 v5, v5, v45
	v_addc_co_u32_e32 v13, vcc, 0, v13, vcc
	v_cmp_gt_i32_e32 vcc, 1, v5
	s_or_b64 s[92:93], vcc, s[92:93]
	s_waitcnt lgkmcnt(0)
	flat_store_byte v[18:19], v20 glc slc
	flat_store_byte v[18:19], v22 offset:64 glc slc
	flat_store_byte v[18:19], v23 offset:128 glc slc
	;; [unrolled: 1-line block ×31, first 2 shown]
	s_andn2_b64 exec, exec, s[92:93]
	s_cbranch_execnz .LBB6_148
; %bb.149:                              ;   in Loop: Header=BB6_57 Depth=2
	s_or_b64 exec, exec, s[92:93]
	v_mov_b32_e32 v49, v45
.LBB6_150:                              ;   in Loop: Header=BB6_57 Depth=2
	s_or_b64 exec, exec, s[90:91]
	v_lshlrev_b32_e32 v10, 11, v15
	buffer_load_dword v15, off, s[0:3], s33 offset:196 ; 4-byte Folded Reload
	v_cmp_ne_u32_e32 vcc, v1, v10
	s_and_b64 s[90:91], exec, vcc
	s_mov_b64 exec, s[90:91]
	s_cbranch_execz .LBB6_154
; %bb.151:                              ;   in Loop: Header=BB6_57 Depth=2
	v_add_u32_e32 v11, v3, v14
	v_and_b32_e32 v11, 0xffffffc0, v11
	v_sub_u32_e32 v3, v3, v11
	v_lshlrev_b32_e32 v5, 6, v5
	v_sub_u32_e32 v3, v3, v5
	v_add_u32_e32 v5, v10, v3
	v_sub_u32_e32 v3, v1, v5
	v_cmp_lt_i32_e32 vcc, 0, v3
	s_and_b64 exec, exec, vcc
	s_cbranch_execz .LBB6_154
; %bb.152:                              ;   in Loop: Header=BB6_57 Depth=2
	v_add_u32_e32 v5, v5, v0
	s_trap 2
	ds_read_b64 v[0:1], v0
	v_ashrrev_i32_e32 v10, 31, v5
	s_mov_b64 s[90:91], 0
.LBB6_153:                              ;   Parent Loop BB6_47 Depth=1
                                        ;     Parent Loop BB6_57 Depth=2
                                        ; =>    This Inner Loop Header: Depth=3
	s_waitcnt lgkmcnt(0)
	v_add_co_u32_e32 v11, vcc, v0, v5
	v_addc_co_u32_e32 v12, vcc, v1, v10, vcc
	flat_load_ubyte v13, v[11:12] glc slc
	s_waitcnt vmcnt(0)
	v_add_co_u32_e32 v5, vcc, v5, v15
	v_sub_u32_e32 v3, v3, v15
	v_addc_co_u32_e32 v10, vcc, 0, v10, vcc
	v_cmp_gt_i32_e32 vcc, 1, v3
	s_or_b64 s[90:91], vcc, s[90:91]
	s_waitcnt lgkmcnt(0)
	flat_store_byte v[11:12], v13 glc slc
	s_andn2_b64 exec, exec, s[90:91]
	s_cbranch_execnz .LBB6_153
.LBB6_154:                              ;   in Loop: Header=BB6_57 Depth=2
	s_or_b64 exec, exec, s[26:27]
	v_cmp_lt_i32_e64 s[26:27], 0, v2
	s_and_saveexec_b64 s[90:91], s[10:11]
	s_cbranch_execz .LBB6_128
.LBB6_155:                              ;   in Loop: Header=BB6_57 Depth=2
	s_and_saveexec_b64 s[92:93], s[58:59]
	s_xor_b64 s[92:93], exec, s[92:93]
	s_cbranch_execz .LBB6_170
; %bb.156:                              ;   in Loop: Header=BB6_57 Depth=2
	s_and_saveexec_b64 s[94:95], s[16:17]
	s_cbranch_execz .LBB6_169
; %bb.157:                              ;   in Loop: Header=BB6_57 Depth=2
	s_mov_b64 s[34:35], exec
	v_mbcnt_lo_u32_b32 v0, s34, 0
	v_mbcnt_hi_u32_b32 v0, s35, v0
	v_cmp_eq_u32_e32 vcc, 0, v0
	s_waitcnt vmcnt(0) lgkmcnt(0)
	buffer_wbinvl1_vol
	s_and_saveexec_b64 s[30:31], vcc
	s_cbranch_execz .LBB6_159
; %bb.158:                              ;   in Loop: Header=BB6_57 Depth=2
	s_bcnt1_i32_b64 s9, s[34:35]
	v_mov_b32_e32 v20, s9
	ds_add_u64 v0, v[20:21]
	s_trap 2
.LBB6_159:                              ;   in Loop: Header=BB6_57 Depth=2
	s_or_b64 exec, exec, s[30:31]
	s_trap 2
	ds_read_b64 v[0:1], v0
	s_waitcnt lgkmcnt(0)
	buffer_load_dword v2, off, s[0:3], s33 offset:76 ; 4-byte Folded Reload
	buffer_load_dword v3, off, s[0:3], s33 offset:80 ; 4-byte Folded Reload
	s_waitcnt vmcnt(1)
	v_add_co_u32_e32 v2, vcc, v2, v49
	s_waitcnt vmcnt(0)
	v_addc_co_u32_e32 v3, vcc, 0, v3, vcc
	buffer_store_dword v2, off, s[0:3], s33 offset:76 ; 4-byte Folded Spill
	s_nop 0
	buffer_store_dword v3, off, s[0:3], s33 offset:80 ; 4-byte Folded Spill
	v_cmp_lt_u64_e32 vcc, v[0:1], v[2:3]
	s_and_saveexec_b64 s[30:31], vcc
	s_cbranch_execz .LBB6_168
; %bb.160:                              ;   in Loop: Header=BB6_57 Depth=2
	s_mov_b32 s9, 0
	s_mov_b64 s[34:35], 0
                                        ; implicit-def: $sgpr36_sgpr37
                                        ; implicit-def: $sgpr38_sgpr39
	s_branch .LBB6_162
.LBB6_161:                              ;   in Loop: Header=BB6_162 Depth=3
	s_or_b64 exec, exec, s[50:51]
	s_and_b64 vcc, exec, vcc
	s_or_b64 s[34:35], vcc, s[34:35]
	s_andn2_b64 vcc, s[36:37], exec
	s_and_b64 s[36:37], s[38:39], exec
	s_or_b64 s[36:37], vcc, s[36:37]
	s_andn2_b64 exec, exec, s[34:35]
	s_cbranch_execz .LBB6_166
.LBB6_162:                              ;   Parent Loop BB6_47 Depth=1
                                        ;     Parent Loop BB6_57 Depth=2
                                        ; =>    This Inner Loop Header: Depth=3
	s_add_i32 s9, s9, 1
	s_cmpk_lg_i32 s9, 0x2710
	s_cselect_b64 s[48:49], -1, 0
	s_and_b64 vcc, exec, s[48:49]
	s_cbranch_vccz .LBB6_164
; %bb.163:                              ;   in Loop: Header=BB6_162 Depth=3
	s_mov_b64 vcc, -1
	s_or_b64 s[38:39], s[38:39], exec
	s_and_saveexec_b64 s[50:51], s[48:49]
	s_cbranch_execz .LBB6_161
	s_branch .LBB6_165
.LBB6_164:                              ;   in Loop: Header=BB6_162 Depth=3
	s_trap 2
	ds_read_b64 v[0:1], v0
	s_andn2_b64 s[48:49], s[48:49], exec
	s_mov_b32 s9, 0
	s_waitcnt vmcnt(0) lgkmcnt(0)
	flat_load_dword v0, v[0:1] glc
	s_waitcnt vmcnt(0) lgkmcnt(0)
	buffer_wbinvl1_vol
	v_cmp_eq_u32_e32 vcc, 0, v0
	s_and_b64 vcc, vcc, exec
	s_or_b64 s[48:49], s[48:49], vcc
	s_mov_b64 vcc, -1
	s_or_b64 s[38:39], s[38:39], exec
	s_and_saveexec_b64 s[50:51], s[48:49]
	s_cbranch_execz .LBB6_161
.LBB6_165:                              ;   in Loop: Header=BB6_162 Depth=3
	s_sleep 1
	s_trap 2
	ds_read_b64 v[0:1], v0
	s_waitcnt lgkmcnt(0)
	buffer_load_dword v2, off, s[0:3], s33 offset:76 ; 4-byte Folded Reload
	buffer_load_dword v3, off, s[0:3], s33 offset:80 ; 4-byte Folded Reload
	s_andn2_b64 s[38:39], s[38:39], exec
	s_waitcnt vmcnt(0)
	v_cmp_ge_u64_e32 vcc, v[0:1], v[2:3]
	s_orn2_b64 vcc, vcc, exec
	s_branch .LBB6_161
.LBB6_166:                              ;   in Loop: Header=BB6_57 Depth=2
	s_or_b64 exec, exec, s[34:35]
	s_and_saveexec_b64 vcc, s[36:37]
	s_xor_b64 vcc, exec, vcc
	s_cbranch_execz .LBB6_168
; %bb.167:                              ;   in Loop: Header=BB6_57 Depth=2
	v_mov_b32_e32 v0, 1
	ds_write_b32 v0, v0
	s_trap 2
.LBB6_168:                              ;   in Loop: Header=BB6_57 Depth=2
	s_or_b64 exec, exec, s[30:31]
	;;#ASMSTART
	s_wakeup
	;;#ASMEND
.LBB6_169:                              ;   in Loop: Header=BB6_57 Depth=2
	s_or_b64 exec, exec, s[94:95]
.LBB6_170:                              ;   in Loop: Header=BB6_57 Depth=2
	s_andn2_saveexec_b64 s[92:93], s[92:93]
	s_cbranch_execz .LBB6_172
; %bb.171:                              ;   in Loop: Header=BB6_57 Depth=2
	s_waitcnt vmcnt(0) lgkmcnt(0)
	buffer_wbinvl1_vol
	s_barrier
.LBB6_172:                              ;   in Loop: Header=BB6_57 Depth=2
	s_or_b64 exec, exec, s[92:93]
	s_or_b64 exec, exec, s[90:91]
                                        ; implicit-def: $vgpr0
	s_and_saveexec_b64 s[90:91], s[24:25]
	s_xor_b64 s[90:91], exec, s[90:91]
	s_cbranch_execnz .LBB6_129
.LBB6_173:                              ;   in Loop: Header=BB6_57 Depth=2
	s_andn2_saveexec_b64 s[26:27], s[90:91]
	s_cbranch_execz .LBB6_132
.LBB6_174:                              ;   in Loop: Header=BB6_57 Depth=2
	s_and_saveexec_b64 s[90:91], s[58:59]
	s_xor_b64 s[90:91], exec, s[90:91]
	s_cbranch_execz .LBB6_189
; %bb.175:                              ;   in Loop: Header=BB6_57 Depth=2
	s_and_saveexec_b64 s[92:93], s[16:17]
	s_cbranch_execz .LBB6_188
; %bb.176:                              ;   in Loop: Header=BB6_57 Depth=2
	s_mov_b64 s[30:31], exec
	v_mbcnt_lo_u32_b32 v0, s30, 0
	v_mbcnt_hi_u32_b32 v0, s31, v0
	v_cmp_eq_u32_e32 vcc, 0, v0
	;;#ASMSTART
	s_waitcnt lgkmcnt(0) vmcnt(0)
	;;#ASMEND
	s_and_saveexec_b64 s[94:95], vcc
	s_cbranch_execz .LBB6_178
; %bb.177:                              ;   in Loop: Header=BB6_57 Depth=2
	s_bcnt1_i32_b64 s9, s[30:31]
	v_mov_b32_e32 v20, s9
	s_waitcnt lgkmcnt(0)
	ds_add_u64 v0, v[20:21]
	s_trap 2
.LBB6_178:                              ;   in Loop: Header=BB6_57 Depth=2
	s_or_b64 exec, exec, s[94:95]
	s_trap 2
	ds_read_b64 v[0:1], v0
	s_waitcnt lgkmcnt(0)
	buffer_load_dword v2, off, s[0:3], s33 offset:76 ; 4-byte Folded Reload
	buffer_load_dword v3, off, s[0:3], s33 offset:80 ; 4-byte Folded Reload
	s_waitcnt vmcnt(0)
	v_add_co_u32_e32 v2, vcc, v2, v49
	v_addc_co_u32_e32 v3, vcc, 0, v3, vcc
	buffer_store_dword v2, off, s[0:3], s33 offset:76 ; 4-byte Folded Spill
	s_nop 0
	buffer_store_dword v3, off, s[0:3], s33 offset:80 ; 4-byte Folded Spill
	v_cmp_lt_u64_e32 vcc, v[0:1], v[2:3]
	s_and_saveexec_b64 s[94:95], vcc
	s_cbranch_execz .LBB6_187
; %bb.179:                              ;   in Loop: Header=BB6_57 Depth=2
	s_mov_b32 s9, 0
	s_mov_b64 s[30:31], 0
                                        ; implicit-def: $sgpr34_sgpr35
                                        ; implicit-def: $sgpr36_sgpr37
	s_branch .LBB6_181
.LBB6_180:                              ;   in Loop: Header=BB6_181 Depth=3
	s_or_b64 exec, exec, s[48:49]
	s_and_b64 vcc, exec, vcc
	s_or_b64 s[30:31], vcc, s[30:31]
	s_andn2_b64 vcc, s[34:35], exec
	s_and_b64 s[34:35], s[36:37], exec
	s_or_b64 s[34:35], vcc, s[34:35]
	s_andn2_b64 exec, exec, s[30:31]
	s_cbranch_execz .LBB6_185
.LBB6_181:                              ;   Parent Loop BB6_47 Depth=1
                                        ;     Parent Loop BB6_57 Depth=2
                                        ; =>    This Inner Loop Header: Depth=3
	s_add_i32 s9, s9, 1
	s_cmpk_lg_i32 s9, 0x2710
	s_cselect_b64 s[38:39], -1, 0
	s_and_b64 vcc, exec, s[38:39]
	s_cbranch_vccz .LBB6_183
; %bb.182:                              ;   in Loop: Header=BB6_181 Depth=3
	s_mov_b64 vcc, -1
	s_or_b64 s[36:37], s[36:37], exec
	s_and_saveexec_b64 s[48:49], s[38:39]
	s_cbranch_execz .LBB6_180
	s_branch .LBB6_184
.LBB6_183:                              ;   in Loop: Header=BB6_181 Depth=3
	s_trap 2
	ds_read_b64 v[0:1], v0
	s_andn2_b64 s[38:39], s[38:39], exec
	s_mov_b32 s9, 0
	s_waitcnt vmcnt(0) lgkmcnt(0)
	flat_load_dword v0, v[0:1] glc
	s_waitcnt vmcnt(0) lgkmcnt(0)
	buffer_wbinvl1_vol
	v_cmp_eq_u32_e32 vcc, 0, v0
	s_and_b64 vcc, vcc, exec
	s_or_b64 s[38:39], s[38:39], vcc
	s_mov_b64 vcc, -1
	s_or_b64 s[36:37], s[36:37], exec
	s_and_saveexec_b64 s[48:49], s[38:39]
	s_cbranch_execz .LBB6_180
.LBB6_184:                              ;   in Loop: Header=BB6_181 Depth=3
	s_sleep 1
	s_trap 2
	ds_read_b64 v[0:1], v0
	s_waitcnt lgkmcnt(0)
	buffer_load_dword v2, off, s[0:3], s33 offset:76 ; 4-byte Folded Reload
	buffer_load_dword v3, off, s[0:3], s33 offset:80 ; 4-byte Folded Reload
	s_andn2_b64 s[36:37], s[36:37], exec
	s_waitcnt vmcnt(0)
	v_cmp_ge_u64_e32 vcc, v[0:1], v[2:3]
	s_orn2_b64 vcc, vcc, exec
	s_branch .LBB6_180
.LBB6_185:                              ;   in Loop: Header=BB6_57 Depth=2
	s_or_b64 exec, exec, s[30:31]
	s_and_saveexec_b64 vcc, s[34:35]
	s_xor_b64 vcc, exec, vcc
	s_cbranch_execz .LBB6_187
; %bb.186:                              ;   in Loop: Header=BB6_57 Depth=2
	v_mov_b32_e32 v0, 1
	ds_write_b32 v0, v0
	s_trap 2
.LBB6_187:                              ;   in Loop: Header=BB6_57 Depth=2
	s_or_b64 exec, exec, s[94:95]
	;;#ASMSTART
	s_wakeup
	;;#ASMEND
.LBB6_188:                              ;   in Loop: Header=BB6_57 Depth=2
	s_or_b64 exec, exec, s[92:93]
.LBB6_189:                              ;   in Loop: Header=BB6_57 Depth=2
	s_andn2_saveexec_b64 s[90:91], s[90:91]
	s_cbranch_execz .LBB6_191
; %bb.190:                              ;   in Loop: Header=BB6_57 Depth=2
	;;#ASMSTART
	s_waitcnt lgkmcnt(0) vmcnt(0)
	;;#ASMEND
	s_waitcnt vmcnt(0) lgkmcnt(0)
	s_barrier
.LBB6_191:                              ;   in Loop: Header=BB6_57 Depth=2
	s_or_b64 exec, exec, s[90:91]
	buffer_load_dword v0, off, s[0:3], s33 offset:72 ; 4-byte Folded Reload
	s_waitcnt vmcnt(0)
	v_and_b32_e32 v0, 16, v0
	s_or_b64 exec, exec, s[26:27]
	v_cmp_ne_u32_e32 vcc, 0, v0
	s_and_saveexec_b64 s[26:27], vcc
	s_cbranch_execz .LBB6_56
.LBB6_192:                              ;   in Loop: Header=BB6_57 Depth=2
	s_and_saveexec_b64 s[90:91], s[14:15]
	s_cbranch_execz .LBB6_55
; %bb.193:                              ;   in Loop: Header=BB6_57 Depth=2
	buffer_load_dword v0, off, s[0:3], s33 offset:228 ; 4-byte Folded Reload
	buffer_load_dword v1, off, s[0:3], s33 offset:232 ; 4-byte Folded Reload
	v_mov_b32_e32 v2, 1
	s_waitcnt vmcnt(0)
	flat_store_dword v[0:1], v2
	s_branch .LBB6_55
.LBB6_194:                              ;   in Loop: Header=BB6_47 Depth=1
	s_or_b64 exec, exec, s[40:41]
.LBB6_195:                              ;   in Loop: Header=BB6_47 Depth=1
	s_or_b64 exec, exec, s[28:29]
	v_cmp_gt_i32_e32 vcc, 2, v0
	s_and_saveexec_b64 s[28:29], vcc
	s_cbranch_execz .LBB6_267
; %bb.196:                              ;   in Loop: Header=BB6_47 Depth=1
	v_cmp_eq_u32_e64 s[42:43], 0, v0
	s_mov_b64 s[40:41], 0
	s_branch .LBB6_199
.LBB6_197:                              ;   in Loop: Header=BB6_199 Depth=2
	s_or_b64 exec, exec, s[42:43]
	buffer_load_dword v2, off, s[0:3], s33 offset:84 ; 4-byte Folded Reload
	buffer_load_dword v3, off, s[0:3], s33 offset:88 ; 4-byte Folded Reload
	;; [unrolled: 1-line block ×4, first 2 shown]
	s_waitcnt vmcnt(0)
	v_add_co_u32_e32 v2, vcc, 2, v2
	v_addc_co_u32_e32 v3, vcc, 0, v3, vcc
	buffer_store_dword v2, off, s[0:3], s33 offset:84 ; 4-byte Folded Spill
	s_nop 0
	buffer_store_dword v3, off, s[0:3], s33 offset:88 ; 4-byte Folded Spill
	flat_store_dwordx2 v[0:1], v[2:3]
.LBB6_198:                              ;   in Loop: Header=BB6_199 Depth=2
	s_or_b64 exec, exec, s[26:27]
	v_add_u32_e32 v7, v4, v7
	s_mov_b64 s[42:43], 0
	s_andn2_b64 exec, exec, s[40:41]
	s_cbranch_execz .LBB6_266
.LBB6_199:                              ;   Parent Loop BB6_47 Depth=1
                                        ; =>  This Loop Header: Depth=2
                                        ;       Child Loop BB6_205 Depth 3
                                        ;       Child Loop BB6_229 Depth 3
	;; [unrolled: 1-line block ×3, first 2 shown]
	v_sub_u32_e32 v0, v6, v7
	v_min_i32_e32 v4, v4, v0
	buffer_load_dword v0, off, s[0:3], s33 offset:72 ; 4-byte Folded Reload
	s_waitcnt vmcnt(0)
	v_and_b32_e32 v0, 8, v0
	v_cmp_ne_u32_e32 vcc, 0, v0
	s_and_saveexec_b64 s[90:91], vcc
	s_cbranch_execz .LBB6_221
; %bb.200:                              ;   in Loop: Header=BB6_199 Depth=2
	buffer_load_dword v0, off, s[0:3], s33 offset:56 ; 4-byte Folded Reload
	buffer_load_dword v1, off, s[0:3], s33 offset:60 ; 4-byte Folded Reload
	buffer_load_dword v2, off, s[0:3], s33 offset:84 ; 4-byte Folded Reload
	buffer_load_dword v3, off, s[0:3], s33 offset:88 ; 4-byte Folded Reload
	s_waitcnt vmcnt(0)
	v_add_co_u32_e32 v0, vcc, 8, v0
	v_addc_co_u32_e32 v1, vcc, 0, v1, vcc
	v_add_co_u32_e32 v8, vcc, 2, v2
	v_addc_co_u32_e32 v9, vcc, 0, v3, vcc
	v_cmp_lt_u64_e32 vcc, v[0:1], v[8:9]
	s_and_saveexec_b64 s[92:93], vcc
	s_cbranch_execz .LBB6_212
; %bb.201:                              ;   in Loop: Header=BB6_199 Depth=2
	buffer_load_dword v0, off, s[0:3], s33 offset:72 ; 4-byte Folded Reload
	s_mov_b32 s44, 0
	s_mov_b64 s[94:95], 0
                                        ; implicit-def: $sgpr30_sgpr31
                                        ; implicit-def: $sgpr34_sgpr35
                                        ; implicit-def: $sgpr36_sgpr37
	s_waitcnt vmcnt(0)
	v_and_b32_e32 v0, 64, v0
	v_cmp_eq_u32_e32 vcc, 0, v0
	s_branch .LBB6_205
.LBB6_202:                              ;   in Loop: Header=BB6_205 Depth=3
	buffer_load_dword v1, off, s[0:3], s33 offset:56 ; 4-byte Folded Reload
	buffer_load_dword v2, off, s[0:3], s33 offset:60 ; 4-byte Folded Reload
	s_or_b64 s[50:51], s[50:51], exec
	s_waitcnt vmcnt(1)
	v_add_co_u32_e64 v1, s[26:27], 8, v1
	s_waitcnt vmcnt(0)
	v_addc_co_u32_e64 v2, s[26:27], 0, v2, s[26:27]
	v_cmp_ge_u64_e64 s[26:27], v[1:2], v[8:9]
	s_orn2_b64 s[48:49], s[26:27], exec
.LBB6_203:                              ;   in Loop: Header=BB6_205 Depth=3
	s_or_b64 exec, exec, s[54:55]
	s_andn2_b64 s[26:27], s[36:37], exec
	s_and_b64 s[36:37], s[50:51], exec
	s_or_b64 s[36:37], s[26:27], s[36:37]
	s_andn2_b64 s[26:27], s[34:35], exec
	s_and_b64 s[34:35], s[48:49], exec
	s_or_b64 s[34:35], s[26:27], s[34:35]
.LBB6_204:                              ;   in Loop: Header=BB6_205 Depth=3
	s_or_b64 exec, exec, s[38:39]
	s_and_b64 s[26:27], exec, s[34:35]
	s_or_b64 s[94:95], s[26:27], s[94:95]
	s_andn2_b64 s[26:27], s[30:31], exec
	s_and_b64 s[30:31], s[36:37], exec
	s_or_b64 s[30:31], s[26:27], s[30:31]
	s_andn2_b64 exec, exec, s[94:95]
	s_cbranch_execz .LBB6_209
.LBB6_205:                              ;   Parent Loop BB6_47 Depth=1
                                        ;     Parent Loop BB6_199 Depth=2
                                        ; =>    This Inner Loop Header: Depth=3
	s_sleep 1
	buffer_load_dword v0, off, s[0:3], s33 offset:64 ; 4-byte Folded Reload
	buffer_load_dword v1, off, s[0:3], s33 offset:68 ; 4-byte Folded Reload
	s_or_b64 s[36:37], s[36:37], exec
	s_or_b64 s[34:35], s[34:35], exec
	s_waitcnt vmcnt(0)
	flat_load_dwordx2 v[0:1], v[0:1] glc
	s_waitcnt vmcnt(0) lgkmcnt(0)
	buffer_store_dword v0, off, s[0:3], s33 offset:56 ; 4-byte Folded Spill
	s_nop 0
	buffer_store_dword v1, off, s[0:3], s33 offset:60 ; 4-byte Folded Spill
                                        ; implicit-def: $vgpr0
	s_and_saveexec_b64 s[38:39], vcc
	s_cbranch_execz .LBB6_204
; %bb.206:                              ;   in Loop: Header=BB6_205 Depth=3
	s_cmpk_lt_i32 s44, 0x270f
	s_cselect_b64 s[52:53], -1, 0
	s_cmpk_gt_i32 s44, 0x270e
	s_mov_b64 s[48:49], -1
	s_cbranch_scc0 .LBB6_208
; %bb.207:                              ;   in Loop: Header=BB6_205 Depth=3
	s_trap 2
	ds_read_b64 v[0:1], v0
	s_andn2_b64 s[52:53], s[52:53], exec
	s_mov_b32 s44, 0
	s_mov_b64 s[50:51], 0
	s_waitcnt vmcnt(0) lgkmcnt(0)
	flat_load_dword v0, v[0:1] glc
	s_waitcnt vmcnt(0) lgkmcnt(0)
	buffer_wbinvl1_vol
	v_cmp_eq_u32_e64 s[26:27], 0, v0
	s_and_b64 s[26:27], s[26:27], exec
	s_or_b64 s[52:53], s[52:53], s[26:27]
	s_and_saveexec_b64 s[54:55], s[52:53]
	s_cbranch_execz .LBB6_203
	s_branch .LBB6_202
.LBB6_208:                              ;   in Loop: Header=BB6_205 Depth=3
	s_add_i32 s44, s44, 1
	s_mov_b64 s[50:51], -1
                                        ; implicit-def: $vgpr0
	s_and_saveexec_b64 s[54:55], s[52:53]
	s_cbranch_execz .LBB6_203
	s_branch .LBB6_202
.LBB6_209:                              ;   in Loop: Header=BB6_199 Depth=2
	s_or_b64 exec, exec, s[94:95]
	s_xor_b64 s[26:27], s[30:31], -1
	s_and_saveexec_b64 s[44:45], s[26:27]
	s_xor_b64 s[26:27], exec, s[44:45]
	s_cbranch_execz .LBB6_211
; %bb.210:                              ;   in Loop: Header=BB6_199 Depth=2
	ds_write_b32 v0, v0
	s_trap 2
	buffer_load_dword v0, off, s[0:3], s33 offset:72 ; 4-byte Folded Reload
	s_waitcnt vmcnt(0)
	v_or_b32_e32 v0, 64, v0
	buffer_store_dword v0, off, s[0:3], s33 offset:72 ; 4-byte Folded Spill
.LBB6_211:                              ;   in Loop: Header=BB6_199 Depth=2
	s_or_b64 exec, exec, s[26:27]
.LBB6_212:                              ;   in Loop: Header=BB6_199 Depth=2
	s_or_b64 exec, exec, s[92:93]
	;;#ASMSTART
	s_wakeup
	;;#ASMEND
	buffer_load_dword v0, off, s[0:3], s33 offset:72 ; 4-byte Folded Reload
	s_mov_b64 s[26:27], -1
	s_waitcnt vmcnt(0)
	v_and_b32_e32 v0, 0x100, v0
	v_cmp_ne_u32_e32 vcc, 0, v0
	buffer_load_dword v0, off, s[0:3], s33 offset:84 ; 4-byte Folded Reload
	buffer_load_dword v1, off, s[0:3], s33 offset:88 ; 4-byte Folded Reload
	s_waitcnt vmcnt(0)
	v_and_b32_e32 v10, 7, v0
                                        ; implicit-def: $vgpr0_vgpr1
	s_and_saveexec_b64 s[92:93], vcc
	s_cbranch_execz .LBB6_216
; %bb.213:                              ;   in Loop: Header=BB6_199 Depth=2
	buffer_load_dword v0, off, s[0:3], s33 offset:212 ; 4-byte Folded Reload
	buffer_load_dword v1, off, s[0:3], s33 offset:216 ; 4-byte Folded Reload
	;; [unrolled: 1-line block ×4, first 2 shown]
	v_ashrrev_i32_e32 v5, 31, v4
	s_waitcnt vmcnt(0)
	v_mad_u64_u32 v[2:3], s[26:27], v10, 24, v[0:1]
	flat_load_dword v0, v[2:3]
	s_nop 0
	flat_store_dwordx2 v[2:3], v[4:5] offset:8
	s_waitcnt vmcnt(0) lgkmcnt(0)
	v_cmp_ne_u32_e32 vcc, 1, v0
	v_cmp_eq_u32_e64 s[26:27], 1, v0
                                        ; implicit-def: $vgpr0_vgpr1
	s_and_saveexec_b64 s[94:95], s[26:27]
	s_cbranch_execz .LBB6_215
; %bb.214:                              ;   in Loop: Header=BB6_199 Depth=2
	flat_load_dword v0, v[2:3] offset:4 glc
	s_waitcnt vmcnt(0) lgkmcnt(0)
	v_ashrrev_i32_e32 v1, 31, v0
.LBB6_215:                              ;   in Loop: Header=BB6_199 Depth=2
	s_or_b64 exec, exec, s[94:95]
	s_orn2_b64 s[26:27], vcc, exec
.LBB6_216:                              ;   in Loop: Header=BB6_199 Depth=2
	s_or_b64 exec, exec, s[92:93]
	s_and_saveexec_b64 s[92:93], s[26:27]
	s_cbranch_execz .LBB6_218
; %bb.217:                              ;   in Loop: Header=BB6_199 Depth=2
	buffer_load_dword v0, off, s[0:3], s33 offset:244 ; 4-byte Folded Reload
	s_waitcnt vmcnt(0)
	v_mad_i64_i32 v[0:1], s[26:27], v10, v0, 0
.LBB6_218:                              ;   in Loop: Header=BB6_199 Depth=2
	s_or_b64 exec, exec, s[92:93]
	buffer_load_dword v2, off, s[0:3], s33 offset:204 ; 4-byte Folded Reload
	buffer_load_dword v3, off, s[0:3], s33 offset:208 ; 4-byte Folded Reload
	s_waitcnt vmcnt(0)
	v_add_co_u32_e32 v0, vcc, v2, v0
	v_addc_co_u32_e32 v1, vcc, v3, v1, vcc
	ds_write_b64 v0, v[0:1] offset:784
	buffer_load_dword v0, off, s[0:3], s33 offset:72 ; 4-byte Folded Reload
	s_waitcnt vmcnt(0)
	v_and_b32_e32 v0, 0x2000, v0
	v_cmp_ne_u32_e32 vcc, 0, v0
	s_and_saveexec_b64 s[26:27], vcc
	s_cbranch_execz .LBB6_220
; %bb.219:                              ;   in Loop: Header=BB6_199 Depth=2
	ds_read_b64 v[0:1], v0 offset:872
	s_waitcnt lgkmcnt(0)
	v_add_co_u32_e32 v0, vcc, 1, v0
	v_addc_co_u32_e32 v1, vcc, 0, v1, vcc
	ds_write_b64 v0, v[0:1] offset:872
.LBB6_220:                              ;   in Loop: Header=BB6_199 Depth=2
	s_or_b64 exec, exec, s[26:27]
	buffer_store_dword v8, off, s[0:3], s33 offset:84 ; 4-byte Folded Spill
	s_nop 0
	buffer_store_dword v9, off, s[0:3], s33 offset:88 ; 4-byte Folded Spill
.LBB6_221:                              ;   in Loop: Header=BB6_199 Depth=2
	s_or_b64 exec, exec, s[90:91]
	s_xor_b64 s[26:27], s[42:43], -1
	s_and_b64 s[26:27], exec, s[26:27]
	s_or_b64 s[40:41], s[26:27], s[40:41]
	s_and_saveexec_b64 s[26:27], s[10:11]
	s_cbranch_execz .LBB6_240
; %bb.222:                              ;   in Loop: Header=BB6_199 Depth=2
	s_and_saveexec_b64 s[42:43], s[58:59]
	s_xor_b64 s[42:43], exec, s[42:43]
	s_cbranch_execz .LBB6_237
; %bb.223:                              ;   in Loop: Header=BB6_199 Depth=2
	s_and_saveexec_b64 s[90:91], s[16:17]
	s_cbranch_execz .LBB6_236
; %bb.224:                              ;   in Loop: Header=BB6_199 Depth=2
	s_mov_b64 s[94:95], exec
	v_mbcnt_lo_u32_b32 v0, s94, 0
	v_mbcnt_hi_u32_b32 v0, s95, v0
	v_cmp_eq_u32_e32 vcc, 0, v0
	s_waitcnt vmcnt(0) lgkmcnt(0)
	buffer_wbinvl1_vol
	s_and_saveexec_b64 s[92:93], vcc
	s_cbranch_execz .LBB6_226
; %bb.225:                              ;   in Loop: Header=BB6_199 Depth=2
	s_bcnt1_i32_b64 s9, s[94:95]
	v_mov_b32_e32 v20, s9
	ds_add_u64 v0, v[20:21]
	s_trap 2
.LBB6_226:                              ;   in Loop: Header=BB6_199 Depth=2
	s_or_b64 exec, exec, s[92:93]
	s_trap 2
	ds_read_b64 v[0:1], v0
	s_waitcnt lgkmcnt(0)
	buffer_load_dword v2, off, s[0:3], s33 offset:76 ; 4-byte Folded Reload
	buffer_load_dword v3, off, s[0:3], s33 offset:80 ; 4-byte Folded Reload
	s_waitcnt vmcnt(1)
	v_add_co_u32_e32 v2, vcc, v2, v49
	s_waitcnt vmcnt(0)
	v_addc_co_u32_e32 v3, vcc, 0, v3, vcc
	buffer_store_dword v2, off, s[0:3], s33 offset:76 ; 4-byte Folded Spill
	s_nop 0
	buffer_store_dword v3, off, s[0:3], s33 offset:80 ; 4-byte Folded Spill
	v_cmp_lt_u64_e32 vcc, v[0:1], v[2:3]
	s_and_saveexec_b64 s[92:93], vcc
	s_cbranch_execz .LBB6_235
; %bb.227:                              ;   in Loop: Header=BB6_199 Depth=2
	s_mov_b32 s9, 0
	s_mov_b64 s[94:95], 0
                                        ; implicit-def: $sgpr30_sgpr31
                                        ; implicit-def: $sgpr34_sgpr35
	s_branch .LBB6_229
.LBB6_228:                              ;   in Loop: Header=BB6_229 Depth=3
	s_or_b64 exec, exec, s[38:39]
	s_and_b64 s[44:45], exec, vcc
	s_or_b64 s[94:95], s[44:45], s[94:95]
	s_andn2_b64 s[44:45], s[30:31], exec
	s_and_b64 vcc, s[34:35], exec
	s_or_b64 s[30:31], s[44:45], vcc
	s_andn2_b64 exec, exec, s[94:95]
	s_cbranch_execz .LBB6_233
.LBB6_229:                              ;   Parent Loop BB6_47 Depth=1
                                        ;     Parent Loop BB6_199 Depth=2
                                        ; =>    This Inner Loop Header: Depth=3
	s_add_i32 s9, s9, 1
	s_cmpk_lg_i32 s9, 0x2710
	s_cselect_b64 s[36:37], -1, 0
	s_and_b64 vcc, exec, s[36:37]
	s_cbranch_vccz .LBB6_231
; %bb.230:                              ;   in Loop: Header=BB6_229 Depth=3
	s_mov_b64 vcc, -1
	s_or_b64 s[34:35], s[34:35], exec
	s_and_saveexec_b64 s[38:39], s[36:37]
	s_cbranch_execz .LBB6_228
	s_branch .LBB6_232
.LBB6_231:                              ;   in Loop: Header=BB6_229 Depth=3
	s_trap 2
	ds_read_b64 v[0:1], v0
	s_andn2_b64 s[44:45], s[36:37], exec
	s_mov_b32 s9, 0
	s_waitcnt vmcnt(0) lgkmcnt(0)
	flat_load_dword v0, v[0:1] glc
	s_waitcnt vmcnt(0) lgkmcnt(0)
	buffer_wbinvl1_vol
	v_cmp_eq_u32_e32 vcc, 0, v0
	s_and_b64 vcc, vcc, exec
	s_or_b64 s[36:37], s[44:45], vcc
	s_mov_b64 vcc, -1
	s_or_b64 s[34:35], s[34:35], exec
	s_and_saveexec_b64 s[38:39], s[36:37]
	s_cbranch_execz .LBB6_228
.LBB6_232:                              ;   in Loop: Header=BB6_229 Depth=3
	s_sleep 1
	s_trap 2
	ds_read_b64 v[0:1], v0
	s_waitcnt lgkmcnt(0)
	buffer_load_dword v2, off, s[0:3], s33 offset:76 ; 4-byte Folded Reload
	buffer_load_dword v3, off, s[0:3], s33 offset:80 ; 4-byte Folded Reload
	s_andn2_b64 s[34:35], s[34:35], exec
	s_waitcnt vmcnt(0)
	v_cmp_ge_u64_e32 vcc, v[0:1], v[2:3]
	s_orn2_b64 vcc, vcc, exec
	s_branch .LBB6_228
.LBB6_233:                              ;   in Loop: Header=BB6_199 Depth=2
	s_or_b64 exec, exec, s[94:95]
	s_and_saveexec_b64 s[44:45], s[30:31]
	s_xor_b64 s[44:45], exec, s[44:45]
	s_cbranch_execz .LBB6_235
; %bb.234:                              ;   in Loop: Header=BB6_199 Depth=2
	v_mov_b32_e32 v0, 1
	ds_write_b32 v0, v0
	s_trap 2
.LBB6_235:                              ;   in Loop: Header=BB6_199 Depth=2
	s_or_b64 exec, exec, s[92:93]
	;;#ASMSTART
	s_wakeup
	;;#ASMEND
.LBB6_236:                              ;   in Loop: Header=BB6_199 Depth=2
	s_or_b64 exec, exec, s[90:91]
.LBB6_237:                              ;   in Loop: Header=BB6_199 Depth=2
	s_andn2_saveexec_b64 s[42:43], s[42:43]
	s_cbranch_execz .LBB6_239
; %bb.238:                              ;   in Loop: Header=BB6_199 Depth=2
	s_waitcnt vmcnt(0) lgkmcnt(0)
	buffer_wbinvl1_vol
	s_barrier
.LBB6_239:                              ;   in Loop: Header=BB6_199 Depth=2
	s_or_b64 exec, exec, s[42:43]
.LBB6_240:                              ;   in Loop: Header=BB6_199 Depth=2
	s_or_b64 exec, exec, s[26:27]
                                        ; implicit-def: $vgpr0
	s_and_saveexec_b64 s[26:27], s[24:25]
	s_xor_b64 s[26:27], exec, s[26:27]
	s_cbranch_execz .LBB6_245
; %bb.241:                              ;   in Loop: Header=BB6_199 Depth=2
	s_trap 2
	buffer_load_dword v1, off, s[0:3], s33 offset:72 ; 4-byte Folded Reload
	ds_read_b32 v0, v0
	v_cmp_lt_i32_e32 vcc, 0, v4
	s_waitcnt lgkmcnt(0)
	v_readfirstlane_b32 s9, v0
	s_cmp_eq_u32 s9, 0
	s_cselect_b64 s[42:43], -1, 0
	s_and_b64 s[42:43], vcc, s[42:43]
	s_waitcnt vmcnt(0)
	v_and_b32_e32 v0, 16, v1
	v_and_b32_e32 v1, 16, v1
	v_cmp_ne_u32_e32 vcc, 0, v1
	s_and_b64 s[44:45], vcc, s[42:43]
	s_and_saveexec_b64 s[42:43], s[44:45]
	s_cbranch_execz .LBB6_243
; %bb.242:                              ;   in Loop: Header=BB6_199 Depth=2
	v_mov_b32_e32 v0, 1
	buffer_wbinvl1_vol
.LBB6_243:                              ;   in Loop: Header=BB6_199 Depth=2
	s_or_b64 exec, exec, s[42:43]
	s_andn2_saveexec_b64 s[26:27], s[26:27]
	s_cbranch_execnz .LBB6_246
.LBB6_244:                              ;   in Loop: Header=BB6_199 Depth=2
	s_or_b64 exec, exec, s[26:27]
	v_cmp_ne_u32_e32 vcc, 0, v0
	s_and_saveexec_b64 s[26:27], vcc
	s_cbranch_execz .LBB6_198
	s_branch .LBB6_264
.LBB6_245:                              ;   in Loop: Header=BB6_199 Depth=2
	s_andn2_saveexec_b64 s[26:27], s[26:27]
	s_cbranch_execz .LBB6_244
.LBB6_246:                              ;   in Loop: Header=BB6_199 Depth=2
	s_and_saveexec_b64 s[42:43], s[58:59]
	s_xor_b64 s[42:43], exec, s[42:43]
	s_cbranch_execz .LBB6_261
; %bb.247:                              ;   in Loop: Header=BB6_199 Depth=2
	s_and_saveexec_b64 s[90:91], s[16:17]
	s_cbranch_execz .LBB6_260
; %bb.248:                              ;   in Loop: Header=BB6_199 Depth=2
	s_mov_b64 s[94:95], exec
	v_mbcnt_lo_u32_b32 v0, s94, 0
	v_mbcnt_hi_u32_b32 v0, s95, v0
	v_cmp_eq_u32_e32 vcc, 0, v0
	;;#ASMSTART
	s_waitcnt lgkmcnt(0) vmcnt(0)
	;;#ASMEND
	s_and_saveexec_b64 s[92:93], vcc
	s_cbranch_execz .LBB6_250
; %bb.249:                              ;   in Loop: Header=BB6_199 Depth=2
	s_bcnt1_i32_b64 s9, s[94:95]
	v_mov_b32_e32 v20, s9
	s_waitcnt lgkmcnt(0)
	ds_add_u64 v0, v[20:21]
	s_trap 2
.LBB6_250:                              ;   in Loop: Header=BB6_199 Depth=2
	s_or_b64 exec, exec, s[92:93]
	s_trap 2
	ds_read_b64 v[0:1], v0
	s_waitcnt lgkmcnt(0)
	buffer_load_dword v2, off, s[0:3], s33 offset:76 ; 4-byte Folded Reload
	buffer_load_dword v3, off, s[0:3], s33 offset:80 ; 4-byte Folded Reload
	s_waitcnt vmcnt(1)
	v_add_co_u32_e32 v2, vcc, v2, v49
	s_waitcnt vmcnt(0)
	v_addc_co_u32_e32 v3, vcc, 0, v3, vcc
	buffer_store_dword v2, off, s[0:3], s33 offset:76 ; 4-byte Folded Spill
	s_nop 0
	buffer_store_dword v3, off, s[0:3], s33 offset:80 ; 4-byte Folded Spill
	v_cmp_lt_u64_e32 vcc, v[0:1], v[2:3]
	s_and_saveexec_b64 s[92:93], vcc
	s_cbranch_execz .LBB6_259
; %bb.251:                              ;   in Loop: Header=BB6_199 Depth=2
	s_mov_b32 s9, 0
	s_mov_b64 s[94:95], 0
                                        ; implicit-def: $sgpr30_sgpr31
                                        ; implicit-def: $sgpr34_sgpr35
	s_branch .LBB6_253
.LBB6_252:                              ;   in Loop: Header=BB6_253 Depth=3
	s_or_b64 exec, exec, s[38:39]
	s_and_b64 s[44:45], exec, vcc
	s_or_b64 s[94:95], s[44:45], s[94:95]
	s_andn2_b64 s[44:45], s[30:31], exec
	s_and_b64 vcc, s[34:35], exec
	s_or_b64 s[30:31], s[44:45], vcc
	s_andn2_b64 exec, exec, s[94:95]
	s_cbranch_execz .LBB6_257
.LBB6_253:                              ;   Parent Loop BB6_47 Depth=1
                                        ;     Parent Loop BB6_199 Depth=2
                                        ; =>    This Inner Loop Header: Depth=3
	s_add_i32 s9, s9, 1
	s_cmpk_lg_i32 s9, 0x2710
	s_cselect_b64 s[36:37], -1, 0
	s_and_b64 vcc, exec, s[36:37]
	s_cbranch_vccz .LBB6_255
; %bb.254:                              ;   in Loop: Header=BB6_253 Depth=3
	s_mov_b64 vcc, -1
	s_or_b64 s[34:35], s[34:35], exec
	s_and_saveexec_b64 s[38:39], s[36:37]
	s_cbranch_execz .LBB6_252
	s_branch .LBB6_256
.LBB6_255:                              ;   in Loop: Header=BB6_253 Depth=3
	s_trap 2
	ds_read_b64 v[0:1], v0
	s_andn2_b64 s[44:45], s[36:37], exec
	s_mov_b32 s9, 0
	s_waitcnt vmcnt(0) lgkmcnt(0)
	flat_load_dword v0, v[0:1] glc
	s_waitcnt vmcnt(0) lgkmcnt(0)
	buffer_wbinvl1_vol
	v_cmp_eq_u32_e32 vcc, 0, v0
	s_and_b64 vcc, vcc, exec
	s_or_b64 s[36:37], s[44:45], vcc
	s_mov_b64 vcc, -1
	s_or_b64 s[34:35], s[34:35], exec
	s_and_saveexec_b64 s[38:39], s[36:37]
	s_cbranch_execz .LBB6_252
.LBB6_256:                              ;   in Loop: Header=BB6_253 Depth=3
	s_sleep 1
	s_trap 2
	ds_read_b64 v[0:1], v0
	s_waitcnt lgkmcnt(0)
	buffer_load_dword v2, off, s[0:3], s33 offset:76 ; 4-byte Folded Reload
	buffer_load_dword v3, off, s[0:3], s33 offset:80 ; 4-byte Folded Reload
	s_andn2_b64 s[34:35], s[34:35], exec
	s_waitcnt vmcnt(0)
	v_cmp_ge_u64_e32 vcc, v[0:1], v[2:3]
	s_orn2_b64 vcc, vcc, exec
	s_branch .LBB6_252
.LBB6_257:                              ;   in Loop: Header=BB6_199 Depth=2
	s_or_b64 exec, exec, s[94:95]
	s_and_saveexec_b64 s[44:45], s[30:31]
	s_xor_b64 s[44:45], exec, s[44:45]
	s_cbranch_execz .LBB6_259
; %bb.258:                              ;   in Loop: Header=BB6_199 Depth=2
	v_mov_b32_e32 v0, 1
	ds_write_b32 v0, v0
	s_trap 2
.LBB6_259:                              ;   in Loop: Header=BB6_199 Depth=2
	s_or_b64 exec, exec, s[92:93]
	;;#ASMSTART
	s_wakeup
	;;#ASMEND
.LBB6_260:                              ;   in Loop: Header=BB6_199 Depth=2
	s_or_b64 exec, exec, s[90:91]
.LBB6_261:                              ;   in Loop: Header=BB6_199 Depth=2
	s_andn2_saveexec_b64 s[42:43], s[42:43]
	s_cbranch_execz .LBB6_263
; %bb.262:                              ;   in Loop: Header=BB6_199 Depth=2
	;;#ASMSTART
	s_waitcnt lgkmcnt(0) vmcnt(0)
	;;#ASMEND
	s_waitcnt vmcnt(0) lgkmcnt(0)
	s_barrier
.LBB6_263:                              ;   in Loop: Header=BB6_199 Depth=2
	s_or_b64 exec, exec, s[42:43]
	buffer_load_dword v0, off, s[0:3], s33 offset:72 ; 4-byte Folded Reload
	s_waitcnt vmcnt(0)
	v_and_b32_e32 v0, 16, v0
	s_or_b64 exec, exec, s[26:27]
	v_cmp_ne_u32_e32 vcc, 0, v0
	s_and_saveexec_b64 s[26:27], vcc
	s_cbranch_execz .LBB6_198
.LBB6_264:                              ;   in Loop: Header=BB6_199 Depth=2
	s_and_saveexec_b64 s[42:43], s[14:15]
	s_cbranch_execz .LBB6_197
; %bb.265:                              ;   in Loop: Header=BB6_199 Depth=2
	buffer_load_dword v0, off, s[0:3], s33 offset:228 ; 4-byte Folded Reload
	buffer_load_dword v1, off, s[0:3], s33 offset:232 ; 4-byte Folded Reload
	v_mov_b32_e32 v2, 1
	s_waitcnt vmcnt(0)
	flat_store_dword v[0:1], v2
	s_branch .LBB6_197
.LBB6_266:                              ;   in Loop: Header=BB6_47 Depth=1
	s_or_b64 exec, exec, s[40:41]
.LBB6_267:                              ;   in Loop: Header=BB6_47 Depth=1
	s_or_b64 exec, exec, s[28:29]
	v_cndmask_b32_e64 v0, 0, 1, s[72:73]
	v_cmp_ne_u32_e64 s[26:27], 1, v0
	s_andn2_b64 vcc, exec, s[72:73]
	s_cbranch_vccnz .LBB6_3788
; %bb.268:                              ;   in Loop: Header=BB6_47 Depth=1
	s_mov_b32 s44, 2
	s_branch .LBB6_271
.LBB6_269:                              ;   in Loop: Header=BB6_271 Depth=2
	s_or_b64 exec, exec, s[42:43]
.LBB6_270:                              ;   in Loop: Header=BB6_271 Depth=2
	s_or_b64 exec, exec, s[40:41]
	s_add_i32 s44, s44, 1
	s_cmp_eq_u32 s44, s66
	s_cbranch_scc1 .LBB6_3788
.LBB6_271:                              ;   Parent Loop BB6_47 Depth=1
                                        ; =>  This Loop Header: Depth=2
                                        ;       Child Loop BB6_274 Depth 3
                                        ;         Child Loop BB6_282 Depth 4
                                        ;         Child Loop BB6_310 Depth 4
                                        ;         Child Loop BB6_329 Depth 4
                                        ;         Child Loop BB6_356 Depth 4
                                        ;         Child Loop BB6_2153 Depth 4
                                        ;         Child Loop BB6_2609 Depth 4
                                        ;         Child Loop BB6_3638 Depth 4
                                        ;         Child Loop BB6_3678 Depth 4
                                        ;         Child Loop BB6_3697 Depth 4
                                        ;       Child Loop BB6_3716 Depth 3
                                        ;         Child Loop BB6_3722 Depth 4
                                        ;         Child Loop BB6_3750 Depth 4
	;; [unrolled: 1-line block ×3, first 2 shown]
	buffer_load_dword v2, off, s[0:3], s33 offset:364 ; 4-byte Folded Reload
	buffer_load_dword v3, off, s[0:3], s33 offset:368 ; 4-byte Folded Reload
	s_sub_i32 s9, s84, s44
	s_cmp_ge_i32 s9, s66
	s_cselect_b32 s28, s66, 0
	s_sub_i32 s9, s9, s28
	s_ashr_i32 s40, s9, 31
	v_mov_b32_e32 v55, 0
	s_waitcnt vmcnt(0)
	v_mad_u64_u32 v[40:41], s[28:29], v2, s9, 0
	v_mul_lo_u32 v0, v3, s9
	v_mul_lo_u32 v1, v2, s40
	v_add3_u32 v41, v41, v1, v0
	buffer_load_dword v0, off, s[0:3], s33 offset:356 ; 4-byte Folded Reload
	buffer_load_dword v1, off, s[0:3], s33 offset:360 ; 4-byte Folded Reload
	s_waitcnt vmcnt(0)
	v_sub_co_u32_e32 v0, vcc, v0, v40
	v_subb_co_u32_e32 v1, vcc, v1, v41, vcc
	v_cmp_lt_i64_e32 vcc, v[2:3], v[0:1]
	v_cndmask_b32_e32 v0, v0, v2, vcc
	v_max_i32_e32 v52, 0, v0
	v_add_u32_e32 v1, 31, v52
	v_lshrrev_b32_e32 v1, 1, v1
	v_and_b32_e32 v1, 0x3ffffff0, v1
	v_cmp_lt_i32_e32 vcc, 0, v0
	v_max_i32_e32 v53, s87, v1
	s_and_b64 s[28:29], s[76:77], vcc
	v_mov_b32_e32 v0, 0
	s_and_saveexec_b64 s[42:43], s[28:29]
	s_cbranch_execz .LBB6_3713
; %bb.272:                              ;   in Loop: Header=BB6_271 Depth=2
	s_mov_b32 s45, 1
	s_mov_b64 s[92:93], -1
	v_mov_b32_e32 v55, 0
	s_mov_b64 s[90:91], 0
	buffer_store_dword v52, off, s[0:3], s33 offset:320 ; 4-byte Folded Spill
	buffer_store_dword v40, off, s[0:3], s33 offset:324 ; 4-byte Folded Spill
	s_nop 0
	buffer_store_dword v41, off, s[0:3], s33 offset:328 ; 4-byte Folded Spill
	s_branch .LBB6_274
.LBB6_273:                              ;   in Loop: Header=BB6_274 Depth=3
	s_or_b64 exec, exec, s[28:29]
	v_add_u32_e32 v55, v53, v55
	v_cmp_ge_i32_e32 vcc, v55, v52
	s_xor_b64 s[28:29], s[92:93], -1
	s_or_b64 s[28:29], s[28:29], vcc
	s_and_b64 s[28:29], exec, s[28:29]
	s_or_b64 s[90:91], s[28:29], s[90:91]
	s_mov_b64 s[92:93], 0
	v_mov_b32_e32 v0, s45
	s_mov_b32 s45, 2
	s_andn2_b64 exec, exec, s[90:91]
	s_cbranch_execz .LBB6_3712
.LBB6_274:                              ;   Parent Loop BB6_47 Depth=1
                                        ;     Parent Loop BB6_271 Depth=2
                                        ; =>    This Loop Header: Depth=3
                                        ;         Child Loop BB6_282 Depth 4
                                        ;         Child Loop BB6_310 Depth 4
	;; [unrolled: 1-line block ×9, first 2 shown]
	s_and_saveexec_b64 s[28:29], s[4:5]
	s_cbranch_execz .LBB6_276
; %bb.275:                              ;   in Loop: Header=BB6_274 Depth=3
	s_trap 2
	buffer_load_dword v2, off, s[0:3], s33 offset:288 ; 4-byte Folded Reload
	ds_read_b64 v[0:1], v0
	v_mov_b32_e32 v20, v21
	s_waitcnt vmcnt(0) lgkmcnt(0)
	v_add_co_u32_e32 v0, vcc, v0, v2
	buffer_load_dword v2, off, s[0:3], s33 offset:292 ; 4-byte Folded Reload
	s_waitcnt vmcnt(0)
	v_addc_co_u32_e32 v1, vcc, v1, v2, vcc
	v_add_co_u32_e32 v0, vcc, v0, v40
	v_addc_co_u32_e32 v1, vcc, v1, v41, vcc
	v_ashrrev_i32_e32 v2, 31, v55
	v_add_co_u32_e32 v0, vcc, v0, v55
	v_addc_co_u32_e32 v1, vcc, v1, v2, vcc
	ds_write_b64 v0, v[0:1]
	ds_write_b64 v0, v[20:21]
.LBB6_276:                              ;   in Loop: Header=BB6_274 Depth=3
	s_or_b64 exec, exec, s[28:29]
	v_sub_u32_e32 v0, v52, v55
	v_min_i32_e32 v53, v53, v0
	buffer_load_dword v0, off, s[0:3], s33 offset:72 ; 4-byte Folded Reload
	s_waitcnt vmcnt(0)
	v_and_b32_e32 v0, 12, v0
	v_cmp_ne_u32_e32 vcc, 0, v0
	s_and_saveexec_b64 s[40:41], vcc
	s_cbranch_execz .LBB6_302
; %bb.277:                              ;   in Loop: Header=BB6_274 Depth=3
	buffer_load_dword v0, off, s[0:3], s33 offset:72 ; 4-byte Folded Reload
	s_waitcnt vmcnt(0)
	v_and_b32_e32 v4, 8, v0
	buffer_load_dword v0, off, s[0:3], s33 offset:56 ; 4-byte Folded Reload
	buffer_load_dword v1, off, s[0:3], s33 offset:60 ; 4-byte Folded Reload
	;; [unrolled: 1-line block ×4, first 2 shown]
	s_waitcnt vmcnt(0)
	v_add_co_u32_e32 v0, vcc, v0, v4
	v_addc_co_u32_e32 v1, vcc, 0, v1, vcc
	v_add_co_u32_e32 v8, vcc, 2, v2
	v_addc_co_u32_e32 v9, vcc, 0, v3, vcc
	v_cmp_lt_u64_e32 vcc, v[0:1], v[8:9]
	s_and_saveexec_b64 s[94:95], vcc
	s_cbranch_execz .LBB6_289
; %bb.278:                              ;   in Loop: Header=BB6_274 Depth=3
	buffer_load_dword v0, off, s[0:3], s33 offset:72 ; 4-byte Folded Reload
	s_mov_b32 s82, 0
	s_mov_b64 s[30:31], 0
                                        ; implicit-def: $sgpr34_sgpr35
                                        ; implicit-def: $sgpr36_sgpr37
                                        ; implicit-def: $sgpr38_sgpr39
	s_waitcnt vmcnt(0)
	v_and_b32_e32 v0, 64, v0
	v_cmp_eq_u32_e32 vcc, 0, v0
	s_branch .LBB6_282
.LBB6_279:                              ;   in Loop: Header=BB6_282 Depth=4
	buffer_load_dword v1, off, s[0:3], s33 offset:56 ; 4-byte Folded Reload
	buffer_load_dword v2, off, s[0:3], s33 offset:60 ; 4-byte Folded Reload
	s_or_b64 s[52:53], s[52:53], exec
	s_waitcnt vmcnt(1)
	v_add_co_u32_e64 v1, s[28:29], v1, v4
	s_waitcnt vmcnt(0)
	v_addc_co_u32_e64 v2, s[28:29], 0, v2, s[28:29]
	v_cmp_ge_u64_e64 s[28:29], v[1:2], v[8:9]
	s_orn2_b64 s[50:51], s[28:29], exec
.LBB6_280:                              ;   in Loop: Header=BB6_282 Depth=4
	s_or_b64 exec, exec, s[64:65]
	s_andn2_b64 s[28:29], s[38:39], exec
	s_and_b64 s[38:39], s[52:53], exec
	s_or_b64 s[38:39], s[28:29], s[38:39]
	s_andn2_b64 s[28:29], s[36:37], exec
	s_and_b64 s[36:37], s[50:51], exec
	s_or_b64 s[36:37], s[28:29], s[36:37]
.LBB6_281:                              ;   in Loop: Header=BB6_282 Depth=4
	s_or_b64 exec, exec, s[48:49]
	s_and_b64 s[28:29], exec, s[36:37]
	s_or_b64 s[30:31], s[28:29], s[30:31]
	s_andn2_b64 s[28:29], s[34:35], exec
	s_and_b64 s[34:35], s[38:39], exec
	s_or_b64 s[34:35], s[28:29], s[34:35]
	s_andn2_b64 exec, exec, s[30:31]
	s_cbranch_execz .LBB6_286
.LBB6_282:                              ;   Parent Loop BB6_47 Depth=1
                                        ;     Parent Loop BB6_271 Depth=2
                                        ;       Parent Loop BB6_274 Depth=3
                                        ; =>      This Inner Loop Header: Depth=4
	s_sleep 1
	buffer_load_dword v0, off, s[0:3], s33 offset:64 ; 4-byte Folded Reload
	buffer_load_dword v1, off, s[0:3], s33 offset:68 ; 4-byte Folded Reload
	s_or_b64 s[38:39], s[38:39], exec
	s_or_b64 s[36:37], s[36:37], exec
	s_waitcnt vmcnt(0)
	flat_load_dwordx2 v[0:1], v[0:1] glc
	s_waitcnt vmcnt(0) lgkmcnt(0)
	buffer_store_dword v0, off, s[0:3], s33 offset:56 ; 4-byte Folded Spill
	s_nop 0
	buffer_store_dword v1, off, s[0:3], s33 offset:60 ; 4-byte Folded Spill
                                        ; implicit-def: $vgpr0
	s_and_saveexec_b64 s[48:49], vcc
	s_cbranch_execz .LBB6_281
; %bb.283:                              ;   in Loop: Header=BB6_282 Depth=4
	s_cmpk_lt_i32 s82, 0x270f
	s_cselect_b64 s[54:55], -1, 0
	s_cmpk_gt_i32 s82, 0x270e
	s_mov_b64 s[50:51], -1
	s_cbranch_scc0 .LBB6_285
; %bb.284:                              ;   in Loop: Header=BB6_282 Depth=4
	s_trap 2
	ds_read_b64 v[0:1], v0
	s_andn2_b64 s[54:55], s[54:55], exec
	s_mov_b32 s82, 0
	s_mov_b64 s[52:53], 0
	s_waitcnt vmcnt(0) lgkmcnt(0)
	flat_load_dword v0, v[0:1] glc
	s_waitcnt vmcnt(0) lgkmcnt(0)
	buffer_wbinvl1_vol
	v_cmp_eq_u32_e64 s[28:29], 0, v0
	s_and_b64 s[28:29], s[28:29], exec
	s_or_b64 s[54:55], s[54:55], s[28:29]
	s_and_saveexec_b64 s[64:65], s[54:55]
	s_cbranch_execz .LBB6_280
	s_branch .LBB6_279
.LBB6_285:                              ;   in Loop: Header=BB6_282 Depth=4
	s_add_i32 s82, s82, 1
	s_mov_b64 s[52:53], -1
                                        ; implicit-def: $vgpr0
	s_and_saveexec_b64 s[64:65], s[54:55]
	s_cbranch_execz .LBB6_280
	s_branch .LBB6_279
.LBB6_286:                              ;   in Loop: Header=BB6_274 Depth=3
	s_or_b64 exec, exec, s[30:31]
	s_xor_b64 s[28:29], s[34:35], -1
	s_and_saveexec_b64 vcc, s[28:29]
	s_xor_b64 s[28:29], exec, vcc
	s_cbranch_execz .LBB6_288
; %bb.287:                              ;   in Loop: Header=BB6_274 Depth=3
	ds_write_b32 v0, v0
	s_trap 2
	buffer_load_dword v0, off, s[0:3], s33 offset:72 ; 4-byte Folded Reload
	s_waitcnt vmcnt(0)
	v_or_b32_e32 v0, 64, v0
	buffer_store_dword v0, off, s[0:3], s33 offset:72 ; 4-byte Folded Spill
.LBB6_288:                              ;   in Loop: Header=BB6_274 Depth=3
	s_or_b64 exec, exec, s[28:29]
.LBB6_289:                              ;   in Loop: Header=BB6_274 Depth=3
	s_or_b64 exec, exec, s[94:95]
	;;#ASMSTART
	s_wakeup
	;;#ASMEND
	buffer_load_dword v0, off, s[0:3], s33 offset:72 ; 4-byte Folded Reload
	s_waitcnt vmcnt(0)
	v_and_b32_e32 v0, 0x108, v0
	v_cmp_ne_u32_e32 vcc, s71, v0
	s_and_saveexec_b64 s[28:29], vcc
	s_xor_b64 s[28:29], exec, s[28:29]
                                        ; implicit-def: $vgpr5
	s_cbranch_execz .LBB6_291
; %bb.290:                              ;   in Loop: Header=BB6_274 Depth=3
	buffer_load_dword v0, off, s[0:3], s33 offset:84 ; 4-byte Folded Reload
	buffer_load_dword v1, off, s[0:3], s33 offset:88 ; 4-byte Folded Reload
	s_waitcnt vmcnt(0)
	v_and_b32_e32 v5, 7, v0
                                        ; implicit-def: $vgpr0_vgpr1
                                        ; kill: killed $vgpr0_vgpr1
.LBB6_291:                              ;   in Loop: Header=BB6_274 Depth=3
	s_andn2_saveexec_b64 s[28:29], s[28:29]
	s_cbranch_execz .LBB6_293
; %bb.292:                              ;   in Loop: Header=BB6_274 Depth=3
	buffer_load_dword v0, off, s[0:3], s33 offset:84 ; 4-byte Folded Reload
	buffer_load_dword v1, off, s[0:3], s33 offset:88 ; 4-byte Folded Reload
	v_ashrrev_i32_e32 v54, 31, v53
	s_waitcnt vmcnt(0)
	v_and_b32_e32 v5, 7, v0
	buffer_load_dword v0, off, s[0:3], s33 offset:212 ; 4-byte Folded Reload
	buffer_load_dword v1, off, s[0:3], s33 offset:216 ; 4-byte Folded Reload
	;; [unrolled: 1-line block ×4, first 2 shown]
	s_waitcnt vmcnt(0)
	v_mad_u64_u32 v[0:1], s[94:95], v5, 24, v[0:1]
	flat_store_dwordx2 v[0:1], v[53:54] offset:8
.LBB6_293:                              ;   in Loop: Header=BB6_274 Depth=3
	s_or_b64 exec, exec, s[28:29]
	buffer_load_dword v0, off, s[0:3], s33 offset:72 ; 4-byte Folded Reload
	s_mov_b64 s[28:29], -1
	s_waitcnt vmcnt(0)
	v_and_b32_e32 v0, 0x100, v0
	v_cmp_ne_u32_e32 vcc, 0, v0
                                        ; implicit-def: $vgpr0_vgpr1
	s_and_saveexec_b64 s[94:95], vcc
	s_cbranch_execz .LBB6_297
; %bb.294:                              ;   in Loop: Header=BB6_274 Depth=3
	buffer_load_dword v0, off, s[0:3], s33 offset:212 ; 4-byte Folded Reload
	buffer_load_dword v1, off, s[0:3], s33 offset:216 ; 4-byte Folded Reload
	;; [unrolled: 1-line block ×4, first 2 shown]
	s_waitcnt vmcnt(0)
	v_mad_u64_u32 v[2:3], s[28:29], v5, 24, v[0:1]
	v_mov_b32_e32 v0, v3
	v_mad_u64_u32 v[0:1], s[28:29], v21, 24, v[0:1]
	v_mov_b32_e32 v3, v0
	flat_load_dword v0, v[2:3]
	s_waitcnt vmcnt(0) lgkmcnt(0)
	v_cmp_ne_u32_e32 vcc, 1, v0
	v_cmp_eq_u32_e64 s[28:29], 1, v0
                                        ; implicit-def: $vgpr0_vgpr1
	s_and_saveexec_b64 s[30:31], s[28:29]
	s_cbranch_execz .LBB6_296
; %bb.295:                              ;   in Loop: Header=BB6_274 Depth=3
	flat_load_dword v0, v[2:3] offset:4 glc
	s_waitcnt vmcnt(0) lgkmcnt(0)
	v_ashrrev_i32_e32 v1, 31, v0
.LBB6_296:                              ;   in Loop: Header=BB6_274 Depth=3
	s_or_b64 exec, exec, s[30:31]
	s_orn2_b64 s[28:29], vcc, exec
.LBB6_297:                              ;   in Loop: Header=BB6_274 Depth=3
	s_or_b64 exec, exec, s[94:95]
	s_and_saveexec_b64 s[94:95], s[28:29]
	s_cbranch_execz .LBB6_299
; %bb.298:                              ;   in Loop: Header=BB6_274 Depth=3
	buffer_load_dword v0, off, s[0:3], s33 offset:244 ; 4-byte Folded Reload
	buffer_load_dword v1, off, s[0:3], s33 offset:264 ; 4-byte Folded Reload
	s_waitcnt vmcnt(0)
	v_mul_lo_u32 v2, v21, v0
	v_mul_lo_u32 v3, v5, v1
	v_mad_u64_u32 v[0:1], s[28:29], v5, v0, 0
	v_add3_u32 v1, v1, v3, v2
.LBB6_299:                              ;   in Loop: Header=BB6_274 Depth=3
	s_or_b64 exec, exec, s[94:95]
	v_cmp_eq_u32_e32 vcc, 0, v4
	v_mov_b32_e32 v2, 0xc8
	v_mov_b32_e32 v3, 0x90
	v_cndmask_b32_e32 v2, v2, v3, vcc
	buffer_load_dword v3, off, s[0:3], s33 offset:204 ; 4-byte Folded Reload
	buffer_load_dword v4, off, s[0:3], s33 offset:208 ; 4-byte Folded Reload
	s_waitcnt vmcnt(0)
	v_add_co_u32_e32 v0, vcc, v3, v0
	v_addc_co_u32_e32 v1, vcc, v4, v1, vcc
	v_add_u32_e32 v2, v0, v2
	ds_write_b64 v2, v[0:1] offset:584
	buffer_load_dword v0, off, s[0:3], s33 offset:72 ; 4-byte Folded Reload
	s_waitcnt vmcnt(0)
	v_and_b32_e32 v0, 0x2000, v0
	v_cmp_ne_u32_e32 vcc, 0, v0
	s_and_saveexec_b64 s[28:29], vcc
	s_cbranch_execz .LBB6_301
; %bb.300:                              ;   in Loop: Header=BB6_274 Depth=3
	ds_read_b64 v[0:1], v0 offset:872
	s_waitcnt lgkmcnt(0)
	v_add_co_u32_e32 v0, vcc, 1, v0
	v_addc_co_u32_e32 v1, vcc, 0, v1, vcc
	ds_write_b64 v0, v[0:1] offset:872
.LBB6_301:                              ;   in Loop: Header=BB6_274 Depth=3
	s_or_b64 exec, exec, s[28:29]
	buffer_store_dword v8, off, s[0:3], s33 offset:84 ; 4-byte Folded Spill
	s_nop 0
	buffer_store_dword v9, off, s[0:3], s33 offset:88 ; 4-byte Folded Spill
.LBB6_302:                              ;   in Loop: Header=BB6_274 Depth=3
	s_or_b64 exec, exec, s[40:41]
	s_and_saveexec_b64 s[28:29], s[10:11]
	s_cbranch_execz .LBB6_321
; %bb.303:                              ;   in Loop: Header=BB6_274 Depth=3
	s_and_saveexec_b64 s[40:41], s[58:59]
	s_xor_b64 s[40:41], exec, s[40:41]
	s_cbranch_execz .LBB6_318
; %bb.304:                              ;   in Loop: Header=BB6_274 Depth=3
	s_and_saveexec_b64 s[94:95], s[16:17]
	s_cbranch_execz .LBB6_317
; %bb.305:                              ;   in Loop: Header=BB6_274 Depth=3
	s_mov_b64 s[34:35], exec
	v_mbcnt_lo_u32_b32 v0, s34, 0
	v_mbcnt_hi_u32_b32 v0, s35, v0
	v_cmp_eq_u32_e32 vcc, 0, v0
	s_waitcnt vmcnt(0) lgkmcnt(0)
	buffer_wbinvl1_vol
	s_and_saveexec_b64 s[30:31], vcc
	s_cbranch_execz .LBB6_307
; %bb.306:                              ;   in Loop: Header=BB6_274 Depth=3
	s_bcnt1_i32_b64 s9, s[34:35]
	v_mov_b32_e32 v20, s9
	ds_add_u64 v0, v[20:21]
	s_trap 2
.LBB6_307:                              ;   in Loop: Header=BB6_274 Depth=3
	s_or_b64 exec, exec, s[30:31]
	s_trap 2
	ds_read_b64 v[0:1], v0
	s_waitcnt lgkmcnt(0)
	buffer_load_dword v2, off, s[0:3], s33 offset:76 ; 4-byte Folded Reload
	buffer_load_dword v3, off, s[0:3], s33 offset:80 ; 4-byte Folded Reload
	s_waitcnt vmcnt(1)
	v_add_co_u32_e32 v2, vcc, v2, v49
	s_waitcnt vmcnt(0)
	v_addc_co_u32_e32 v3, vcc, 0, v3, vcc
	buffer_store_dword v2, off, s[0:3], s33 offset:76 ; 4-byte Folded Spill
	s_nop 0
	buffer_store_dword v3, off, s[0:3], s33 offset:80 ; 4-byte Folded Spill
	v_cmp_lt_u64_e32 vcc, v[0:1], v[2:3]
	s_and_saveexec_b64 s[30:31], vcc
	s_cbranch_execz .LBB6_316
; %bb.308:                              ;   in Loop: Header=BB6_274 Depth=3
	s_mov_b32 s9, 0
	s_mov_b64 s[34:35], 0
                                        ; implicit-def: $sgpr36_sgpr37
                                        ; implicit-def: $sgpr38_sgpr39
	s_branch .LBB6_310
.LBB6_309:                              ;   in Loop: Header=BB6_310 Depth=4
	s_or_b64 exec, exec, s[50:51]
	s_and_b64 vcc, exec, vcc
	s_or_b64 s[34:35], vcc, s[34:35]
	s_andn2_b64 vcc, s[36:37], exec
	s_and_b64 s[36:37], s[38:39], exec
	s_or_b64 s[36:37], vcc, s[36:37]
	s_andn2_b64 exec, exec, s[34:35]
	s_cbranch_execz .LBB6_314
.LBB6_310:                              ;   Parent Loop BB6_47 Depth=1
                                        ;     Parent Loop BB6_271 Depth=2
                                        ;       Parent Loop BB6_274 Depth=3
                                        ; =>      This Inner Loop Header: Depth=4
	s_add_i32 s9, s9, 1
	s_cmpk_lg_i32 s9, 0x2710
	s_cselect_b64 s[48:49], -1, 0
	s_and_b64 vcc, exec, s[48:49]
	s_cbranch_vccz .LBB6_312
; %bb.311:                              ;   in Loop: Header=BB6_310 Depth=4
	s_mov_b64 vcc, -1
	s_or_b64 s[38:39], s[38:39], exec
	s_and_saveexec_b64 s[50:51], s[48:49]
	s_cbranch_execz .LBB6_309
	s_branch .LBB6_313
.LBB6_312:                              ;   in Loop: Header=BB6_310 Depth=4
	s_trap 2
	ds_read_b64 v[0:1], v0
	s_andn2_b64 s[48:49], s[48:49], exec
	s_mov_b32 s9, 0
	s_waitcnt vmcnt(0) lgkmcnt(0)
	flat_load_dword v0, v[0:1] glc
	s_waitcnt vmcnt(0) lgkmcnt(0)
	buffer_wbinvl1_vol
	v_cmp_eq_u32_e32 vcc, 0, v0
	s_and_b64 vcc, vcc, exec
	s_or_b64 s[48:49], s[48:49], vcc
	s_mov_b64 vcc, -1
	s_or_b64 s[38:39], s[38:39], exec
	s_and_saveexec_b64 s[50:51], s[48:49]
	s_cbranch_execz .LBB6_309
.LBB6_313:                              ;   in Loop: Header=BB6_310 Depth=4
	s_sleep 1
	s_trap 2
	ds_read_b64 v[0:1], v0
	s_waitcnt lgkmcnt(0)
	buffer_load_dword v2, off, s[0:3], s33 offset:76 ; 4-byte Folded Reload
	buffer_load_dword v3, off, s[0:3], s33 offset:80 ; 4-byte Folded Reload
	s_andn2_b64 s[38:39], s[38:39], exec
	s_waitcnt vmcnt(0)
	v_cmp_ge_u64_e32 vcc, v[0:1], v[2:3]
	s_orn2_b64 vcc, vcc, exec
	s_branch .LBB6_309
.LBB6_314:                              ;   in Loop: Header=BB6_274 Depth=3
	s_or_b64 exec, exec, s[34:35]
	s_and_saveexec_b64 vcc, s[36:37]
	s_xor_b64 vcc, exec, vcc
	s_cbranch_execz .LBB6_316
; %bb.315:                              ;   in Loop: Header=BB6_274 Depth=3
	v_mov_b32_e32 v0, 1
	ds_write_b32 v0, v0
	s_trap 2
.LBB6_316:                              ;   in Loop: Header=BB6_274 Depth=3
	s_or_b64 exec, exec, s[30:31]
	;;#ASMSTART
	s_wakeup
	;;#ASMEND
.LBB6_317:                              ;   in Loop: Header=BB6_274 Depth=3
	s_or_b64 exec, exec, s[94:95]
.LBB6_318:                              ;   in Loop: Header=BB6_274 Depth=3
	s_andn2_saveexec_b64 s[40:41], s[40:41]
	s_cbranch_execz .LBB6_320
; %bb.319:                              ;   in Loop: Header=BB6_274 Depth=3
	s_waitcnt vmcnt(0) lgkmcnt(0)
	buffer_wbinvl1_vol
	s_barrier
.LBB6_320:                              ;   in Loop: Header=BB6_274 Depth=3
	s_or_b64 exec, exec, s[40:41]
.LBB6_321:                              ;   in Loop: Header=BB6_274 Depth=3
	s_or_b64 exec, exec, s[28:29]
	s_trap 2
	buffer_load_dword v1, off, s[0:3], s33 offset:72 ; 4-byte Folded Reload
	ds_read_b32 v0, v0
	s_xor_b64 s[28:29], s[6:7], -1
	s_waitcnt vmcnt(0)
	v_and_b32_e32 v1, 0x4000, v1
	v_cmp_ne_u32_e32 vcc, 0, v1
	s_and_b64 s[40:41], s[28:29], vcc
	s_and_saveexec_b64 s[28:29], s[40:41]
	s_cbranch_execz .LBB6_340
; %bb.322:                              ;   in Loop: Header=BB6_274 Depth=3
	s_and_saveexec_b64 s[40:41], s[58:59]
	s_xor_b64 s[40:41], exec, s[40:41]
	s_cbranch_execz .LBB6_337
; %bb.323:                              ;   in Loop: Header=BB6_274 Depth=3
	s_and_saveexec_b64 s[94:95], s[16:17]
	s_cbranch_execz .LBB6_336
; %bb.324:                              ;   in Loop: Header=BB6_274 Depth=3
	s_mov_b64 s[34:35], exec
	v_mbcnt_lo_u32_b32 v1, s34, 0
	v_mbcnt_hi_u32_b32 v1, s35, v1
	v_cmp_eq_u32_e32 vcc, 0, v1
	s_waitcnt lgkmcnt(0)
	buffer_wbinvl1_vol
	s_and_saveexec_b64 s[30:31], vcc
	s_cbranch_execz .LBB6_326
; %bb.325:                              ;   in Loop: Header=BB6_274 Depth=3
	s_bcnt1_i32_b64 s9, s[34:35]
	v_mov_b32_e32 v20, s9
	ds_add_u64 v0, v[20:21]
	s_trap 2
.LBB6_326:                              ;   in Loop: Header=BB6_274 Depth=3
	s_or_b64 exec, exec, s[30:31]
	s_trap 2
	ds_read_b64 v[1:2], v0
	s_waitcnt lgkmcnt(0)
	buffer_load_dword v3, off, s[0:3], s33 offset:76 ; 4-byte Folded Reload
	buffer_load_dword v4, off, s[0:3], s33 offset:80 ; 4-byte Folded Reload
	s_waitcnt vmcnt(1)
	v_add_co_u32_e32 v3, vcc, v3, v49
	s_waitcnt vmcnt(0)
	v_addc_co_u32_e32 v4, vcc, 0, v4, vcc
	buffer_store_dword v3, off, s[0:3], s33 offset:76 ; 4-byte Folded Spill
	s_nop 0
	buffer_store_dword v4, off, s[0:3], s33 offset:80 ; 4-byte Folded Spill
	v_cmp_lt_u64_e32 vcc, v[1:2], v[3:4]
	s_and_saveexec_b64 s[30:31], vcc
	s_cbranch_execz .LBB6_335
; %bb.327:                              ;   in Loop: Header=BB6_274 Depth=3
	s_mov_b32 s9, 0
	s_mov_b64 s[34:35], 0
                                        ; implicit-def: $sgpr36_sgpr37
                                        ; implicit-def: $sgpr38_sgpr39
	s_branch .LBB6_329
.LBB6_328:                              ;   in Loop: Header=BB6_329 Depth=4
	s_or_b64 exec, exec, s[50:51]
	s_and_b64 vcc, exec, vcc
	s_or_b64 s[34:35], vcc, s[34:35]
	s_andn2_b64 vcc, s[36:37], exec
	s_and_b64 s[36:37], s[38:39], exec
	s_or_b64 s[36:37], vcc, s[36:37]
	s_andn2_b64 exec, exec, s[34:35]
	s_cbranch_execz .LBB6_333
.LBB6_329:                              ;   Parent Loop BB6_47 Depth=1
                                        ;     Parent Loop BB6_271 Depth=2
                                        ;       Parent Loop BB6_274 Depth=3
                                        ; =>      This Inner Loop Header: Depth=4
	s_add_i32 s9, s9, 1
	s_cmpk_lg_i32 s9, 0x2710
	s_cselect_b64 s[48:49], -1, 0
	s_and_b64 vcc, exec, s[48:49]
	s_cbranch_vccz .LBB6_331
; %bb.330:                              ;   in Loop: Header=BB6_329 Depth=4
	s_mov_b64 vcc, -1
	s_or_b64 s[38:39], s[38:39], exec
	s_and_saveexec_b64 s[50:51], s[48:49]
	s_cbranch_execz .LBB6_328
	s_branch .LBB6_332
.LBB6_331:                              ;   in Loop: Header=BB6_329 Depth=4
	s_trap 2
	ds_read_b64 v[1:2], v0
	s_andn2_b64 s[48:49], s[48:49], exec
	s_mov_b32 s9, 0
	s_waitcnt vmcnt(0) lgkmcnt(0)
	flat_load_dword v1, v[1:2] glc
	s_waitcnt vmcnt(0) lgkmcnt(0)
	buffer_wbinvl1_vol
	v_cmp_eq_u32_e32 vcc, 0, v1
	s_and_b64 vcc, vcc, exec
	s_or_b64 s[48:49], s[48:49], vcc
	s_mov_b64 vcc, -1
	s_or_b64 s[38:39], s[38:39], exec
	s_and_saveexec_b64 s[50:51], s[48:49]
	s_cbranch_execz .LBB6_328
.LBB6_332:                              ;   in Loop: Header=BB6_329 Depth=4
	s_sleep 1
	s_trap 2
	ds_read_b64 v[1:2], v0
	s_waitcnt lgkmcnt(0)
	buffer_load_dword v3, off, s[0:3], s33 offset:76 ; 4-byte Folded Reload
	buffer_load_dword v4, off, s[0:3], s33 offset:80 ; 4-byte Folded Reload
	s_andn2_b64 s[38:39], s[38:39], exec
	s_waitcnt vmcnt(0)
	v_cmp_ge_u64_e32 vcc, v[1:2], v[3:4]
	s_orn2_b64 vcc, vcc, exec
	s_branch .LBB6_328
.LBB6_333:                              ;   in Loop: Header=BB6_274 Depth=3
	s_or_b64 exec, exec, s[34:35]
	s_and_saveexec_b64 vcc, s[36:37]
	s_xor_b64 vcc, exec, vcc
	s_cbranch_execz .LBB6_335
; %bb.334:                              ;   in Loop: Header=BB6_274 Depth=3
	v_mov_b32_e32 v1, 1
	ds_write_b32 v0, v1
	s_trap 2
.LBB6_335:                              ;   in Loop: Header=BB6_274 Depth=3
	s_or_b64 exec, exec, s[30:31]
	;;#ASMSTART
	s_wakeup
	;;#ASMEND
.LBB6_336:                              ;   in Loop: Header=BB6_274 Depth=3
	s_or_b64 exec, exec, s[94:95]
.LBB6_337:                              ;   in Loop: Header=BB6_274 Depth=3
	s_andn2_saveexec_b64 s[40:41], s[40:41]
	s_cbranch_execz .LBB6_339
; %bb.338:                              ;   in Loop: Header=BB6_274 Depth=3
	s_waitcnt vmcnt(0) lgkmcnt(0)
	buffer_wbinvl1_vol
	s_barrier
.LBB6_339:                              ;   in Loop: Header=BB6_274 Depth=3
	s_or_b64 exec, exec, s[40:41]
.LBB6_340:                              ;   in Loop: Header=BB6_274 Depth=3
	s_or_b64 exec, exec, s[28:29]
	s_trap 2
	s_waitcnt lgkmcnt(0)
	ds_read_b64 v[44:45], v0
	s_waitcnt lgkmcnt(0)
	v_cmp_eq_u64_e32 vcc, 0, v[44:45]
	s_cbranch_vccnz .LBB6_348
; %bb.341:                              ;   in Loop: Header=BB6_274 Depth=3
	s_trap 2
	ds_read_b64 v[42:43], v0
	s_waitcnt lgkmcnt(0)
	v_cmp_eq_u64_e32 vcc, 0, v[42:43]
	s_cbranch_vccnz .LBB6_348
; %bb.342:                              ;   in Loop: Header=BB6_274 Depth=3
	s_mov_b64 s[40:41], -1
	s_and_saveexec_b64 s[28:29], s[22:23]
	s_cbranch_execz .LBB6_344
; %bb.343:                              ;   in Loop: Header=BB6_274 Depth=3
	ds_read_b32 v1, v0 offset:720
	s_waitcnt lgkmcnt(0)
	v_and_b32_e32 v1, 15, v1
	v_cmp_eq_u32_e32 vcc, 0, v1
	s_orn2_b64 s[40:41], vcc, exec
.LBB6_344:                              ;   in Loop: Header=BB6_274 Depth=3
	s_or_b64 exec, exec, s[28:29]
	s_and_saveexec_b64 s[28:29], s[20:21]
	s_cbranch_execz .LBB6_346
; %bb.345:                              ;   in Loop: Header=BB6_274 Depth=3
	ds_read_b32 v1, v0 offset:784
	s_waitcnt lgkmcnt(0)
	v_and_b32_e32 v1, 15, v1
	v_cmp_eq_u32_e32 vcc, 0, v1
	s_and_b64 s[94:95], s[40:41], vcc
	s_andn2_b64 s[40:41], s[40:41], exec
	s_and_b64 s[94:95], s[94:95], exec
	s_or_b64 s[40:41], s[40:41], s[94:95]
.LBB6_346:                              ;   in Loop: Header=BB6_274 Depth=3
	s_or_b64 exec, exec, s[28:29]
	buffer_load_dword v9, off, s[0:3], s33 offset:268 ; 4-byte Folded Reload
	buffer_load_dword v2, off, s[0:3], s33 offset:240 ; 4-byte Folded Reload
	v_cmp_eq_u32_e32 vcc, 0, v0
	s_xor_b64 s[40:41], s[40:41], -1
	v_cndmask_b32_e32 v54, 0, v53, vcc
	v_cndmask_b32_e64 v0, 0, 1, s[40:41]
	s_mov_b64 s[28:29], -1
	v_cmp_ne_u32_e32 vcc, 0, v0
	v_mov_b32_e32 v7, 0
	v_mov_b32_e32 v8, v54
	s_cbranch_vccz .LBB6_353
; %bb.347:                              ;   in Loop: Header=BB6_274 Depth=3
	s_and_saveexec_b64 s[40:41], s[28:29]
	s_cbranch_execnz .LBB6_2606
	s_branch .LBB6_3670
.LBB6_348:                              ;   in Loop: Header=BB6_274 Depth=3
	s_mov_b64 s[28:29], 0
	s_and_saveexec_b64 s[40:41], s[10:11]
	s_cbranch_execnz .LBB6_3671
.LBB6_349:                              ;   in Loop: Header=BB6_274 Depth=3
	s_or_b64 exec, exec, s[40:41]
                                        ; implicit-def: $vgpr0
	s_and_saveexec_b64 s[40:41], s[24:25]
	s_xor_b64 s[40:41], exec, s[40:41]
	s_cbranch_execz .LBB6_3689
.LBB6_350:                              ;   in Loop: Header=BB6_274 Depth=3
	buffer_load_dword v1, off, s[0:3], s33 offset:72 ; 4-byte Folded Reload
	s_waitcnt vmcnt(0)
	v_and_b32_e32 v0, 16, v1
	v_and_b32_e32 v1, 16, v1
	v_cmp_ne_u32_e32 vcc, 0, v1
	s_and_b64 s[94:95], vcc, s[28:29]
	s_and_saveexec_b64 s[28:29], s[94:95]
	s_cbranch_execz .LBB6_352
; %bb.351:                              ;   in Loop: Header=BB6_274 Depth=3
	v_mov_b32_e32 v0, 1
	s_waitcnt lgkmcnt(0)
	buffer_wbinvl1_vol
.LBB6_352:                              ;   in Loop: Header=BB6_274 Depth=3
	s_or_b64 exec, exec, s[28:29]
	s_andn2_saveexec_b64 s[28:29], s[40:41]
	s_cbranch_execz .LBB6_3708
	s_branch .LBB6_3690
.LBB6_353:                              ;   in Loop: Header=BB6_274 Depth=3
	v_ashrrev_i32_e32 v0, 31, v54
	v_lshrrev_b32_e32 v0, 20, v0
	v_add_u32_e32 v0, v54, v0
	v_ashrrev_i32_e32 v1, 12, v0
	buffer_load_dword v0, off, s[0:3], s33 offset:240 ; 4-byte Folded Reload
	s_waitcnt vmcnt(0)
	v_sub_u32_e32 v5, v1, v0
	v_cmp_lt_i32_e32 vcc, 0, v5
	s_and_saveexec_b64 s[40:41], vcc
	s_cbranch_execz .LBB6_2149
; %bb.354:                              ;   in Loop: Header=BB6_274 Depth=3
	buffer_store_dword v1, off, s[0:3], s33 offset:352 ; 4-byte Folded Spill
	buffer_store_dword v54, off, s[0:3], s33 offset:308 ; 4-byte Folded Spill
	;; [unrolled: 1-line block ×4, first 2 shown]
	s_nop 0
	buffer_store_dword v54, off, s[0:3], s33 offset:300 ; 4-byte Folded Spill
	s_trap 2
	buffer_load_dword v2, off, s[0:3], s33 offset:312 ; 4-byte Folded Reload
	buffer_load_dword v3, off, s[0:3], s33 offset:316 ; 4-byte Folded Reload
	ds_read_b64 v[0:1], v0
	s_mov_b64 s[94:95], 0
	s_waitcnt vmcnt(1)
	v_add_co_u32_e32 v30, vcc, v44, v2
	buffer_store_dword v44, off, s[0:3], s33 offset:344 ; 4-byte Folded Spill
	s_nop 0
	buffer_store_dword v45, off, s[0:3], s33 offset:348 ; 4-byte Folded Spill
	s_waitcnt vmcnt(2)
	v_addc_co_u32_e32 v31, vcc, v45, v3, vcc
	s_waitcnt lgkmcnt(0)
	v_add_co_u32_e32 v52, vcc, v0, v2
	v_addc_co_u32_e32 v53, vcc, v1, v3, vcc
	v_add_co_u32_e32 v44, vcc, v42, v2
	buffer_store_dword v42, off, s[0:3], s33 offset:336 ; 4-byte Folded Spill
	s_nop 0
	buffer_store_dword v43, off, s[0:3], s33 offset:340 ; 4-byte Folded Spill
	v_addc_co_u32_e32 v45, vcc, v43, v3, vcc
	s_branch .LBB6_356
.LBB6_355:                              ;   in Loop: Header=BB6_356 Depth=4
	s_or_b64 exec, exec, s[28:29]
	v_lshl_or_b32 v1, v41, 8, v40
	v_lshl_or_b32 v3, v34, 8, v27
	v_lshlrev_b32_e32 v7, 16, v22
	v_lshlrev_b32_e32 v8, 24, v23
	v_lshlrev_b32_e32 v10, 16, v35
	v_lshlrev_b32_e32 v11, 24, v48
	v_or3_b32 v23, v1, v7, v8
	v_or3_b32 v22, v3, v10, v11
	v_lshl_or_b32 v1, v59, 8, v58
	v_lshlrev_b32_e32 v3, 16, v49
	v_lshlrev_b32_e32 v7, 24, v57
	v_or3_b32 v24, v1, v3, v7
	v_lshl_or_b32 v1, v28, 8, v4
	v_lshlrev_b32_e32 v3, 24, v18
	v_lshlrev_b32_e32 v4, 16, v6
	v_or3_b32 v25, v1, v4, v3
	buffer_load_dword v1, off, s[0:3], s33 offset:180 ; 4-byte Folded Reload
	buffer_load_dword v3, off, s[0:3], s33 offset:184 ; 4-byte Folded Reload
	v_lshlrev_b32_e32 v4, 24, v32
	v_lshlrev_b32_e32 v0, 24, v0
	s_waitcnt vmcnt(0)
	v_lshl_or_b32 v1, v3, 8, v1
	buffer_load_dword v3, off, s[0:3], s33 offset:188 ; 4-byte Folded Reload
	buffer_load_dword v6, off, s[0:3], s33 offset:160 ; 4-byte Folded Reload
	;; [unrolled: 1-line block ×3, first 2 shown]
	s_waitcnt vmcnt(2)
	v_lshlrev_b32_e32 v3, 16, v3
	v_or3_b32 v33, v1, v3, v4
	buffer_load_dword v1, off, s[0:3], s33 offset:168 ; 4-byte Folded Reload
	buffer_load_dword v3, off, s[0:3], s33 offset:172 ; 4-byte Folded Reload
	s_waitcnt vmcnt(2)
	v_lshl_or_b32 v6, v7, 8, v6
	v_lshlrev_b32_e32 v4, 24, v55
	s_waitcnt vmcnt(1)
	v_lshlrev_b32_e32 v1, 16, v1
	s_waitcnt vmcnt(0)
	v_lshlrev_b32_e32 v3, 24, v3
	v_or3_b32 v32, v6, v1, v3
	v_lshl_or_b32 v1, v54, 8, v43
	v_lshlrev_b32_e32 v3, 16, v29
	v_or3_b32 v34, v1, v3, v4
	v_lshlrev_b32_e32 v1, 24, v26
	v_lshlrev_b32_e32 v3, 16, v37
	v_lshl_or_b32 v4, v36, 8, v56
	v_or3_b32 v35, v4, v3, v1
	buffer_load_dword v1, off, s[0:3], s33 offset:112 ; 4-byte Folded Reload
	buffer_load_dword v3, off, s[0:3], s33 offset:116 ; 4-byte Folded Reload
	buffer_load_dword v4, off, s[0:3], s33 offset:124 ; 4-byte Folded Reload
	s_waitcnt vmcnt(1)
	v_lshl_or_b32 v1, v3, 8, v1
	buffer_load_dword v3, off, s[0:3], s33 offset:120 ; 4-byte Folded Reload
	s_waitcnt vmcnt(1)
	v_lshlrev_b32_e32 v4, 24, v4
	s_waitcnt vmcnt(0)
	v_lshlrev_b32_e32 v3, 16, v3
	v_or3_b32 v27, v1, v3, v4
	buffer_load_dword v1, off, s[0:3], s33 offset:96 ; 4-byte Folded Reload
	buffer_load_dword v3, off, s[0:3], s33 offset:100 ; 4-byte Folded Reload
	buffer_load_dword v4, off, s[0:3], s33 offset:108 ; 4-byte Folded Reload
	s_waitcnt vmcnt(1)
	v_lshl_or_b32 v1, v3, 8, v1
	buffer_load_dword v3, off, s[0:3], s33 offset:104 ; 4-byte Folded Reload
	s_waitcnt vmcnt(1)
	v_lshlrev_b32_e32 v4, 24, v4
	s_waitcnt vmcnt(0)
	v_lshlrev_b32_e32 v3, 16, v3
	;; [unrolled: 11-line block ×3, first 2 shown]
	v_or3_b32 v28, v1, v3, v4
	buffer_load_dword v1, off, s[0:3], s33 offset:156 ; 4-byte Folded Reload
	buffer_load_dword v3, off, s[0:3], s33 offset:152 ; 4-byte Folded Reload
	;; [unrolled: 1-line block ×4, first 2 shown]
	s_waitcnt vmcnt(3)
	v_lshlrev_b32_e32 v1, 24, v1
	s_waitcnt vmcnt(2)
	v_lshlrev_b32_e32 v3, 16, v3
	s_waitcnt vmcnt(0)
	v_lshl_or_b32 v4, v6, 8, v4
	v_or3_b32 v29, v4, v3, v1
	v_lshl_or_b32 v1, v61, 8, v60
	v_lshlrev_b32_e32 v3, 16, v16
	v_lshlrev_b32_e32 v4, 24, v9
	v_or3_b32 v7, v1, v3, v4
	v_lshl_or_b32 v1, v42, 8, v19
	v_lshlrev_b32_e32 v3, 16, v46
	v_lshlrev_b32_e32 v4, 24, v47
	v_or3_b32 v6, v1, v3, v4
	v_lshl_or_b32 v1, v13, 8, v12
	v_lshlrev_b32_e32 v3, 16, v17
	v_or3_b32 v8, v1, v3, v0
	v_lshlrev_b32_e32 v0, 24, v2
	v_lshlrev_b32_e32 v1, 16, v50
	v_lshl_or_b32 v2, v39, 8, v38
	v_or3_b32 v9, v2, v1, v0
	global_store_dwordx4 v[44:45], v[26:29], off glc slc
	global_store_dwordx4 v[44:45], v[32:35], off offset:1024 glc slc
	global_store_dwordx4 v[44:45], v[22:25], off offset:2048 glc slc
	;; [unrolled: 1-line block ×3, first 2 shown]
	buffer_load_dword v56, off, s[0:3], s33 offset:200 ; 4-byte Folded Reload
	buffer_load_dword v49, off, s[0:3], s33 offset:92 ; 4-byte Folded Reload
	s_waitcnt vmcnt(1)
	v_add_co_u32_e32 v30, vcc, v30, v56
	v_addc_co_u32_e32 v31, vcc, 0, v31, vcc
	v_add_co_u32_e32 v52, vcc, v52, v56
	v_addc_co_u32_e32 v53, vcc, 0, v53, vcc
	s_waitcnt vmcnt(0)
	v_sub_u32_e32 v5, v5, v49
	v_cmp_gt_i32_e32 vcc, 1, v5
	s_or_b64 s[94:95], vcc, s[94:95]
	v_add_co_u32_e32 v44, vcc, v44, v56
	v_addc_co_u32_e32 v45, vcc, 0, v45, vcc
	s_andn2_b64 exec, exec, s[94:95]
	s_cbranch_execz .LBB6_2148
.LBB6_356:                              ;   Parent Loop BB6_47 Depth=1
                                        ;     Parent Loop BB6_271 Depth=2
                                        ;       Parent Loop BB6_274 Depth=3
                                        ; =>      This Inner Loop Header: Depth=4
	global_load_dwordx4 v[48:51], v[30:31], off glc slc
	global_load_dwordx4 v[32:35], v[30:31], off offset:1024 glc slc
	global_load_dwordx4 v[58:61], v[30:31], off offset:2048 glc slc
	;; [unrolled: 1-line block ×3, first 2 shown]
	global_load_dwordx4 v[36:39], v[52:53], off glc slc
	global_load_dwordx4 v[24:27], v[52:53], off offset:1024 glc slc
	global_load_dwordx4 v[16:19], v[52:53], off offset:2048 glc slc
	;; [unrolled: 1-line block ×3, first 2 shown]
	v_mov_b32_e32 v0, 0
	v_mov_b32_e32 v1, 0
	s_waitcnt vmcnt(7)
	v_cmp_ne_u16_sdwa vcc, v48, v21 src0_sel:BYTE_0 src1_sel:DWORD
	s_and_saveexec_b64 s[28:29], vcc
	s_cbranch_execz .LBB6_362
; %bb.357:                              ;   in Loop: Header=BB6_356 Depth=4
	v_cmp_ne_u16_sdwa vcc, v48, s80 src0_sel:BYTE_0 src1_sel:DWORD
	v_bfrev_b32_e32 v1, 1
	s_and_saveexec_b64 s[30:31], vcc
	s_cbranch_execz .LBB6_361
; %bb.358:                              ;   in Loop: Header=BB6_356 Depth=4
	v_and_b32_e32 v2, 0x7f, v48
	v_cmp_ne_u32_e32 vcc, s81, v2
	v_mov_b32_e32 v1, 0x7f800001
	s_and_saveexec_b64 s[34:35], vcc
	s_cbranch_execz .LBB6_360
; %bb.359:                              ;   in Loop: Header=BB6_356 Depth=4
	v_and_b32_e32 v1, 7, v48
	v_ffbh_u32_e32 v1, v1
	v_min_u32_e32 v1, 32, v1
	v_lshrrev_b32_e32 v3, 3, v2
	v_cmp_gt_u32_e32 vcc, 8, v2
	v_subrev_u32_e32 v2, 28, v1
	v_sub_u32_e32 v1, 29, v1
	v_cndmask_b32_e32 v3, v3, v1, vcc
	v_cndmask_b32_e32 v1, 0, v2, vcc
	v_lshlrev_b64 v[1:2], v1, v[48:49]
	v_lshlrev_b32_e32 v2, 24, v48
	v_lshlrev_b32_e32 v1, 20, v1
	v_bfrev_b32_e32 v4, 60
	v_and_b32_e32 v1, 0x700000, v1
	v_and_b32_e32 v2, 0x80000000, v2
	v_lshl_add_u32 v3, v3, 23, v4
	v_or3_b32 v1, v2, v3, v1
.LBB6_360:                              ;   in Loop: Header=BB6_356 Depth=4
	s_or_b64 exec, exec, s[34:35]
.LBB6_361:                              ;   in Loop: Header=BB6_356 Depth=4
	s_or_b64 exec, exec, s[30:31]
.LBB6_362:                              ;   in Loop: Header=BB6_356 Depth=4
	s_or_b64 exec, exec, s[28:29]
	s_waitcnt vmcnt(3)
	v_cmp_ne_u16_sdwa vcc, v36, v21 src0_sel:BYTE_0 src1_sel:DWORD
	s_and_saveexec_b64 s[28:29], vcc
	s_cbranch_execz .LBB6_368
; %bb.363:                              ;   in Loop: Header=BB6_356 Depth=4
	v_cmp_ne_u16_sdwa vcc, v36, s80 src0_sel:BYTE_0 src1_sel:DWORD
	v_bfrev_b32_e32 v0, 1
	s_and_saveexec_b64 s[30:31], vcc
	s_cbranch_execz .LBB6_367
; %bb.364:                              ;   in Loop: Header=BB6_356 Depth=4
	v_and_b32_e32 v2, 0x7f, v36
	v_cmp_ne_u32_e32 vcc, s81, v2
	v_mov_b32_e32 v0, 0x7f800001
	s_and_saveexec_b64 s[34:35], vcc
	s_cbranch_execz .LBB6_366
; %bb.365:                              ;   in Loop: Header=BB6_356 Depth=4
	v_and_b32_e32 v0, 7, v36
	v_ffbh_u32_e32 v0, v0
	v_min_u32_e32 v0, 32, v0
	v_lshrrev_b32_e32 v3, 3, v2
	v_cmp_gt_u32_e32 vcc, 8, v2
	v_subrev_u32_e32 v2, 28, v0
	v_sub_u32_e32 v0, 29, v0
	v_cndmask_b32_e32 v2, 0, v2, vcc
	v_cndmask_b32_e32 v0, v3, v0, vcc
	v_lshlrev_b64 v[2:3], v2, v[36:37]
	v_lshlrev_b32_e32 v3, 24, v36
	v_lshlrev_b32_e32 v2, 20, v2
	v_bfrev_b32_e32 v4, 60
	v_and_b32_e32 v2, 0x700000, v2
	v_and_b32_e32 v3, 0x80000000, v3
	v_lshl_add_u32 v0, v0, 23, v4
	v_or3_b32 v0, v3, v0, v2
.LBB6_366:                              ;   in Loop: Header=BB6_356 Depth=4
	s_or_b64 exec, exec, s[34:35]
.LBB6_367:                              ;   in Loop: Header=BB6_356 Depth=4
	s_or_b64 exec, exec, s[30:31]
.LBB6_368:                              ;   in Loop: Header=BB6_356 Depth=4
	s_or_b64 exec, exec, s[28:29]
	v_mul_f32_e32 v1, v1, v0
	v_and_b32_e32 v20, 0x7f800000, v1
	v_cmp_ne_u64_e32 vcc, s[62:63], v[20:21]
                                        ; implicit-def: $vgpr0
                                        ; kill: killed $vgpr0
	s_and_saveexec_b64 s[28:29], vcc
	s_xor_b64 s[30:31], exec, s[28:29]
	s_cbranch_execz .LBB6_382
; %bb.369:                              ;   in Loop: Header=BB6_356 Depth=4
	v_and_b32_e32 v20, 0x7fffffff, v1
	v_cmp_gt_u64_e32 vcc, s[78:79], v[20:21]
	v_and_b32_sdwa v0, v1, s80 dst_sel:DWORD dst_unused:UNUSED_PAD src0_sel:BYTE_3 src1_sel:DWORD
                                        ; implicit-def: $vgpr2
                                        ; kill: killed $vgpr2
	s_and_saveexec_b64 s[28:29], vcc
	s_xor_b64 s[34:35], exec, s[28:29]
	s_cbranch_execz .LBB6_379
; %bb.370:                              ;   in Loop: Header=BB6_356 Depth=4
	v_mov_b32_e32 v2, 0
	v_cmp_ne_u32_e32 vcc, 0, v1
	buffer_store_dword v2, off, s[0:3], s33 offset:96 ; 4-byte Folded Spill
	s_and_saveexec_b64 s[36:37], vcc
	s_cbranch_execz .LBB6_378
; %bb.371:                              ;   in Loop: Header=BB6_356 Depth=4
	v_and_b32_e32 v2, 0x7fffff, v1
	v_bfe_u32 v1, v1, 23, 8
	v_cmp_gt_u32_e64 s[28:29], s47, v1
	v_sub_u32_e32 v3, 0x79, v1
	v_cmp_eq_u32_e32 vcc, 0, v1
	v_cndmask_b32_e64 v3, 0, v3, s[28:29]
	v_mov_b32_e32 v4, 0x78
	v_or_b32_e32 v6, 0x800000, v2
	v_cndmask_b32_e32 v4, v3, v4, vcc
	v_cndmask_b32_e32 v20, v6, v2, vcc
	v_add_u32_e32 v2, 20, v4
	v_lshlrev_b64 v[2:3], v2, -1
	v_add_u32_e32 v6, 19, v4
	v_lshlrev_b64 v[6:7], v6, 1
	v_bfi_b32 v3, v3, 0, 0
	v_bfi_b32 v2, v2, 0, v20
	v_cmp_eq_u64_e64 s[28:29], v[2:3], v[6:7]
	v_lshrrev_b64 v[2:3], v4, v[20:21]
	v_mov_b32_e32 v23, v3
	v_mov_b32_e32 v22, v2
	s_and_saveexec_b64 s[38:39], s[28:29]
; %bb.372:                              ;   in Loop: Header=BB6_356 Depth=4
	v_bfe_u32 v3, v2, 20, 1
	v_add_co_u32_e64 v3, s[28:29], v2, v3
	v_add_co_u32_e64 v22, s[28:29], -1, v3
; %bb.373:                              ;   in Loop: Header=BB6_356 Depth=4
	s_or_b64 exec, exec, s[38:39]
	v_add_u32_e32 v1, 0xffffff81, v1
	v_mov_b32_e32 v3, 0xffffff82
	v_cndmask_b32_e32 v1, v1, v3, vcc
	v_lshrrev_b32_e32 v3, 23, v2
	v_add3_u32 v6, v4, v1, v3
	v_add_u32_e32 v4, 6, v6
	v_and_b32_e32 v1, 0xfffff, v22
	v_add_u32_e32 v20, v1, v2
	v_cmp_ne_u32_e32 vcc, 0, v4
                                        ; implicit-def: $vgpr2_vgpr3
                                        ; implicit-def: $vgpr1
	s_and_saveexec_b64 s[28:29], vcc
	s_xor_b64 s[28:29], exec, s[28:29]
; %bb.374:                              ;   in Loop: Header=BB6_356 Depth=4
	v_cmp_lt_u64_e32 vcc, s[88:89], v[20:21]
	v_add_u32_e32 v1, 7, v6
	v_cndmask_b32_e64 v2, 0, 1, vcc
	v_cndmask_b32_e32 v1, v4, v1, vcc
	v_lshrrev_b64 v[2:3], v2, v[20:21]
; %bb.375:                              ;   in Loop: Header=BB6_356 Depth=4
	s_andn2_saveexec_b64 s[28:29], s[28:29]
; %bb.376:                              ;   in Loop: Header=BB6_356 Depth=4
	v_mov_b32_e32 v2, v20
	v_bfe_u32 v1, v20, 23, 1
	v_mov_b32_e32 v3, v21
; %bb.377:                              ;   in Loop: Header=BB6_356 Depth=4
	s_or_b64 exec, exec, s[28:29]
	v_lshrrev_b64 v[2:3], 20, v[2:3]
	v_cmp_gt_i32_e32 vcc, 16, v1
	v_cndmask_b32_e32 v3, 0, v3, vcc
	v_cndmask_b32_e32 v2, 7, v2, vcc
	v_cmp_eq_u32_e32 vcc, 0, v1
	v_min_i32_e32 v1, 15, v1
	v_cmp_eq_u64_e64 s[28:29], 0, v[2:3]
	v_lshlrev_b32_e32 v1, 3, v1
	v_and_b32_e32 v1, 0xf8, v1
	v_and_or_b32 v1, v2, 7, v1
	s_and_b64 s[28:29], vcc, s[28:29]
	v_cndmask_b32_e64 v1, v1, 0, s[28:29]
	v_or_b32_e32 v0, v1, v0
	buffer_store_dword v0, off, s[0:3], s33 offset:96 ; 4-byte Folded Spill
.LBB6_378:                              ;   in Loop: Header=BB6_356 Depth=4
	s_or_b64 exec, exec, s[36:37]
                                        ; implicit-def: $vgpr0
.LBB6_379:                              ;   in Loop: Header=BB6_356 Depth=4
	s_andn2_saveexec_b64 s[28:29], s[34:35]
	s_cbranch_execz .LBB6_381
; %bb.380:                              ;   in Loop: Header=BB6_356 Depth=4
	v_or_b32_e32 v0, 0x7e, v0
	buffer_store_dword v0, off, s[0:3], s33 offset:96 ; 4-byte Folded Spill
.LBB6_381:                              ;   in Loop: Header=BB6_356 Depth=4
	s_or_b64 exec, exec, s[28:29]
                                        ; implicit-def: $vgpr1
.LBB6_382:                              ;   in Loop: Header=BB6_356 Depth=4
	s_andn2_saveexec_b64 s[28:29], s[30:31]
	s_cbranch_execz .LBB6_384
; %bb.383:                              ;   in Loop: Header=BB6_356 Depth=4
	v_or_b32_sdwa v0, v1, s81 dst_sel:DWORD dst_unused:UNUSED_PAD src0_sel:BYTE_3 src1_sel:DWORD
	buffer_store_dword v0, off, s[0:3], s33 offset:96 ; 4-byte Folded Spill
.LBB6_384:                              ;   in Loop: Header=BB6_356 Depth=4
	s_or_b64 exec, exec, s[28:29]
	v_lshrrev_b16_e32 v2, 8, v48
	v_cmp_ne_u16_e32 vcc, 0, v2
	v_mov_b32_e32 v0, 0
	v_mov_b32_e32 v1, 0
	s_and_saveexec_b64 s[28:29], vcc
	s_cbranch_execz .LBB6_390
; %bb.385:                              ;   in Loop: Header=BB6_356 Depth=4
	v_cmp_ne_u16_e32 vcc, s80, v2
	v_bfrev_b32_e32 v1, 1
	s_and_saveexec_b64 s[30:31], vcc
	s_cbranch_execz .LBB6_389
; %bb.386:                              ;   in Loop: Header=BB6_356 Depth=4
	v_and_b32_e32 v3, 0x7f, v2
	v_cmp_ne_u32_e32 vcc, s81, v3
	v_mov_b32_e32 v1, 0x7f800001
	s_and_saveexec_b64 s[34:35], vcc
	s_cbranch_execz .LBB6_388
; %bb.387:                              ;   in Loop: Header=BB6_356 Depth=4
	v_and_b32_e32 v4, 7, v2
	v_ffbh_u32_e32 v1, v4
	v_lshrrev_b32_e32 v6, 3, v3
	v_cmp_gt_u32_e32 vcc, 8, v3
	v_min_u32_e32 v3, 32, v1
	v_subrev_u32_e32 v1, 28, v3
	v_lshlrev_b64 v[1:2], v1, v[2:3]
	v_sub_u32_e32 v2, 29, v3
	v_and_b32_e32 v1, 7, v1
	v_cndmask_b32_e32 v2, v6, v2, vcc
	v_cndmask_b32_e32 v1, v4, v1, vcc
	v_lshlrev_b32_e32 v3, 16, v48
	v_bfrev_b32_e32 v4, 60
	v_lshlrev_b32_e32 v1, 20, v1
	v_and_b32_e32 v3, 0x80000000, v3
	v_lshl_add_u32 v2, v2, 23, v4
	v_or3_b32 v1, v3, v2, v1
.LBB6_388:                              ;   in Loop: Header=BB6_356 Depth=4
	s_or_b64 exec, exec, s[34:35]
.LBB6_389:                              ;   in Loop: Header=BB6_356 Depth=4
	s_or_b64 exec, exec, s[30:31]
.LBB6_390:                              ;   in Loop: Header=BB6_356 Depth=4
	s_or_b64 exec, exec, s[28:29]
	v_lshrrev_b16_e32 v2, 8, v36
	v_cmp_ne_u16_e32 vcc, 0, v2
	s_and_saveexec_b64 s[28:29], vcc
	s_cbranch_execz .LBB6_396
; %bb.391:                              ;   in Loop: Header=BB6_356 Depth=4
	v_cmp_ne_u16_e32 vcc, s80, v2
	v_bfrev_b32_e32 v0, 1
	s_and_saveexec_b64 s[30:31], vcc
	s_cbranch_execz .LBB6_395
; %bb.392:                              ;   in Loop: Header=BB6_356 Depth=4
	v_and_b32_e32 v3, 0x7f, v2
	v_cmp_ne_u32_e32 vcc, s81, v3
	v_mov_b32_e32 v0, 0x7f800001
	s_and_saveexec_b64 s[34:35], vcc
	s_cbranch_execz .LBB6_394
; %bb.393:                              ;   in Loop: Header=BB6_356 Depth=4
	v_and_b32_e32 v0, 7, v2
	v_lshrrev_b32_e32 v4, 3, v3
	v_cmp_gt_u32_e32 vcc, 8, v3
	v_ffbh_u32_e32 v3, v0
	v_min_u32_e32 v6, 32, v3
	v_subrev_u32_e32 v3, 28, v6
	v_lshlrev_b64 v[2:3], v3, v[2:3]
	v_sub_u32_e32 v3, 29, v6
	v_and_b32_e32 v2, 7, v2
	v_cndmask_b32_e32 v3, v4, v3, vcc
	v_cndmask_b32_e32 v0, v0, v2, vcc
	v_lshlrev_b32_e32 v2, 16, v36
	v_bfrev_b32_e32 v4, 60
	v_lshlrev_b32_e32 v0, 20, v0
	v_and_b32_e32 v2, 0x80000000, v2
	v_lshl_add_u32 v3, v3, 23, v4
	v_or3_b32 v0, v2, v3, v0
.LBB6_394:                              ;   in Loop: Header=BB6_356 Depth=4
	s_or_b64 exec, exec, s[34:35]
.LBB6_395:                              ;   in Loop: Header=BB6_356 Depth=4
	s_or_b64 exec, exec, s[30:31]
.LBB6_396:                              ;   in Loop: Header=BB6_356 Depth=4
	s_or_b64 exec, exec, s[28:29]
	v_mul_f32_e32 v1, v1, v0
	v_and_b32_e32 v20, 0x7f800000, v1
	v_cmp_ne_u64_e32 vcc, s[62:63], v[20:21]
                                        ; implicit-def: $vgpr0
                                        ; kill: killed $vgpr0
	s_and_saveexec_b64 s[28:29], vcc
	s_xor_b64 s[30:31], exec, s[28:29]
	s_cbranch_execz .LBB6_410
; %bb.397:                              ;   in Loop: Header=BB6_356 Depth=4
	v_and_b32_e32 v20, 0x7fffffff, v1
	v_cmp_gt_u64_e32 vcc, s[78:79], v[20:21]
	v_and_b32_sdwa v0, v1, s80 dst_sel:DWORD dst_unused:UNUSED_PAD src0_sel:BYTE_3 src1_sel:DWORD
                                        ; implicit-def: $vgpr2
                                        ; kill: killed $vgpr2
	s_and_saveexec_b64 s[28:29], vcc
	s_xor_b64 s[34:35], exec, s[28:29]
	s_cbranch_execz .LBB6_407
; %bb.398:                              ;   in Loop: Header=BB6_356 Depth=4
	v_mov_b32_e32 v2, 0
	v_cmp_ne_u32_e32 vcc, 0, v1
	buffer_store_dword v2, off, s[0:3], s33 offset:100 ; 4-byte Folded Spill
	s_and_saveexec_b64 s[36:37], vcc
	s_cbranch_execz .LBB6_406
; %bb.399:                              ;   in Loop: Header=BB6_356 Depth=4
	v_and_b32_e32 v2, 0x7fffff, v1
	v_bfe_u32 v1, v1, 23, 8
	v_cmp_gt_u32_e64 s[28:29], s47, v1
	v_sub_u32_e32 v3, 0x79, v1
	v_cmp_eq_u32_e32 vcc, 0, v1
	v_cndmask_b32_e64 v3, 0, v3, s[28:29]
	v_mov_b32_e32 v4, 0x78
	v_or_b32_e32 v6, 0x800000, v2
	v_cndmask_b32_e32 v4, v3, v4, vcc
	v_cndmask_b32_e32 v20, v6, v2, vcc
	v_add_u32_e32 v2, 20, v4
	v_lshlrev_b64 v[2:3], v2, -1
	v_add_u32_e32 v6, 19, v4
	v_lshlrev_b64 v[6:7], v6, 1
	v_bfi_b32 v3, v3, 0, 0
	v_bfi_b32 v2, v2, 0, v20
	v_cmp_eq_u64_e64 s[28:29], v[2:3], v[6:7]
	v_lshrrev_b64 v[2:3], v4, v[20:21]
	v_mov_b32_e32 v23, v3
	v_mov_b32_e32 v22, v2
	s_and_saveexec_b64 s[38:39], s[28:29]
; %bb.400:                              ;   in Loop: Header=BB6_356 Depth=4
	v_bfe_u32 v3, v2, 20, 1
	v_add_co_u32_e64 v3, s[28:29], v2, v3
	v_add_co_u32_e64 v22, s[28:29], -1, v3
; %bb.401:                              ;   in Loop: Header=BB6_356 Depth=4
	s_or_b64 exec, exec, s[38:39]
	v_add_u32_e32 v1, 0xffffff81, v1
	v_mov_b32_e32 v3, 0xffffff82
	v_cndmask_b32_e32 v1, v1, v3, vcc
	v_lshrrev_b32_e32 v3, 23, v2
	v_add3_u32 v6, v4, v1, v3
	v_add_u32_e32 v4, 6, v6
	v_and_b32_e32 v1, 0xfffff, v22
	v_add_u32_e32 v20, v1, v2
	v_cmp_ne_u32_e32 vcc, 0, v4
                                        ; implicit-def: $vgpr2_vgpr3
                                        ; implicit-def: $vgpr1
	s_and_saveexec_b64 s[28:29], vcc
	s_xor_b64 s[28:29], exec, s[28:29]
; %bb.402:                              ;   in Loop: Header=BB6_356 Depth=4
	v_cmp_lt_u64_e32 vcc, s[88:89], v[20:21]
	v_add_u32_e32 v1, 7, v6
	v_cndmask_b32_e64 v2, 0, 1, vcc
	v_cndmask_b32_e32 v1, v4, v1, vcc
	v_lshrrev_b64 v[2:3], v2, v[20:21]
; %bb.403:                              ;   in Loop: Header=BB6_356 Depth=4
	s_andn2_saveexec_b64 s[28:29], s[28:29]
; %bb.404:                              ;   in Loop: Header=BB6_356 Depth=4
	v_mov_b32_e32 v2, v20
	v_bfe_u32 v1, v20, 23, 1
	v_mov_b32_e32 v3, v21
; %bb.405:                              ;   in Loop: Header=BB6_356 Depth=4
	s_or_b64 exec, exec, s[28:29]
	v_lshrrev_b64 v[2:3], 20, v[2:3]
	v_cmp_gt_i32_e32 vcc, 16, v1
	v_cndmask_b32_e32 v3, 0, v3, vcc
	v_cndmask_b32_e32 v2, 7, v2, vcc
	v_cmp_eq_u32_e32 vcc, 0, v1
	v_min_i32_e32 v1, 15, v1
	v_cmp_eq_u64_e64 s[28:29], 0, v[2:3]
	v_lshlrev_b32_e32 v1, 3, v1
	v_and_b32_e32 v1, 0xf8, v1
	v_and_or_b32 v1, v2, 7, v1
	s_and_b64 s[28:29], vcc, s[28:29]
	v_cndmask_b32_e64 v1, v1, 0, s[28:29]
	v_or_b32_e32 v0, v1, v0
	buffer_store_dword v0, off, s[0:3], s33 offset:100 ; 4-byte Folded Spill
.LBB6_406:                              ;   in Loop: Header=BB6_356 Depth=4
	s_or_b64 exec, exec, s[36:37]
                                        ; implicit-def: $vgpr0
.LBB6_407:                              ;   in Loop: Header=BB6_356 Depth=4
	s_andn2_saveexec_b64 s[28:29], s[34:35]
	s_cbranch_execz .LBB6_409
; %bb.408:                              ;   in Loop: Header=BB6_356 Depth=4
	v_or_b32_e32 v0, 0x7e, v0
	buffer_store_dword v0, off, s[0:3], s33 offset:100 ; 4-byte Folded Spill
.LBB6_409:                              ;   in Loop: Header=BB6_356 Depth=4
	s_or_b64 exec, exec, s[28:29]
                                        ; implicit-def: $vgpr1
.LBB6_410:                              ;   in Loop: Header=BB6_356 Depth=4
	s_andn2_saveexec_b64 s[28:29], s[30:31]
	s_cbranch_execz .LBB6_412
; %bb.411:                              ;   in Loop: Header=BB6_356 Depth=4
	v_or_b32_sdwa v0, v1, s81 dst_sel:DWORD dst_unused:UNUSED_PAD src0_sel:BYTE_3 src1_sel:DWORD
	buffer_store_dword v0, off, s[0:3], s33 offset:100 ; 4-byte Folded Spill
.LBB6_412:                              ;   in Loop: Header=BB6_356 Depth=4
	s_or_b64 exec, exec, s[28:29]
	v_lshrrev_b32_e32 v2, 16, v48
	v_cmp_ne_u16_sdwa vcc, v2, v21 src0_sel:BYTE_0 src1_sel:DWORD
	v_mov_b32_e32 v0, 0
	v_mov_b32_e32 v1, 0
	s_and_saveexec_b64 s[28:29], vcc
	s_cbranch_execz .LBB6_418
; %bb.413:                              ;   in Loop: Header=BB6_356 Depth=4
	v_cmp_ne_u16_sdwa vcc, v2, s80 src0_sel:BYTE_0 src1_sel:DWORD
	v_bfrev_b32_e32 v1, 1
	s_and_saveexec_b64 s[30:31], vcc
	s_cbranch_execz .LBB6_417
; %bb.414:                              ;   in Loop: Header=BB6_356 Depth=4
	v_bfe_u32 v3, v48, 16, 7
	v_cmp_ne_u32_e32 vcc, s81, v3
	v_mov_b32_e32 v1, 0x7f800001
	s_and_saveexec_b64 s[34:35], vcc
	s_cbranch_execz .LBB6_416
; %bb.415:                              ;   in Loop: Header=BB6_356 Depth=4
	v_and_b32_e32 v1, 7, v2
	v_lshrrev_b32_e32 v6, 3, v3
	v_cmp_gt_u32_e32 vcc, 8, v3
	v_ffbh_u32_e32 v3, v1
	v_min_u32_e32 v7, 32, v3
	v_subrev_u32_e32 v3, 28, v7
	v_lshlrev_b64 v[3:4], v3, v[2:3]
	v_sub_u32_e32 v4, 29, v7
	v_and_b32_e32 v3, 7, v3
	v_cndmask_b32_e32 v4, v6, v4, vcc
	v_cndmask_b32_e32 v1, v1, v3, vcc
	v_lshlrev_b32_e32 v2, 24, v2
	v_bfrev_b32_e32 v3, 60
	v_lshlrev_b32_e32 v1, 20, v1
	v_and_b32_e32 v2, 0x80000000, v2
	v_lshl_add_u32 v3, v4, 23, v3
	v_or3_b32 v1, v2, v3, v1
.LBB6_416:                              ;   in Loop: Header=BB6_356 Depth=4
	s_or_b64 exec, exec, s[34:35]
.LBB6_417:                              ;   in Loop: Header=BB6_356 Depth=4
	s_or_b64 exec, exec, s[30:31]
.LBB6_418:                              ;   in Loop: Header=BB6_356 Depth=4
	s_or_b64 exec, exec, s[28:29]
	v_lshrrev_b32_e32 v2, 16, v36
	v_cmp_ne_u16_sdwa vcc, v2, v21 src0_sel:BYTE_0 src1_sel:DWORD
	s_and_saveexec_b64 s[28:29], vcc
	s_cbranch_execz .LBB6_424
; %bb.419:                              ;   in Loop: Header=BB6_356 Depth=4
	v_cmp_ne_u16_sdwa vcc, v2, s80 src0_sel:BYTE_0 src1_sel:DWORD
	v_bfrev_b32_e32 v0, 1
	s_and_saveexec_b64 s[30:31], vcc
	s_cbranch_execz .LBB6_423
; %bb.420:                              ;   in Loop: Header=BB6_356 Depth=4
	v_bfe_u32 v3, v36, 16, 7
	v_cmp_ne_u32_e32 vcc, s81, v3
	v_mov_b32_e32 v0, 0x7f800001
	s_and_saveexec_b64 s[34:35], vcc
	s_cbranch_execz .LBB6_422
; %bb.421:                              ;   in Loop: Header=BB6_356 Depth=4
	v_and_b32_e32 v0, 7, v2
	v_lshrrev_b32_e32 v4, 3, v3
	v_cmp_gt_u32_e32 vcc, 8, v3
	v_ffbh_u32_e32 v3, v0
	v_min_u32_e32 v6, 32, v3
	v_subrev_u32_e32 v3, 28, v6
	v_lshlrev_b64 v[2:3], v3, v[2:3]
	v_sub_u32_e32 v3, 29, v6
	v_and_b32_e32 v2, 7, v2
	v_cndmask_b32_e32 v3, v4, v3, vcc
	v_cndmask_b32_e32 v0, v0, v2, vcc
	v_lshlrev_b32_e32 v2, 8, v36
	v_bfrev_b32_e32 v4, 60
	v_lshlrev_b32_e32 v0, 20, v0
	v_and_b32_e32 v2, 0x80000000, v2
	v_lshl_add_u32 v3, v3, 23, v4
	v_or3_b32 v0, v2, v3, v0
.LBB6_422:                              ;   in Loop: Header=BB6_356 Depth=4
	s_or_b64 exec, exec, s[34:35]
.LBB6_423:                              ;   in Loop: Header=BB6_356 Depth=4
	s_or_b64 exec, exec, s[30:31]
.LBB6_424:                              ;   in Loop: Header=BB6_356 Depth=4
	s_or_b64 exec, exec, s[28:29]
	v_mul_f32_e32 v1, v1, v0
	v_and_b32_e32 v20, 0x7f800000, v1
	v_cmp_ne_u64_e32 vcc, s[62:63], v[20:21]
                                        ; implicit-def: $vgpr0
                                        ; kill: killed $vgpr0
	s_and_saveexec_b64 s[28:29], vcc
	s_xor_b64 s[30:31], exec, s[28:29]
	s_cbranch_execz .LBB6_438
; %bb.425:                              ;   in Loop: Header=BB6_356 Depth=4
	v_and_b32_e32 v20, 0x7fffffff, v1
	v_cmp_gt_u64_e32 vcc, s[78:79], v[20:21]
	v_and_b32_sdwa v0, v1, s80 dst_sel:DWORD dst_unused:UNUSED_PAD src0_sel:BYTE_3 src1_sel:DWORD
                                        ; implicit-def: $vgpr2
                                        ; kill: killed $vgpr2
	s_and_saveexec_b64 s[28:29], vcc
	s_xor_b64 s[34:35], exec, s[28:29]
	s_cbranch_execz .LBB6_435
; %bb.426:                              ;   in Loop: Header=BB6_356 Depth=4
	v_mov_b32_e32 v2, 0
	v_cmp_ne_u32_e32 vcc, 0, v1
	buffer_store_dword v2, off, s[0:3], s33 offset:104 ; 4-byte Folded Spill
	s_and_saveexec_b64 s[36:37], vcc
	s_cbranch_execz .LBB6_434
; %bb.427:                              ;   in Loop: Header=BB6_356 Depth=4
	v_and_b32_e32 v2, 0x7fffff, v1
	v_bfe_u32 v1, v1, 23, 8
	v_cmp_gt_u32_e64 s[28:29], s47, v1
	v_sub_u32_e32 v3, 0x79, v1
	v_cmp_eq_u32_e32 vcc, 0, v1
	v_cndmask_b32_e64 v3, 0, v3, s[28:29]
	v_mov_b32_e32 v4, 0x78
	v_or_b32_e32 v6, 0x800000, v2
	v_cndmask_b32_e32 v4, v3, v4, vcc
	v_cndmask_b32_e32 v20, v6, v2, vcc
	v_add_u32_e32 v2, 20, v4
	v_lshlrev_b64 v[2:3], v2, -1
	v_add_u32_e32 v6, 19, v4
	v_lshlrev_b64 v[6:7], v6, 1
	v_bfi_b32 v3, v3, 0, 0
	v_bfi_b32 v2, v2, 0, v20
	v_cmp_eq_u64_e64 s[28:29], v[2:3], v[6:7]
	v_lshrrev_b64 v[2:3], v4, v[20:21]
	v_mov_b32_e32 v23, v3
	v_mov_b32_e32 v22, v2
	s_and_saveexec_b64 s[38:39], s[28:29]
; %bb.428:                              ;   in Loop: Header=BB6_356 Depth=4
	v_bfe_u32 v3, v2, 20, 1
	v_add_co_u32_e64 v3, s[28:29], v2, v3
	v_add_co_u32_e64 v22, s[28:29], -1, v3
; %bb.429:                              ;   in Loop: Header=BB6_356 Depth=4
	s_or_b64 exec, exec, s[38:39]
	v_add_u32_e32 v1, 0xffffff81, v1
	v_mov_b32_e32 v3, 0xffffff82
	v_cndmask_b32_e32 v1, v1, v3, vcc
	v_lshrrev_b32_e32 v3, 23, v2
	v_add3_u32 v6, v4, v1, v3
	v_add_u32_e32 v4, 6, v6
	v_and_b32_e32 v1, 0xfffff, v22
	v_add_u32_e32 v20, v1, v2
	v_cmp_ne_u32_e32 vcc, 0, v4
                                        ; implicit-def: $vgpr2_vgpr3
                                        ; implicit-def: $vgpr1
	s_and_saveexec_b64 s[28:29], vcc
	s_xor_b64 s[28:29], exec, s[28:29]
; %bb.430:                              ;   in Loop: Header=BB6_356 Depth=4
	v_cmp_lt_u64_e32 vcc, s[88:89], v[20:21]
	v_add_u32_e32 v1, 7, v6
	v_cndmask_b32_e64 v2, 0, 1, vcc
	v_cndmask_b32_e32 v1, v4, v1, vcc
	v_lshrrev_b64 v[2:3], v2, v[20:21]
; %bb.431:                              ;   in Loop: Header=BB6_356 Depth=4
	s_andn2_saveexec_b64 s[28:29], s[28:29]
; %bb.432:                              ;   in Loop: Header=BB6_356 Depth=4
	v_mov_b32_e32 v2, v20
	v_bfe_u32 v1, v20, 23, 1
	v_mov_b32_e32 v3, v21
; %bb.433:                              ;   in Loop: Header=BB6_356 Depth=4
	s_or_b64 exec, exec, s[28:29]
	v_lshrrev_b64 v[2:3], 20, v[2:3]
	v_cmp_gt_i32_e32 vcc, 16, v1
	v_cndmask_b32_e32 v3, 0, v3, vcc
	v_cndmask_b32_e32 v2, 7, v2, vcc
	v_cmp_eq_u32_e32 vcc, 0, v1
	v_min_i32_e32 v1, 15, v1
	v_cmp_eq_u64_e64 s[28:29], 0, v[2:3]
	v_lshlrev_b32_e32 v1, 3, v1
	v_and_b32_e32 v1, 0xf8, v1
	v_and_or_b32 v1, v2, 7, v1
	s_and_b64 s[28:29], vcc, s[28:29]
	v_cndmask_b32_e64 v1, v1, 0, s[28:29]
	v_or_b32_e32 v0, v1, v0
	buffer_store_dword v0, off, s[0:3], s33 offset:104 ; 4-byte Folded Spill
.LBB6_434:                              ;   in Loop: Header=BB6_356 Depth=4
	s_or_b64 exec, exec, s[36:37]
                                        ; implicit-def: $vgpr0
.LBB6_435:                              ;   in Loop: Header=BB6_356 Depth=4
	s_andn2_saveexec_b64 s[28:29], s[34:35]
	s_cbranch_execz .LBB6_437
; %bb.436:                              ;   in Loop: Header=BB6_356 Depth=4
	v_or_b32_e32 v0, 0x7e, v0
	buffer_store_dword v0, off, s[0:3], s33 offset:104 ; 4-byte Folded Spill
.LBB6_437:                              ;   in Loop: Header=BB6_356 Depth=4
	s_or_b64 exec, exec, s[28:29]
                                        ; implicit-def: $vgpr1
.LBB6_438:                              ;   in Loop: Header=BB6_356 Depth=4
	s_andn2_saveexec_b64 s[28:29], s[30:31]
	s_cbranch_execz .LBB6_440
; %bb.439:                              ;   in Loop: Header=BB6_356 Depth=4
	v_or_b32_sdwa v0, v1, s81 dst_sel:DWORD dst_unused:UNUSED_PAD src0_sel:BYTE_3 src1_sel:DWORD
	buffer_store_dword v0, off, s[0:3], s33 offset:104 ; 4-byte Folded Spill
.LBB6_440:                              ;   in Loop: Header=BB6_356 Depth=4
	s_or_b64 exec, exec, s[28:29]
	v_cmp_lt_u32_e32 vcc, s57, v48
	v_mov_b32_e32 v0, 0
	v_mov_b32_e32 v1, 0
	s_and_saveexec_b64 s[28:29], vcc
	s_cbranch_execz .LBB6_446
; %bb.441:                              ;   in Loop: Header=BB6_356 Depth=4
	v_lshrrev_b32_e32 v2, 24, v48
	v_cmp_ne_u32_e32 vcc, s80, v2
	v_bfrev_b32_e32 v1, 1
	s_and_saveexec_b64 s[30:31], vcc
	s_cbranch_execz .LBB6_445
; %bb.442:                              ;   in Loop: Header=BB6_356 Depth=4
	v_bfe_u32 v3, v48, 24, 7
	v_cmp_ne_u32_e32 vcc, s81, v3
	v_mov_b32_e32 v1, 0x7f800001
	s_and_saveexec_b64 s[34:35], vcc
	s_cbranch_execz .LBB6_444
; %bb.443:                              ;   in Loop: Header=BB6_356 Depth=4
	v_and_b32_e32 v1, 7, v2
	v_lshrrev_b32_e32 v6, 3, v3
	v_cmp_gt_u32_e32 vcc, 8, v3
	v_ffbh_u32_e32 v3, v1
	v_min_u32_e32 v7, 32, v3
	v_subrev_u32_e32 v3, 28, v7
	v_lshlrev_b64 v[3:4], v3, v[2:3]
	v_sub_u32_e32 v4, 29, v7
	v_and_b32_e32 v3, 7, v3
	v_cndmask_b32_e32 v4, v6, v4, vcc
	v_cndmask_b32_e32 v1, v1, v3, vcc
	v_lshlrev_b32_e32 v2, 24, v2
	v_bfrev_b32_e32 v3, 60
	v_lshlrev_b32_e32 v1, 20, v1
	v_and_b32_e32 v2, 0x80000000, v2
	v_lshl_add_u32 v3, v4, 23, v3
	v_or3_b32 v1, v2, v3, v1
.LBB6_444:                              ;   in Loop: Header=BB6_356 Depth=4
	s_or_b64 exec, exec, s[34:35]
.LBB6_445:                              ;   in Loop: Header=BB6_356 Depth=4
	s_or_b64 exec, exec, s[30:31]
.LBB6_446:                              ;   in Loop: Header=BB6_356 Depth=4
	s_or_b64 exec, exec, s[28:29]
	v_cmp_lt_u32_e32 vcc, s57, v36
	s_and_saveexec_b64 s[28:29], vcc
	s_cbranch_execz .LBB6_452
; %bb.447:                              ;   in Loop: Header=BB6_356 Depth=4
	v_lshrrev_b32_e32 v2, 24, v36
	v_cmp_ne_u32_e32 vcc, s80, v2
	v_bfrev_b32_e32 v0, 1
	s_and_saveexec_b64 s[30:31], vcc
	s_cbranch_execz .LBB6_451
; %bb.448:                              ;   in Loop: Header=BB6_356 Depth=4
	v_bfe_u32 v3, v36, 24, 7
	v_cmp_ne_u32_e32 vcc, s81, v3
	v_mov_b32_e32 v0, 0x7f800001
	s_and_saveexec_b64 s[34:35], vcc
	s_cbranch_execz .LBB6_450
; %bb.449:                              ;   in Loop: Header=BB6_356 Depth=4
	v_and_b32_e32 v0, 7, v2
	v_lshrrev_b32_e32 v6, 3, v3
	v_cmp_gt_u32_e32 vcc, 8, v3
	v_ffbh_u32_e32 v3, v0
	v_min_u32_e32 v7, 32, v3
	v_subrev_u32_e32 v3, 28, v7
	v_lshlrev_b64 v[3:4], v3, v[2:3]
	v_sub_u32_e32 v4, 29, v7
	v_and_b32_e32 v3, 7, v3
	v_cndmask_b32_e32 v4, v6, v4, vcc
	v_cndmask_b32_e32 v0, v0, v3, vcc
	v_lshlrev_b32_e32 v2, 24, v2
	v_bfrev_b32_e32 v3, 60
	v_lshlrev_b32_e32 v0, 20, v0
	v_and_b32_e32 v2, 0x80000000, v2
	v_lshl_add_u32 v3, v4, 23, v3
	v_or3_b32 v0, v2, v3, v0
.LBB6_450:                              ;   in Loop: Header=BB6_356 Depth=4
	s_or_b64 exec, exec, s[34:35]
.LBB6_451:                              ;   in Loop: Header=BB6_356 Depth=4
	s_or_b64 exec, exec, s[30:31]
.LBB6_452:                              ;   in Loop: Header=BB6_356 Depth=4
	s_or_b64 exec, exec, s[28:29]
	v_mul_f32_e32 v1, v1, v0
	v_and_b32_e32 v20, 0x7f800000, v1
	v_cmp_ne_u64_e32 vcc, s[62:63], v[20:21]
                                        ; implicit-def: $vgpr0
                                        ; kill: killed $vgpr0
	s_and_saveexec_b64 s[28:29], vcc
	s_xor_b64 s[30:31], exec, s[28:29]
	s_cbranch_execz .LBB6_466
; %bb.453:                              ;   in Loop: Header=BB6_356 Depth=4
	v_and_b32_e32 v20, 0x7fffffff, v1
	v_cmp_gt_u64_e32 vcc, s[78:79], v[20:21]
	v_and_b32_sdwa v0, v1, s80 dst_sel:DWORD dst_unused:UNUSED_PAD src0_sel:BYTE_3 src1_sel:DWORD
                                        ; implicit-def: $vgpr2
                                        ; kill: killed $vgpr2
	s_and_saveexec_b64 s[28:29], vcc
	s_xor_b64 s[34:35], exec, s[28:29]
	s_cbranch_execz .LBB6_463
; %bb.454:                              ;   in Loop: Header=BB6_356 Depth=4
	v_mov_b32_e32 v2, 0
	v_cmp_ne_u32_e32 vcc, 0, v1
	buffer_store_dword v2, off, s[0:3], s33 offset:108 ; 4-byte Folded Spill
	s_and_saveexec_b64 s[36:37], vcc
	s_cbranch_execz .LBB6_462
; %bb.455:                              ;   in Loop: Header=BB6_356 Depth=4
	v_and_b32_e32 v2, 0x7fffff, v1
	v_bfe_u32 v1, v1, 23, 8
	v_cmp_gt_u32_e64 s[28:29], s47, v1
	v_sub_u32_e32 v3, 0x79, v1
	v_cmp_eq_u32_e32 vcc, 0, v1
	v_cndmask_b32_e64 v3, 0, v3, s[28:29]
	v_mov_b32_e32 v4, 0x78
	v_or_b32_e32 v6, 0x800000, v2
	v_cndmask_b32_e32 v4, v3, v4, vcc
	v_cndmask_b32_e32 v20, v6, v2, vcc
	v_add_u32_e32 v2, 20, v4
	v_lshlrev_b64 v[2:3], v2, -1
	v_add_u32_e32 v6, 19, v4
	v_lshlrev_b64 v[6:7], v6, 1
	v_bfi_b32 v3, v3, 0, 0
	v_bfi_b32 v2, v2, 0, v20
	v_cmp_eq_u64_e64 s[28:29], v[2:3], v[6:7]
	v_lshrrev_b64 v[2:3], v4, v[20:21]
	v_mov_b32_e32 v23, v3
	v_mov_b32_e32 v22, v2
	s_and_saveexec_b64 s[38:39], s[28:29]
; %bb.456:                              ;   in Loop: Header=BB6_356 Depth=4
	v_bfe_u32 v3, v2, 20, 1
	v_add_co_u32_e64 v3, s[28:29], v2, v3
	v_add_co_u32_e64 v22, s[28:29], -1, v3
; %bb.457:                              ;   in Loop: Header=BB6_356 Depth=4
	s_or_b64 exec, exec, s[38:39]
	v_add_u32_e32 v1, 0xffffff81, v1
	v_mov_b32_e32 v3, 0xffffff82
	v_cndmask_b32_e32 v1, v1, v3, vcc
	v_lshrrev_b32_e32 v3, 23, v2
	v_add3_u32 v6, v4, v1, v3
	v_add_u32_e32 v4, 6, v6
	v_and_b32_e32 v1, 0xfffff, v22
	v_add_u32_e32 v20, v1, v2
	v_cmp_ne_u32_e32 vcc, 0, v4
                                        ; implicit-def: $vgpr2_vgpr3
                                        ; implicit-def: $vgpr1
	s_and_saveexec_b64 s[28:29], vcc
	s_xor_b64 s[28:29], exec, s[28:29]
; %bb.458:                              ;   in Loop: Header=BB6_356 Depth=4
	v_cmp_lt_u64_e32 vcc, s[88:89], v[20:21]
	v_add_u32_e32 v1, 7, v6
	v_cndmask_b32_e64 v2, 0, 1, vcc
	v_cndmask_b32_e32 v1, v4, v1, vcc
	v_lshrrev_b64 v[2:3], v2, v[20:21]
; %bb.459:                              ;   in Loop: Header=BB6_356 Depth=4
	s_andn2_saveexec_b64 s[28:29], s[28:29]
; %bb.460:                              ;   in Loop: Header=BB6_356 Depth=4
	v_mov_b32_e32 v2, v20
	v_bfe_u32 v1, v20, 23, 1
	v_mov_b32_e32 v3, v21
; %bb.461:                              ;   in Loop: Header=BB6_356 Depth=4
	s_or_b64 exec, exec, s[28:29]
	v_lshrrev_b64 v[2:3], 20, v[2:3]
	v_cmp_gt_i32_e32 vcc, 16, v1
	v_cndmask_b32_e32 v3, 0, v3, vcc
	v_cndmask_b32_e32 v2, 7, v2, vcc
	v_cmp_eq_u32_e32 vcc, 0, v1
	v_min_i32_e32 v1, 15, v1
	v_cmp_eq_u64_e64 s[28:29], 0, v[2:3]
	v_lshlrev_b32_e32 v1, 3, v1
	v_and_b32_e32 v1, 0xf8, v1
	v_and_or_b32 v1, v2, 7, v1
	s_and_b64 s[28:29], vcc, s[28:29]
	v_cndmask_b32_e64 v1, v1, 0, s[28:29]
	v_or_b32_e32 v0, v1, v0
	buffer_store_dword v0, off, s[0:3], s33 offset:108 ; 4-byte Folded Spill
.LBB6_462:                              ;   in Loop: Header=BB6_356 Depth=4
	s_or_b64 exec, exec, s[36:37]
                                        ; implicit-def: $vgpr0
.LBB6_463:                              ;   in Loop: Header=BB6_356 Depth=4
	s_andn2_saveexec_b64 s[28:29], s[34:35]
	s_cbranch_execz .LBB6_465
; %bb.464:                              ;   in Loop: Header=BB6_356 Depth=4
	v_or_b32_e32 v0, 0x7e, v0
	buffer_store_dword v0, off, s[0:3], s33 offset:108 ; 4-byte Folded Spill
.LBB6_465:                              ;   in Loop: Header=BB6_356 Depth=4
	s_or_b64 exec, exec, s[28:29]
                                        ; implicit-def: $vgpr1
.LBB6_466:                              ;   in Loop: Header=BB6_356 Depth=4
	s_andn2_saveexec_b64 s[28:29], s[30:31]
	s_cbranch_execz .LBB6_468
; %bb.467:                              ;   in Loop: Header=BB6_356 Depth=4
	v_or_b32_sdwa v0, v1, s81 dst_sel:DWORD dst_unused:UNUSED_PAD src0_sel:BYTE_3 src1_sel:DWORD
	buffer_store_dword v0, off, s[0:3], s33 offset:108 ; 4-byte Folded Spill
.LBB6_468:                              ;   in Loop: Header=BB6_356 Depth=4
	s_or_b64 exec, exec, s[28:29]
	v_mov_b32_e32 v20, v49
	v_cmp_ne_u16_sdwa vcc, v49, v21 src0_sel:BYTE_0 src1_sel:DWORD
	v_mov_b32_e32 v1, 0
	v_mov_b32_e32 v0, 0
	s_and_saveexec_b64 s[28:29], vcc
	s_cbranch_execz .LBB6_474
; %bb.469:                              ;   in Loop: Header=BB6_356 Depth=4
	v_cmp_ne_u16_sdwa vcc, v49, s80 src0_sel:BYTE_0 src1_sel:DWORD
	v_bfrev_b32_e32 v0, 1
	s_and_saveexec_b64 s[30:31], vcc
	s_cbranch_execz .LBB6_473
; %bb.470:                              ;   in Loop: Header=BB6_356 Depth=4
	v_and_b32_e32 v2, 0x7f, v49
	v_cmp_ne_u32_e32 vcc, s81, v2
	v_mov_b32_e32 v0, 0x7f800001
	s_and_saveexec_b64 s[34:35], vcc
	s_cbranch_execz .LBB6_472
; %bb.471:                              ;   in Loop: Header=BB6_356 Depth=4
	v_and_b32_e32 v0, 7, v49
	v_ffbh_u32_e32 v0, v0
	v_min_u32_e32 v0, 32, v0
	v_lshrrev_b32_e32 v3, 3, v2
	v_cmp_gt_u32_e32 vcc, 8, v2
	v_subrev_u32_e32 v2, 28, v0
	v_sub_u32_e32 v0, 29, v0
	v_cndmask_b32_e32 v2, 0, v2, vcc
	v_cndmask_b32_e32 v0, v3, v0, vcc
	v_lshlrev_b64 v[2:3], v2, v[20:21]
	v_lshlrev_b32_e32 v3, 24, v20
	v_lshlrev_b32_e32 v2, 20, v2
	v_bfrev_b32_e32 v4, 60
	v_and_b32_e32 v2, 0x700000, v2
	v_and_b32_e32 v3, 0x80000000, v3
	v_lshl_add_u32 v0, v0, 23, v4
	v_or3_b32 v0, v3, v0, v2
.LBB6_472:                              ;   in Loop: Header=BB6_356 Depth=4
	s_or_b64 exec, exec, s[34:35]
.LBB6_473:                              ;   in Loop: Header=BB6_356 Depth=4
	s_or_b64 exec, exec, s[30:31]
.LBB6_474:                              ;   in Loop: Header=BB6_356 Depth=4
	s_or_b64 exec, exec, s[28:29]
	v_cmp_ne_u16_sdwa vcc, v37, v21 src0_sel:BYTE_0 src1_sel:DWORD
	s_and_saveexec_b64 s[28:29], vcc
	s_cbranch_execz .LBB6_480
; %bb.475:                              ;   in Loop: Header=BB6_356 Depth=4
	v_cmp_ne_u16_sdwa vcc, v37, s80 src0_sel:BYTE_0 src1_sel:DWORD
	v_bfrev_b32_e32 v1, 1
	s_and_saveexec_b64 s[30:31], vcc
	s_cbranch_execz .LBB6_479
; %bb.476:                              ;   in Loop: Header=BB6_356 Depth=4
	v_and_b32_e32 v2, 0x7f, v37
	v_cmp_ne_u32_e32 vcc, s81, v2
	v_mov_b32_e32 v1, 0x7f800001
	s_and_saveexec_b64 s[34:35], vcc
	s_cbranch_execz .LBB6_478
; %bb.477:                              ;   in Loop: Header=BB6_356 Depth=4
	v_and_b32_e32 v1, 7, v37
	v_ffbh_u32_e32 v1, v1
	v_min_u32_e32 v1, 32, v1
	v_lshrrev_b32_e32 v6, 3, v2
	v_cmp_gt_u32_e32 vcc, 8, v2
	v_subrev_u32_e32 v2, 28, v1
	v_sub_u32_e32 v1, 29, v1
	v_mov_b32_e32 v3, v37
	v_mov_b32_e32 v4, v21
	v_cndmask_b32_e32 v6, v6, v1, vcc
	v_cndmask_b32_e32 v1, 0, v2, vcc
	v_lshlrev_b64 v[1:2], v1, v[3:4]
	v_lshlrev_b32_e32 v2, 24, v3
	v_lshlrev_b32_e32 v1, 20, v1
	v_bfrev_b32_e32 v3, 60
	v_and_b32_e32 v1, 0x700000, v1
	v_and_b32_e32 v2, 0x80000000, v2
	v_lshl_add_u32 v3, v6, 23, v3
	v_or3_b32 v1, v2, v3, v1
.LBB6_478:                              ;   in Loop: Header=BB6_356 Depth=4
	s_or_b64 exec, exec, s[34:35]
.LBB6_479:                              ;   in Loop: Header=BB6_356 Depth=4
	s_or_b64 exec, exec, s[30:31]
.LBB6_480:                              ;   in Loop: Header=BB6_356 Depth=4
	s_or_b64 exec, exec, s[28:29]
	v_mul_f32_e32 v1, v0, v1
	v_and_b32_e32 v2, 0x7f800000, v1
	v_mov_b32_e32 v3, v21
	v_cmp_ne_u64_e32 vcc, s[62:63], v[2:3]
                                        ; implicit-def: $vgpr0
                                        ; kill: killed $vgpr0
	s_and_saveexec_b64 s[28:29], vcc
	s_xor_b64 s[30:31], exec, s[28:29]
	s_cbranch_execz .LBB6_494
; %bb.481:                              ;   in Loop: Header=BB6_356 Depth=4
	v_and_b32_e32 v2, 0x7fffffff, v1
	v_mov_b32_e32 v3, v21
	v_cmp_gt_u64_e32 vcc, s[78:79], v[2:3]
	v_and_b32_sdwa v0, v1, s80 dst_sel:DWORD dst_unused:UNUSED_PAD src0_sel:BYTE_3 src1_sel:DWORD
                                        ; implicit-def: $vgpr2
                                        ; kill: killed $vgpr2
	s_and_saveexec_b64 s[28:29], vcc
	s_xor_b64 s[34:35], exec, s[28:29]
	s_cbranch_execz .LBB6_491
; %bb.482:                              ;   in Loop: Header=BB6_356 Depth=4
	v_mov_b32_e32 v2, 0
	v_cmp_ne_u32_e32 vcc, 0, v1
	buffer_store_dword v2, off, s[0:3], s33 offset:112 ; 4-byte Folded Spill
	s_and_saveexec_b64 s[36:37], vcc
	s_cbranch_execz .LBB6_490
; %bb.483:                              ;   in Loop: Header=BB6_356 Depth=4
	v_and_b32_e32 v2, 0x7fffff, v1
	v_bfe_u32 v1, v1, 23, 8
	v_cmp_gt_u32_e64 s[28:29], s47, v1
	v_sub_u32_e32 v3, 0x79, v1
	v_cmp_eq_u32_e32 vcc, 0, v1
	v_cndmask_b32_e64 v3, 0, v3, s[28:29]
	v_mov_b32_e32 v4, 0x78
	v_or_b32_e32 v6, 0x800000, v2
	v_cndmask_b32_e32 v4, v3, v4, vcc
	v_cndmask_b32_e32 v2, v6, v2, vcc
	v_add_u32_e32 v6, 20, v4
	v_lshlrev_b64 v[6:7], v6, -1
	v_mov_b32_e32 v3, v21
	v_add_u32_e32 v22, 19, v4
	v_bfi_b32 v6, v6, 0, v2
	v_lshlrev_b64 v[22:23], v22, 1
	v_lshrrev_b64 v[2:3], v4, v[2:3]
	v_bfi_b32 v7, v7, 0, 0
	v_cmp_eq_u64_e64 s[28:29], v[6:7], v[22:23]
	v_mov_b32_e32 v23, v3
	v_mov_b32_e32 v22, v2
	s_and_saveexec_b64 s[38:39], s[28:29]
; %bb.484:                              ;   in Loop: Header=BB6_356 Depth=4
	v_bfe_u32 v3, v2, 20, 1
	v_add_co_u32_e64 v3, s[28:29], v2, v3
	v_add_co_u32_e64 v22, s[28:29], -1, v3
; %bb.485:                              ;   in Loop: Header=BB6_356 Depth=4
	s_or_b64 exec, exec, s[38:39]
	v_add_u32_e32 v1, 0xffffff81, v1
	v_mov_b32_e32 v3, 0xffffff82
	v_cndmask_b32_e32 v1, v1, v3, vcc
	v_lshrrev_b32_e32 v3, 23, v2
	v_add3_u32 v6, v4, v1, v3
	v_add_u32_e32 v4, 6, v6
	v_and_b32_e32 v1, 0xfffff, v22
	v_add_u32_e32 v2, v1, v2
	v_mov_b32_e32 v3, v21
	v_cmp_ne_u32_e32 vcc, 0, v4
                                        ; implicit-def: $vgpr1
	s_and_saveexec_b64 s[28:29], vcc
	s_xor_b64 s[28:29], exec, s[28:29]
; %bb.486:                              ;   in Loop: Header=BB6_356 Depth=4
	v_cmp_lt_u64_e32 vcc, s[88:89], v[2:3]
	v_add_u32_e32 v1, 7, v6
	v_cndmask_b32_e32 v1, v4, v1, vcc
	v_cndmask_b32_e64 v4, 0, 1, vcc
	v_lshrrev_b64 v[2:3], v4, v[2:3]
; %bb.487:                              ;   in Loop: Header=BB6_356 Depth=4
	s_andn2_saveexec_b64 s[28:29], s[28:29]
; %bb.488:                              ;   in Loop: Header=BB6_356 Depth=4
	v_bfe_u32 v1, v2, 23, 1
; %bb.489:                              ;   in Loop: Header=BB6_356 Depth=4
	s_or_b64 exec, exec, s[28:29]
	v_lshrrev_b64 v[2:3], 20, v[2:3]
	v_cmp_gt_i32_e32 vcc, 16, v1
	v_cndmask_b32_e32 v3, 0, v3, vcc
	v_cndmask_b32_e32 v2, 7, v2, vcc
	v_cmp_eq_u32_e32 vcc, 0, v1
	v_min_i32_e32 v1, 15, v1
	v_cmp_eq_u64_e64 s[28:29], 0, v[2:3]
	v_lshlrev_b32_e32 v1, 3, v1
	v_and_b32_e32 v1, 0xf8, v1
	v_and_or_b32 v1, v2, 7, v1
	s_and_b64 s[28:29], vcc, s[28:29]
	v_cndmask_b32_e64 v1, v1, 0, s[28:29]
	v_or_b32_e32 v0, v1, v0
	buffer_store_dword v0, off, s[0:3], s33 offset:112 ; 4-byte Folded Spill
.LBB6_490:                              ;   in Loop: Header=BB6_356 Depth=4
	s_or_b64 exec, exec, s[36:37]
                                        ; implicit-def: $vgpr0
.LBB6_491:                              ;   in Loop: Header=BB6_356 Depth=4
	s_andn2_saveexec_b64 s[28:29], s[34:35]
	s_cbranch_execz .LBB6_493
; %bb.492:                              ;   in Loop: Header=BB6_356 Depth=4
	v_or_b32_e32 v0, 0x7e, v0
	buffer_store_dword v0, off, s[0:3], s33 offset:112 ; 4-byte Folded Spill
.LBB6_493:                              ;   in Loop: Header=BB6_356 Depth=4
	s_or_b64 exec, exec, s[28:29]
                                        ; implicit-def: $vgpr1
.LBB6_494:                              ;   in Loop: Header=BB6_356 Depth=4
	s_andn2_saveexec_b64 s[28:29], s[30:31]
	s_cbranch_execz .LBB6_496
; %bb.495:                              ;   in Loop: Header=BB6_356 Depth=4
	v_or_b32_sdwa v0, v1, s81 dst_sel:DWORD dst_unused:UNUSED_PAD src0_sel:BYTE_3 src1_sel:DWORD
	buffer_store_dword v0, off, s[0:3], s33 offset:112 ; 4-byte Folded Spill
.LBB6_496:                              ;   in Loop: Header=BB6_356 Depth=4
	s_or_b64 exec, exec, s[28:29]
	v_lshrrev_b16_e32 v2, 8, v20
	v_cmp_ne_u16_e32 vcc, 0, v2
	v_mov_b32_e32 v0, 0
	v_mov_b32_e32 v1, 0
	s_and_saveexec_b64 s[28:29], vcc
	s_cbranch_execz .LBB6_502
; %bb.497:                              ;   in Loop: Header=BB6_356 Depth=4
	v_cmp_ne_u16_e32 vcc, s80, v2
	v_bfrev_b32_e32 v1, 1
	s_and_saveexec_b64 s[30:31], vcc
	s_cbranch_execz .LBB6_501
; %bb.498:                              ;   in Loop: Header=BB6_356 Depth=4
	v_and_b32_e32 v3, 0x7f, v2
	v_cmp_ne_u32_e32 vcc, s81, v3
	v_mov_b32_e32 v1, 0x7f800001
	s_and_saveexec_b64 s[34:35], vcc
	s_cbranch_execz .LBB6_500
; %bb.499:                              ;   in Loop: Header=BB6_356 Depth=4
	v_and_b32_e32 v4, 7, v2
	v_ffbh_u32_e32 v1, v4
	v_lshrrev_b32_e32 v6, 3, v3
	v_cmp_gt_u32_e32 vcc, 8, v3
	v_min_u32_e32 v3, 32, v1
	v_subrev_u32_e32 v1, 28, v3
	v_lshlrev_b64 v[1:2], v1, v[2:3]
	v_sub_u32_e32 v2, 29, v3
	v_and_b32_e32 v1, 7, v1
	v_cndmask_b32_e32 v2, v6, v2, vcc
	v_cndmask_b32_e32 v1, v4, v1, vcc
	v_lshlrev_b32_e32 v3, 16, v20
	v_bfrev_b32_e32 v4, 60
	v_lshlrev_b32_e32 v1, 20, v1
	v_and_b32_e32 v3, 0x80000000, v3
	v_lshl_add_u32 v2, v2, 23, v4
	v_or3_b32 v1, v3, v2, v1
.LBB6_500:                              ;   in Loop: Header=BB6_356 Depth=4
	s_or_b64 exec, exec, s[34:35]
.LBB6_501:                              ;   in Loop: Header=BB6_356 Depth=4
	s_or_b64 exec, exec, s[30:31]
.LBB6_502:                              ;   in Loop: Header=BB6_356 Depth=4
	s_or_b64 exec, exec, s[28:29]
	v_lshrrev_b16_e32 v2, 8, v37
	v_cmp_ne_u16_e32 vcc, 0, v2
	s_and_saveexec_b64 s[28:29], vcc
	s_cbranch_execz .LBB6_508
; %bb.503:                              ;   in Loop: Header=BB6_356 Depth=4
	v_cmp_ne_u16_e32 vcc, s80, v2
	v_bfrev_b32_e32 v0, 1
	s_and_saveexec_b64 s[30:31], vcc
	s_cbranch_execz .LBB6_507
; %bb.504:                              ;   in Loop: Header=BB6_356 Depth=4
	v_and_b32_e32 v3, 0x7f, v2
	v_cmp_ne_u32_e32 vcc, s81, v3
	v_mov_b32_e32 v0, 0x7f800001
	s_and_saveexec_b64 s[34:35], vcc
	s_cbranch_execz .LBB6_506
; %bb.505:                              ;   in Loop: Header=BB6_356 Depth=4
	v_and_b32_e32 v0, 7, v2
	v_lshrrev_b32_e32 v4, 3, v3
	v_cmp_gt_u32_e32 vcc, 8, v3
	v_ffbh_u32_e32 v3, v0
	v_min_u32_e32 v6, 32, v3
	v_subrev_u32_e32 v3, 28, v6
	v_lshlrev_b64 v[2:3], v3, v[2:3]
	v_sub_u32_e32 v3, 29, v6
	v_and_b32_e32 v2, 7, v2
	v_cndmask_b32_e32 v3, v4, v3, vcc
	v_cndmask_b32_e32 v0, v0, v2, vcc
	v_lshlrev_b32_e32 v2, 16, v37
	v_bfrev_b32_e32 v4, 60
	v_lshlrev_b32_e32 v0, 20, v0
	v_and_b32_e32 v2, 0x80000000, v2
	v_lshl_add_u32 v3, v3, 23, v4
	v_or3_b32 v0, v2, v3, v0
.LBB6_506:                              ;   in Loop: Header=BB6_356 Depth=4
	s_or_b64 exec, exec, s[34:35]
.LBB6_507:                              ;   in Loop: Header=BB6_356 Depth=4
	s_or_b64 exec, exec, s[30:31]
.LBB6_508:                              ;   in Loop: Header=BB6_356 Depth=4
	s_or_b64 exec, exec, s[28:29]
	v_mul_f32_e32 v1, v1, v0
	v_and_b32_e32 v20, 0x7f800000, v1
	v_cmp_ne_u64_e32 vcc, s[62:63], v[20:21]
                                        ; implicit-def: $vgpr0
                                        ; kill: killed $vgpr0
	s_and_saveexec_b64 s[28:29], vcc
	s_xor_b64 s[30:31], exec, s[28:29]
	s_cbranch_execz .LBB6_522
; %bb.509:                              ;   in Loop: Header=BB6_356 Depth=4
	v_and_b32_e32 v20, 0x7fffffff, v1
	v_cmp_gt_u64_e32 vcc, s[78:79], v[20:21]
	v_and_b32_sdwa v0, v1, s80 dst_sel:DWORD dst_unused:UNUSED_PAD src0_sel:BYTE_3 src1_sel:DWORD
                                        ; implicit-def: $vgpr2
                                        ; kill: killed $vgpr2
	s_and_saveexec_b64 s[28:29], vcc
	s_xor_b64 s[34:35], exec, s[28:29]
	s_cbranch_execz .LBB6_519
; %bb.510:                              ;   in Loop: Header=BB6_356 Depth=4
	v_mov_b32_e32 v2, 0
	v_cmp_ne_u32_e32 vcc, 0, v1
	buffer_store_dword v2, off, s[0:3], s33 offset:116 ; 4-byte Folded Spill
	s_and_saveexec_b64 s[36:37], vcc
	s_cbranch_execz .LBB6_518
; %bb.511:                              ;   in Loop: Header=BB6_356 Depth=4
	v_and_b32_e32 v2, 0x7fffff, v1
	v_bfe_u32 v1, v1, 23, 8
	v_cmp_gt_u32_e64 s[28:29], s47, v1
	v_sub_u32_e32 v3, 0x79, v1
	v_cmp_eq_u32_e32 vcc, 0, v1
	v_cndmask_b32_e64 v3, 0, v3, s[28:29]
	v_mov_b32_e32 v4, 0x78
	v_or_b32_e32 v6, 0x800000, v2
	v_cndmask_b32_e32 v4, v3, v4, vcc
	v_cndmask_b32_e32 v20, v6, v2, vcc
	v_add_u32_e32 v2, 20, v4
	v_lshlrev_b64 v[2:3], v2, -1
	v_add_u32_e32 v6, 19, v4
	v_lshlrev_b64 v[6:7], v6, 1
	v_bfi_b32 v3, v3, 0, 0
	v_bfi_b32 v2, v2, 0, v20
	v_cmp_eq_u64_e64 s[28:29], v[2:3], v[6:7]
	v_lshrrev_b64 v[2:3], v4, v[20:21]
	v_mov_b32_e32 v23, v3
	v_mov_b32_e32 v22, v2
	s_and_saveexec_b64 s[38:39], s[28:29]
; %bb.512:                              ;   in Loop: Header=BB6_356 Depth=4
	v_bfe_u32 v3, v2, 20, 1
	v_add_co_u32_e64 v3, s[28:29], v2, v3
	v_add_co_u32_e64 v22, s[28:29], -1, v3
; %bb.513:                              ;   in Loop: Header=BB6_356 Depth=4
	s_or_b64 exec, exec, s[38:39]
	v_add_u32_e32 v1, 0xffffff81, v1
	v_mov_b32_e32 v3, 0xffffff82
	v_cndmask_b32_e32 v1, v1, v3, vcc
	v_lshrrev_b32_e32 v3, 23, v2
	v_add3_u32 v6, v4, v1, v3
	v_add_u32_e32 v4, 6, v6
	v_and_b32_e32 v1, 0xfffff, v22
	v_add_u32_e32 v20, v1, v2
	v_cmp_ne_u32_e32 vcc, 0, v4
                                        ; implicit-def: $vgpr2_vgpr3
                                        ; implicit-def: $vgpr1
	s_and_saveexec_b64 s[28:29], vcc
	s_xor_b64 s[28:29], exec, s[28:29]
; %bb.514:                              ;   in Loop: Header=BB6_356 Depth=4
	v_cmp_lt_u64_e32 vcc, s[88:89], v[20:21]
	v_add_u32_e32 v1, 7, v6
	v_cndmask_b32_e64 v2, 0, 1, vcc
	v_cndmask_b32_e32 v1, v4, v1, vcc
	v_lshrrev_b64 v[2:3], v2, v[20:21]
; %bb.515:                              ;   in Loop: Header=BB6_356 Depth=4
	s_andn2_saveexec_b64 s[28:29], s[28:29]
; %bb.516:                              ;   in Loop: Header=BB6_356 Depth=4
	v_mov_b32_e32 v2, v20
	v_bfe_u32 v1, v20, 23, 1
	v_mov_b32_e32 v3, v21
; %bb.517:                              ;   in Loop: Header=BB6_356 Depth=4
	s_or_b64 exec, exec, s[28:29]
	v_lshrrev_b64 v[2:3], 20, v[2:3]
	v_cmp_gt_i32_e32 vcc, 16, v1
	v_cndmask_b32_e32 v3, 0, v3, vcc
	v_cndmask_b32_e32 v2, 7, v2, vcc
	v_cmp_eq_u32_e32 vcc, 0, v1
	v_min_i32_e32 v1, 15, v1
	v_cmp_eq_u64_e64 s[28:29], 0, v[2:3]
	v_lshlrev_b32_e32 v1, 3, v1
	v_and_b32_e32 v1, 0xf8, v1
	v_and_or_b32 v1, v2, 7, v1
	s_and_b64 s[28:29], vcc, s[28:29]
	v_cndmask_b32_e64 v1, v1, 0, s[28:29]
	v_or_b32_e32 v0, v1, v0
	buffer_store_dword v0, off, s[0:3], s33 offset:116 ; 4-byte Folded Spill
.LBB6_518:                              ;   in Loop: Header=BB6_356 Depth=4
	s_or_b64 exec, exec, s[36:37]
                                        ; implicit-def: $vgpr0
.LBB6_519:                              ;   in Loop: Header=BB6_356 Depth=4
	s_andn2_saveexec_b64 s[28:29], s[34:35]
	s_cbranch_execz .LBB6_521
; %bb.520:                              ;   in Loop: Header=BB6_356 Depth=4
	v_or_b32_e32 v0, 0x7e, v0
	buffer_store_dword v0, off, s[0:3], s33 offset:116 ; 4-byte Folded Spill
.LBB6_521:                              ;   in Loop: Header=BB6_356 Depth=4
	s_or_b64 exec, exec, s[28:29]
                                        ; implicit-def: $vgpr1
.LBB6_522:                              ;   in Loop: Header=BB6_356 Depth=4
	s_andn2_saveexec_b64 s[28:29], s[30:31]
	s_cbranch_execz .LBB6_524
; %bb.523:                              ;   in Loop: Header=BB6_356 Depth=4
	v_or_b32_sdwa v0, v1, s81 dst_sel:DWORD dst_unused:UNUSED_PAD src0_sel:BYTE_3 src1_sel:DWORD
	buffer_store_dword v0, off, s[0:3], s33 offset:116 ; 4-byte Folded Spill
.LBB6_524:                              ;   in Loop: Header=BB6_356 Depth=4
	s_or_b64 exec, exec, s[28:29]
	v_lshrrev_b32_e32 v2, 16, v49
	v_cmp_ne_u16_sdwa vcc, v2, v21 src0_sel:BYTE_0 src1_sel:DWORD
	v_mov_b32_e32 v0, 0
	v_mov_b32_e32 v1, 0
	s_and_saveexec_b64 s[28:29], vcc
	s_cbranch_execz .LBB6_530
; %bb.525:                              ;   in Loop: Header=BB6_356 Depth=4
	v_cmp_ne_u16_sdwa vcc, v2, s80 src0_sel:BYTE_0 src1_sel:DWORD
	v_bfrev_b32_e32 v1, 1
	s_and_saveexec_b64 s[30:31], vcc
	s_cbranch_execz .LBB6_529
; %bb.526:                              ;   in Loop: Header=BB6_356 Depth=4
	v_bfe_u32 v3, v49, 16, 7
	v_cmp_ne_u32_e32 vcc, s81, v3
	v_mov_b32_e32 v1, 0x7f800001
	s_and_saveexec_b64 s[34:35], vcc
	s_cbranch_execz .LBB6_528
; %bb.527:                              ;   in Loop: Header=BB6_356 Depth=4
	v_and_b32_e32 v1, 7, v2
	v_lshrrev_b32_e32 v6, 3, v3
	v_cmp_gt_u32_e32 vcc, 8, v3
	v_ffbh_u32_e32 v3, v1
	v_min_u32_e32 v7, 32, v3
	v_subrev_u32_e32 v3, 28, v7
	v_lshlrev_b64 v[3:4], v3, v[2:3]
	v_sub_u32_e32 v4, 29, v7
	v_and_b32_e32 v3, 7, v3
	v_cndmask_b32_e32 v4, v6, v4, vcc
	v_cndmask_b32_e32 v1, v1, v3, vcc
	v_lshlrev_b32_e32 v2, 24, v2
	v_bfrev_b32_e32 v3, 60
	v_lshlrev_b32_e32 v1, 20, v1
	v_and_b32_e32 v2, 0x80000000, v2
	v_lshl_add_u32 v3, v4, 23, v3
	v_or3_b32 v1, v2, v3, v1
.LBB6_528:                              ;   in Loop: Header=BB6_356 Depth=4
	s_or_b64 exec, exec, s[34:35]
.LBB6_529:                              ;   in Loop: Header=BB6_356 Depth=4
	s_or_b64 exec, exec, s[30:31]
.LBB6_530:                              ;   in Loop: Header=BB6_356 Depth=4
	s_or_b64 exec, exec, s[28:29]
	v_lshrrev_b32_e32 v2, 16, v37
	v_cmp_ne_u16_sdwa vcc, v2, v21 src0_sel:BYTE_0 src1_sel:DWORD
	s_and_saveexec_b64 s[28:29], vcc
	s_cbranch_execz .LBB6_536
; %bb.531:                              ;   in Loop: Header=BB6_356 Depth=4
	v_cmp_ne_u16_sdwa vcc, v2, s80 src0_sel:BYTE_0 src1_sel:DWORD
	v_bfrev_b32_e32 v0, 1
	s_and_saveexec_b64 s[30:31], vcc
	s_cbranch_execz .LBB6_535
; %bb.532:                              ;   in Loop: Header=BB6_356 Depth=4
	v_bfe_u32 v3, v37, 16, 7
	v_cmp_ne_u32_e32 vcc, s81, v3
	v_mov_b32_e32 v0, 0x7f800001
	s_and_saveexec_b64 s[34:35], vcc
	s_cbranch_execz .LBB6_534
; %bb.533:                              ;   in Loop: Header=BB6_356 Depth=4
	v_and_b32_e32 v0, 7, v2
	v_lshrrev_b32_e32 v4, 3, v3
	v_cmp_gt_u32_e32 vcc, 8, v3
	v_ffbh_u32_e32 v3, v0
	v_min_u32_e32 v6, 32, v3
	v_subrev_u32_e32 v3, 28, v6
	v_lshlrev_b64 v[2:3], v3, v[2:3]
	v_sub_u32_e32 v3, 29, v6
	v_and_b32_e32 v2, 7, v2
	v_cndmask_b32_e32 v3, v4, v3, vcc
	v_cndmask_b32_e32 v0, v0, v2, vcc
	v_lshlrev_b32_e32 v2, 8, v37
	v_bfrev_b32_e32 v4, 60
	v_lshlrev_b32_e32 v0, 20, v0
	v_and_b32_e32 v2, 0x80000000, v2
	v_lshl_add_u32 v3, v3, 23, v4
	v_or3_b32 v0, v2, v3, v0
.LBB6_534:                              ;   in Loop: Header=BB6_356 Depth=4
	s_or_b64 exec, exec, s[34:35]
.LBB6_535:                              ;   in Loop: Header=BB6_356 Depth=4
	s_or_b64 exec, exec, s[30:31]
.LBB6_536:                              ;   in Loop: Header=BB6_356 Depth=4
	s_or_b64 exec, exec, s[28:29]
	v_mul_f32_e32 v1, v1, v0
	v_and_b32_e32 v20, 0x7f800000, v1
	v_cmp_ne_u64_e32 vcc, s[62:63], v[20:21]
                                        ; implicit-def: $vgpr0
                                        ; kill: killed $vgpr0
	s_and_saveexec_b64 s[28:29], vcc
	s_xor_b64 s[30:31], exec, s[28:29]
	s_cbranch_execz .LBB6_550
; %bb.537:                              ;   in Loop: Header=BB6_356 Depth=4
	v_and_b32_e32 v20, 0x7fffffff, v1
	v_cmp_gt_u64_e32 vcc, s[78:79], v[20:21]
	v_and_b32_sdwa v0, v1, s80 dst_sel:DWORD dst_unused:UNUSED_PAD src0_sel:BYTE_3 src1_sel:DWORD
                                        ; implicit-def: $vgpr2
                                        ; kill: killed $vgpr2
	s_and_saveexec_b64 s[28:29], vcc
	s_xor_b64 s[34:35], exec, s[28:29]
	s_cbranch_execz .LBB6_547
; %bb.538:                              ;   in Loop: Header=BB6_356 Depth=4
	v_mov_b32_e32 v2, 0
	v_cmp_ne_u32_e32 vcc, 0, v1
	buffer_store_dword v2, off, s[0:3], s33 offset:120 ; 4-byte Folded Spill
	s_and_saveexec_b64 s[36:37], vcc
	s_cbranch_execz .LBB6_546
; %bb.539:                              ;   in Loop: Header=BB6_356 Depth=4
	v_and_b32_e32 v2, 0x7fffff, v1
	v_bfe_u32 v1, v1, 23, 8
	v_cmp_gt_u32_e64 s[28:29], s47, v1
	v_sub_u32_e32 v3, 0x79, v1
	v_cmp_eq_u32_e32 vcc, 0, v1
	v_cndmask_b32_e64 v3, 0, v3, s[28:29]
	v_mov_b32_e32 v4, 0x78
	v_or_b32_e32 v6, 0x800000, v2
	v_cndmask_b32_e32 v4, v3, v4, vcc
	v_cndmask_b32_e32 v20, v6, v2, vcc
	v_add_u32_e32 v2, 20, v4
	v_lshlrev_b64 v[2:3], v2, -1
	v_add_u32_e32 v6, 19, v4
	v_lshlrev_b64 v[6:7], v6, 1
	v_bfi_b32 v3, v3, 0, 0
	v_bfi_b32 v2, v2, 0, v20
	v_cmp_eq_u64_e64 s[28:29], v[2:3], v[6:7]
	v_lshrrev_b64 v[2:3], v4, v[20:21]
	v_mov_b32_e32 v23, v3
	v_mov_b32_e32 v22, v2
	s_and_saveexec_b64 s[38:39], s[28:29]
; %bb.540:                              ;   in Loop: Header=BB6_356 Depth=4
	v_bfe_u32 v3, v2, 20, 1
	v_add_co_u32_e64 v3, s[28:29], v2, v3
	v_add_co_u32_e64 v22, s[28:29], -1, v3
; %bb.541:                              ;   in Loop: Header=BB6_356 Depth=4
	s_or_b64 exec, exec, s[38:39]
	v_add_u32_e32 v1, 0xffffff81, v1
	v_mov_b32_e32 v3, 0xffffff82
	v_cndmask_b32_e32 v1, v1, v3, vcc
	v_lshrrev_b32_e32 v3, 23, v2
	v_add3_u32 v6, v4, v1, v3
	v_add_u32_e32 v4, 6, v6
	v_and_b32_e32 v1, 0xfffff, v22
	v_add_u32_e32 v20, v1, v2
	v_cmp_ne_u32_e32 vcc, 0, v4
                                        ; implicit-def: $vgpr2_vgpr3
                                        ; implicit-def: $vgpr1
	s_and_saveexec_b64 s[28:29], vcc
	s_xor_b64 s[28:29], exec, s[28:29]
; %bb.542:                              ;   in Loop: Header=BB6_356 Depth=4
	v_cmp_lt_u64_e32 vcc, s[88:89], v[20:21]
	v_add_u32_e32 v1, 7, v6
	v_cndmask_b32_e64 v2, 0, 1, vcc
	v_cndmask_b32_e32 v1, v4, v1, vcc
	v_lshrrev_b64 v[2:3], v2, v[20:21]
; %bb.543:                              ;   in Loop: Header=BB6_356 Depth=4
	s_andn2_saveexec_b64 s[28:29], s[28:29]
; %bb.544:                              ;   in Loop: Header=BB6_356 Depth=4
	v_mov_b32_e32 v2, v20
	v_bfe_u32 v1, v20, 23, 1
	v_mov_b32_e32 v3, v21
; %bb.545:                              ;   in Loop: Header=BB6_356 Depth=4
	s_or_b64 exec, exec, s[28:29]
	v_lshrrev_b64 v[2:3], 20, v[2:3]
	v_cmp_gt_i32_e32 vcc, 16, v1
	v_cndmask_b32_e32 v3, 0, v3, vcc
	v_cndmask_b32_e32 v2, 7, v2, vcc
	v_cmp_eq_u32_e32 vcc, 0, v1
	v_min_i32_e32 v1, 15, v1
	v_cmp_eq_u64_e64 s[28:29], 0, v[2:3]
	v_lshlrev_b32_e32 v1, 3, v1
	v_and_b32_e32 v1, 0xf8, v1
	v_and_or_b32 v1, v2, 7, v1
	s_and_b64 s[28:29], vcc, s[28:29]
	v_cndmask_b32_e64 v1, v1, 0, s[28:29]
	v_or_b32_e32 v0, v1, v0
	buffer_store_dword v0, off, s[0:3], s33 offset:120 ; 4-byte Folded Spill
.LBB6_546:                              ;   in Loop: Header=BB6_356 Depth=4
	s_or_b64 exec, exec, s[36:37]
                                        ; implicit-def: $vgpr0
.LBB6_547:                              ;   in Loop: Header=BB6_356 Depth=4
	s_andn2_saveexec_b64 s[28:29], s[34:35]
	s_cbranch_execz .LBB6_549
; %bb.548:                              ;   in Loop: Header=BB6_356 Depth=4
	v_or_b32_e32 v0, 0x7e, v0
	buffer_store_dword v0, off, s[0:3], s33 offset:120 ; 4-byte Folded Spill
.LBB6_549:                              ;   in Loop: Header=BB6_356 Depth=4
	s_or_b64 exec, exec, s[28:29]
                                        ; implicit-def: $vgpr1
.LBB6_550:                              ;   in Loop: Header=BB6_356 Depth=4
	s_andn2_saveexec_b64 s[28:29], s[30:31]
	s_cbranch_execz .LBB6_552
; %bb.551:                              ;   in Loop: Header=BB6_356 Depth=4
	v_or_b32_sdwa v0, v1, s81 dst_sel:DWORD dst_unused:UNUSED_PAD src0_sel:BYTE_3 src1_sel:DWORD
	buffer_store_dword v0, off, s[0:3], s33 offset:120 ; 4-byte Folded Spill
.LBB6_552:                              ;   in Loop: Header=BB6_356 Depth=4
	s_or_b64 exec, exec, s[28:29]
	v_cmp_lt_u64_e32 vcc, s[56:57], v[48:49]
	v_mov_b32_e32 v0, 0
	v_mov_b32_e32 v1, 0
	s_and_saveexec_b64 s[28:29], vcc
	s_cbranch_execz .LBB6_558
; %bb.553:                              ;   in Loop: Header=BB6_356 Depth=4
	v_lshrrev_b32_e32 v2, 24, v49
	v_cmp_ne_u32_e32 vcc, s80, v2
	v_bfrev_b32_e32 v1, 1
	s_and_saveexec_b64 s[30:31], vcc
	s_cbranch_execz .LBB6_557
; %bb.554:                              ;   in Loop: Header=BB6_356 Depth=4
	v_bfe_u32 v3, v49, 24, 7
	v_cmp_ne_u32_e32 vcc, s81, v3
	v_mov_b32_e32 v1, 0x7f800001
	s_and_saveexec_b64 s[34:35], vcc
	s_cbranch_execz .LBB6_556
; %bb.555:                              ;   in Loop: Header=BB6_356 Depth=4
	v_and_b32_e32 v1, 7, v2
	v_lshrrev_b32_e32 v6, 3, v3
	v_cmp_gt_u32_e32 vcc, 8, v3
	v_ffbh_u32_e32 v3, v1
	v_min_u32_e32 v7, 32, v3
	v_subrev_u32_e32 v3, 28, v7
	v_lshlrev_b64 v[3:4], v3, v[2:3]
	v_sub_u32_e32 v4, 29, v7
	v_and_b32_e32 v3, 7, v3
	v_cndmask_b32_e32 v4, v6, v4, vcc
	v_cndmask_b32_e32 v1, v1, v3, vcc
	v_lshlrev_b32_e32 v2, 24, v2
	v_bfrev_b32_e32 v3, 60
	v_lshlrev_b32_e32 v1, 20, v1
	v_and_b32_e32 v2, 0x80000000, v2
	v_lshl_add_u32 v3, v4, 23, v3
	v_or3_b32 v1, v2, v3, v1
.LBB6_556:                              ;   in Loop: Header=BB6_356 Depth=4
	s_or_b64 exec, exec, s[34:35]
.LBB6_557:                              ;   in Loop: Header=BB6_356 Depth=4
	s_or_b64 exec, exec, s[30:31]
.LBB6_558:                              ;   in Loop: Header=BB6_356 Depth=4
	s_or_b64 exec, exec, s[28:29]
	v_cmp_lt_u64_e32 vcc, s[56:57], v[36:37]
	s_and_saveexec_b64 s[28:29], vcc
	s_cbranch_execz .LBB6_564
; %bb.559:                              ;   in Loop: Header=BB6_356 Depth=4
	v_lshrrev_b32_e32 v2, 24, v37
	v_cmp_ne_u32_e32 vcc, s80, v2
	v_bfrev_b32_e32 v0, 1
	s_and_saveexec_b64 s[30:31], vcc
	s_cbranch_execz .LBB6_563
; %bb.560:                              ;   in Loop: Header=BB6_356 Depth=4
	v_bfe_u32 v3, v37, 24, 7
	v_cmp_ne_u32_e32 vcc, s81, v3
	v_mov_b32_e32 v0, 0x7f800001
	s_and_saveexec_b64 s[34:35], vcc
	s_cbranch_execz .LBB6_562
; %bb.561:                              ;   in Loop: Header=BB6_356 Depth=4
	v_and_b32_e32 v0, 7, v2
	v_lshrrev_b32_e32 v6, 3, v3
	v_cmp_gt_u32_e32 vcc, 8, v3
	v_ffbh_u32_e32 v3, v0
	v_min_u32_e32 v7, 32, v3
	v_subrev_u32_e32 v3, 28, v7
	v_lshlrev_b64 v[3:4], v3, v[2:3]
	v_sub_u32_e32 v4, 29, v7
	v_and_b32_e32 v3, 7, v3
	v_cndmask_b32_e32 v4, v6, v4, vcc
	v_cndmask_b32_e32 v0, v0, v3, vcc
	v_lshlrev_b32_e32 v2, 24, v2
	v_bfrev_b32_e32 v3, 60
	v_lshlrev_b32_e32 v0, 20, v0
	v_and_b32_e32 v2, 0x80000000, v2
	v_lshl_add_u32 v3, v4, 23, v3
	v_or3_b32 v0, v2, v3, v0
.LBB6_562:                              ;   in Loop: Header=BB6_356 Depth=4
	s_or_b64 exec, exec, s[34:35]
.LBB6_563:                              ;   in Loop: Header=BB6_356 Depth=4
	s_or_b64 exec, exec, s[30:31]
.LBB6_564:                              ;   in Loop: Header=BB6_356 Depth=4
	s_or_b64 exec, exec, s[28:29]
	v_mul_f32_e32 v1, v1, v0
	v_and_b32_e32 v20, 0x7f800000, v1
	v_cmp_ne_u64_e32 vcc, s[62:63], v[20:21]
                                        ; implicit-def: $vgpr0
                                        ; kill: killed $vgpr0
	s_and_saveexec_b64 s[28:29], vcc
	s_xor_b64 s[30:31], exec, s[28:29]
	s_cbranch_execz .LBB6_578
; %bb.565:                              ;   in Loop: Header=BB6_356 Depth=4
	v_and_b32_e32 v20, 0x7fffffff, v1
	v_cmp_gt_u64_e32 vcc, s[78:79], v[20:21]
	v_and_b32_sdwa v0, v1, s80 dst_sel:DWORD dst_unused:UNUSED_PAD src0_sel:BYTE_3 src1_sel:DWORD
                                        ; implicit-def: $vgpr2
                                        ; kill: killed $vgpr2
	s_and_saveexec_b64 s[28:29], vcc
	s_xor_b64 s[34:35], exec, s[28:29]
	s_cbranch_execz .LBB6_575
; %bb.566:                              ;   in Loop: Header=BB6_356 Depth=4
	v_mov_b32_e32 v2, 0
	v_cmp_ne_u32_e32 vcc, 0, v1
	buffer_store_dword v2, off, s[0:3], s33 offset:124 ; 4-byte Folded Spill
	s_and_saveexec_b64 s[36:37], vcc
	s_cbranch_execz .LBB6_574
; %bb.567:                              ;   in Loop: Header=BB6_356 Depth=4
	v_and_b32_e32 v2, 0x7fffff, v1
	v_bfe_u32 v1, v1, 23, 8
	v_cmp_gt_u32_e64 s[28:29], s47, v1
	v_sub_u32_e32 v3, 0x79, v1
	v_cmp_eq_u32_e32 vcc, 0, v1
	v_cndmask_b32_e64 v3, 0, v3, s[28:29]
	v_mov_b32_e32 v4, 0x78
	v_or_b32_e32 v6, 0x800000, v2
	v_cndmask_b32_e32 v4, v3, v4, vcc
	v_cndmask_b32_e32 v20, v6, v2, vcc
	v_add_u32_e32 v2, 20, v4
	v_lshlrev_b64 v[2:3], v2, -1
	v_add_u32_e32 v6, 19, v4
	v_lshlrev_b64 v[6:7], v6, 1
	v_bfi_b32 v3, v3, 0, 0
	v_bfi_b32 v2, v2, 0, v20
	v_cmp_eq_u64_e64 s[28:29], v[2:3], v[6:7]
	v_lshrrev_b64 v[2:3], v4, v[20:21]
	v_mov_b32_e32 v23, v3
	v_mov_b32_e32 v22, v2
	s_and_saveexec_b64 s[38:39], s[28:29]
; %bb.568:                              ;   in Loop: Header=BB6_356 Depth=4
	v_bfe_u32 v3, v2, 20, 1
	v_add_co_u32_e64 v3, s[28:29], v2, v3
	v_add_co_u32_e64 v22, s[28:29], -1, v3
; %bb.569:                              ;   in Loop: Header=BB6_356 Depth=4
	s_or_b64 exec, exec, s[38:39]
	v_add_u32_e32 v1, 0xffffff81, v1
	v_mov_b32_e32 v3, 0xffffff82
	v_cndmask_b32_e32 v1, v1, v3, vcc
	v_lshrrev_b32_e32 v3, 23, v2
	v_add3_u32 v6, v4, v1, v3
	v_add_u32_e32 v4, 6, v6
	v_and_b32_e32 v1, 0xfffff, v22
	v_add_u32_e32 v20, v1, v2
	v_cmp_ne_u32_e32 vcc, 0, v4
                                        ; implicit-def: $vgpr2_vgpr3
                                        ; implicit-def: $vgpr1
	s_and_saveexec_b64 s[28:29], vcc
	s_xor_b64 s[28:29], exec, s[28:29]
; %bb.570:                              ;   in Loop: Header=BB6_356 Depth=4
	v_cmp_lt_u64_e32 vcc, s[88:89], v[20:21]
	v_add_u32_e32 v1, 7, v6
	v_cndmask_b32_e64 v2, 0, 1, vcc
	v_cndmask_b32_e32 v1, v4, v1, vcc
	v_lshrrev_b64 v[2:3], v2, v[20:21]
; %bb.571:                              ;   in Loop: Header=BB6_356 Depth=4
	s_andn2_saveexec_b64 s[28:29], s[28:29]
; %bb.572:                              ;   in Loop: Header=BB6_356 Depth=4
	v_mov_b32_e32 v2, v20
	v_bfe_u32 v1, v20, 23, 1
	v_mov_b32_e32 v3, v21
; %bb.573:                              ;   in Loop: Header=BB6_356 Depth=4
	s_or_b64 exec, exec, s[28:29]
	v_lshrrev_b64 v[2:3], 20, v[2:3]
	v_cmp_gt_i32_e32 vcc, 16, v1
	v_cndmask_b32_e32 v3, 0, v3, vcc
	v_cndmask_b32_e32 v2, 7, v2, vcc
	v_cmp_eq_u32_e32 vcc, 0, v1
	v_min_i32_e32 v1, 15, v1
	v_cmp_eq_u64_e64 s[28:29], 0, v[2:3]
	v_lshlrev_b32_e32 v1, 3, v1
	v_and_b32_e32 v1, 0xf8, v1
	v_and_or_b32 v1, v2, 7, v1
	s_and_b64 s[28:29], vcc, s[28:29]
	v_cndmask_b32_e64 v1, v1, 0, s[28:29]
	v_or_b32_e32 v0, v1, v0
	buffer_store_dword v0, off, s[0:3], s33 offset:124 ; 4-byte Folded Spill
.LBB6_574:                              ;   in Loop: Header=BB6_356 Depth=4
	s_or_b64 exec, exec, s[36:37]
                                        ; implicit-def: $vgpr0
.LBB6_575:                              ;   in Loop: Header=BB6_356 Depth=4
	s_andn2_saveexec_b64 s[28:29], s[34:35]
	s_cbranch_execz .LBB6_577
; %bb.576:                              ;   in Loop: Header=BB6_356 Depth=4
	v_or_b32_e32 v0, 0x7e, v0
	buffer_store_dword v0, off, s[0:3], s33 offset:124 ; 4-byte Folded Spill
.LBB6_577:                              ;   in Loop: Header=BB6_356 Depth=4
	s_or_b64 exec, exec, s[28:29]
                                        ; implicit-def: $vgpr1
.LBB6_578:                              ;   in Loop: Header=BB6_356 Depth=4
	s_andn2_saveexec_b64 s[28:29], s[30:31]
	s_cbranch_execz .LBB6_580
; %bb.579:                              ;   in Loop: Header=BB6_356 Depth=4
	v_or_b32_sdwa v0, v1, s81 dst_sel:DWORD dst_unused:UNUSED_PAD src0_sel:BYTE_3 src1_sel:DWORD
	buffer_store_dword v0, off, s[0:3], s33 offset:124 ; 4-byte Folded Spill
.LBB6_580:                              ;   in Loop: Header=BB6_356 Depth=4
	s_or_b64 exec, exec, s[28:29]
	v_cmp_ne_u16_sdwa vcc, v50, v21 src0_sel:BYTE_0 src1_sel:DWORD
	v_mov_b32_e32 v0, 0
	v_mov_b32_e32 v1, 0
	s_and_saveexec_b64 s[28:29], vcc
	s_cbranch_execz .LBB6_586
; %bb.581:                              ;   in Loop: Header=BB6_356 Depth=4
	v_cmp_ne_u16_sdwa vcc, v50, s80 src0_sel:BYTE_0 src1_sel:DWORD
	v_bfrev_b32_e32 v1, 1
	s_and_saveexec_b64 s[30:31], vcc
	s_cbranch_execz .LBB6_585
; %bb.582:                              ;   in Loop: Header=BB6_356 Depth=4
	v_and_b32_e32 v2, 0x7f, v50
	v_cmp_ne_u32_e32 vcc, s81, v2
	v_mov_b32_e32 v1, 0x7f800001
	s_and_saveexec_b64 s[34:35], vcc
	s_cbranch_execz .LBB6_584
; %bb.583:                              ;   in Loop: Header=BB6_356 Depth=4
	v_and_b32_e32 v1, 7, v50
	v_ffbh_u32_e32 v1, v1
	v_min_u32_e32 v1, 32, v1
	v_lshrrev_b32_e32 v3, 3, v2
	v_cmp_gt_u32_e32 vcc, 8, v2
	v_subrev_u32_e32 v2, 28, v1
	v_sub_u32_e32 v1, 29, v1
	v_cndmask_b32_e32 v3, v3, v1, vcc
	v_cndmask_b32_e32 v1, 0, v2, vcc
	v_lshlrev_b64 v[1:2], v1, v[50:51]
	v_lshlrev_b32_e32 v2, 24, v50
	v_lshlrev_b32_e32 v1, 20, v1
	v_bfrev_b32_e32 v4, 60
	v_and_b32_e32 v1, 0x700000, v1
	v_and_b32_e32 v2, 0x80000000, v2
	v_lshl_add_u32 v3, v3, 23, v4
	v_or3_b32 v1, v2, v3, v1
.LBB6_584:                              ;   in Loop: Header=BB6_356 Depth=4
	s_or_b64 exec, exec, s[34:35]
.LBB6_585:                              ;   in Loop: Header=BB6_356 Depth=4
	s_or_b64 exec, exec, s[30:31]
.LBB6_586:                              ;   in Loop: Header=BB6_356 Depth=4
	s_or_b64 exec, exec, s[28:29]
	v_cmp_ne_u16_sdwa vcc, v38, v21 src0_sel:BYTE_0 src1_sel:DWORD
	s_and_saveexec_b64 s[28:29], vcc
	s_cbranch_execz .LBB6_592
; %bb.587:                              ;   in Loop: Header=BB6_356 Depth=4
	v_cmp_ne_u16_sdwa vcc, v38, s80 src0_sel:BYTE_0 src1_sel:DWORD
	v_bfrev_b32_e32 v0, 1
	s_and_saveexec_b64 s[30:31], vcc
	s_cbranch_execz .LBB6_591
; %bb.588:                              ;   in Loop: Header=BB6_356 Depth=4
	v_and_b32_e32 v2, 0x7f, v38
	v_cmp_ne_u32_e32 vcc, s81, v2
	v_mov_b32_e32 v0, 0x7f800001
	s_and_saveexec_b64 s[34:35], vcc
	s_cbranch_execz .LBB6_590
; %bb.589:                              ;   in Loop: Header=BB6_356 Depth=4
	v_and_b32_e32 v0, 7, v38
	v_ffbh_u32_e32 v0, v0
	v_min_u32_e32 v0, 32, v0
	v_lshrrev_b32_e32 v3, 3, v2
	v_cmp_gt_u32_e32 vcc, 8, v2
	v_subrev_u32_e32 v2, 28, v0
	v_sub_u32_e32 v0, 29, v0
	v_cndmask_b32_e32 v2, 0, v2, vcc
	v_cndmask_b32_e32 v0, v3, v0, vcc
	v_lshlrev_b64 v[2:3], v2, v[38:39]
	v_lshlrev_b32_e32 v3, 24, v38
	v_lshlrev_b32_e32 v2, 20, v2
	v_bfrev_b32_e32 v4, 60
	v_and_b32_e32 v2, 0x700000, v2
	v_and_b32_e32 v3, 0x80000000, v3
	v_lshl_add_u32 v0, v0, 23, v4
	v_or3_b32 v0, v3, v0, v2
.LBB6_590:                              ;   in Loop: Header=BB6_356 Depth=4
	s_or_b64 exec, exec, s[34:35]
.LBB6_591:                              ;   in Loop: Header=BB6_356 Depth=4
	s_or_b64 exec, exec, s[30:31]
.LBB6_592:                              ;   in Loop: Header=BB6_356 Depth=4
	s_or_b64 exec, exec, s[28:29]
	v_mul_f32_e32 v1, v1, v0
	v_and_b32_e32 v20, 0x7f800000, v1
	v_cmp_ne_u64_e32 vcc, s[62:63], v[20:21]
                                        ; implicit-def: $vgpr0
                                        ; kill: killed $vgpr0
	s_and_saveexec_b64 s[28:29], vcc
	s_xor_b64 s[30:31], exec, s[28:29]
	s_cbranch_execz .LBB6_606
; %bb.593:                              ;   in Loop: Header=BB6_356 Depth=4
	v_and_b32_e32 v20, 0x7fffffff, v1
	v_cmp_gt_u64_e32 vcc, s[78:79], v[20:21]
	v_and_b32_sdwa v0, v1, s80 dst_sel:DWORD dst_unused:UNUSED_PAD src0_sel:BYTE_3 src1_sel:DWORD
                                        ; implicit-def: $vgpr2
                                        ; kill: killed $vgpr2
	s_and_saveexec_b64 s[28:29], vcc
	s_xor_b64 s[34:35], exec, s[28:29]
	s_cbranch_execz .LBB6_603
; %bb.594:                              ;   in Loop: Header=BB6_356 Depth=4
	v_mov_b32_e32 v2, 0
	v_cmp_ne_u32_e32 vcc, 0, v1
	buffer_store_dword v2, off, s[0:3], s33 offset:128 ; 4-byte Folded Spill
	s_and_saveexec_b64 s[36:37], vcc
	s_cbranch_execz .LBB6_602
; %bb.595:                              ;   in Loop: Header=BB6_356 Depth=4
	v_and_b32_e32 v2, 0x7fffff, v1
	v_bfe_u32 v1, v1, 23, 8
	v_cmp_gt_u32_e64 s[28:29], s47, v1
	v_sub_u32_e32 v3, 0x79, v1
	v_cmp_eq_u32_e32 vcc, 0, v1
	v_cndmask_b32_e64 v3, 0, v3, s[28:29]
	v_mov_b32_e32 v4, 0x78
	v_or_b32_e32 v6, 0x800000, v2
	v_cndmask_b32_e32 v4, v3, v4, vcc
	v_cndmask_b32_e32 v20, v6, v2, vcc
	v_add_u32_e32 v2, 20, v4
	v_lshlrev_b64 v[2:3], v2, -1
	v_add_u32_e32 v6, 19, v4
	v_lshlrev_b64 v[6:7], v6, 1
	v_bfi_b32 v3, v3, 0, 0
	v_bfi_b32 v2, v2, 0, v20
	v_cmp_eq_u64_e64 s[28:29], v[2:3], v[6:7]
	v_lshrrev_b64 v[2:3], v4, v[20:21]
	v_mov_b32_e32 v23, v3
	v_mov_b32_e32 v22, v2
	s_and_saveexec_b64 s[38:39], s[28:29]
; %bb.596:                              ;   in Loop: Header=BB6_356 Depth=4
	v_bfe_u32 v3, v2, 20, 1
	v_add_co_u32_e64 v3, s[28:29], v2, v3
	v_add_co_u32_e64 v22, s[28:29], -1, v3
; %bb.597:                              ;   in Loop: Header=BB6_356 Depth=4
	s_or_b64 exec, exec, s[38:39]
	v_add_u32_e32 v1, 0xffffff81, v1
	v_mov_b32_e32 v3, 0xffffff82
	v_cndmask_b32_e32 v1, v1, v3, vcc
	v_lshrrev_b32_e32 v3, 23, v2
	v_add3_u32 v6, v4, v1, v3
	v_add_u32_e32 v4, 6, v6
	v_and_b32_e32 v1, 0xfffff, v22
	v_add_u32_e32 v20, v1, v2
	v_cmp_ne_u32_e32 vcc, 0, v4
                                        ; implicit-def: $vgpr2_vgpr3
                                        ; implicit-def: $vgpr1
	s_and_saveexec_b64 s[28:29], vcc
	s_xor_b64 s[28:29], exec, s[28:29]
; %bb.598:                              ;   in Loop: Header=BB6_356 Depth=4
	v_cmp_lt_u64_e32 vcc, s[88:89], v[20:21]
	v_add_u32_e32 v1, 7, v6
	v_cndmask_b32_e64 v2, 0, 1, vcc
	v_cndmask_b32_e32 v1, v4, v1, vcc
	v_lshrrev_b64 v[2:3], v2, v[20:21]
; %bb.599:                              ;   in Loop: Header=BB6_356 Depth=4
	s_andn2_saveexec_b64 s[28:29], s[28:29]
; %bb.600:                              ;   in Loop: Header=BB6_356 Depth=4
	v_mov_b32_e32 v2, v20
	v_bfe_u32 v1, v20, 23, 1
	v_mov_b32_e32 v3, v21
; %bb.601:                              ;   in Loop: Header=BB6_356 Depth=4
	s_or_b64 exec, exec, s[28:29]
	v_lshrrev_b64 v[2:3], 20, v[2:3]
	v_cmp_gt_i32_e32 vcc, 16, v1
	v_cndmask_b32_e32 v3, 0, v3, vcc
	v_cndmask_b32_e32 v2, 7, v2, vcc
	v_cmp_eq_u32_e32 vcc, 0, v1
	v_min_i32_e32 v1, 15, v1
	v_cmp_eq_u64_e64 s[28:29], 0, v[2:3]
	v_lshlrev_b32_e32 v1, 3, v1
	v_and_b32_e32 v1, 0xf8, v1
	v_and_or_b32 v1, v2, 7, v1
	s_and_b64 s[28:29], vcc, s[28:29]
	v_cndmask_b32_e64 v1, v1, 0, s[28:29]
	v_or_b32_e32 v0, v1, v0
	buffer_store_dword v0, off, s[0:3], s33 offset:128 ; 4-byte Folded Spill
.LBB6_602:                              ;   in Loop: Header=BB6_356 Depth=4
	s_or_b64 exec, exec, s[36:37]
                                        ; implicit-def: $vgpr0
.LBB6_603:                              ;   in Loop: Header=BB6_356 Depth=4
	s_andn2_saveexec_b64 s[28:29], s[34:35]
	s_cbranch_execz .LBB6_605
; %bb.604:                              ;   in Loop: Header=BB6_356 Depth=4
	v_or_b32_e32 v0, 0x7e, v0
	buffer_store_dword v0, off, s[0:3], s33 offset:128 ; 4-byte Folded Spill
.LBB6_605:                              ;   in Loop: Header=BB6_356 Depth=4
	s_or_b64 exec, exec, s[28:29]
                                        ; implicit-def: $vgpr1
.LBB6_606:                              ;   in Loop: Header=BB6_356 Depth=4
	s_andn2_saveexec_b64 s[28:29], s[30:31]
	s_cbranch_execz .LBB6_608
; %bb.607:                              ;   in Loop: Header=BB6_356 Depth=4
	v_or_b32_sdwa v0, v1, s81 dst_sel:DWORD dst_unused:UNUSED_PAD src0_sel:BYTE_3 src1_sel:DWORD
	buffer_store_dword v0, off, s[0:3], s33 offset:128 ; 4-byte Folded Spill
.LBB6_608:                              ;   in Loop: Header=BB6_356 Depth=4
	s_or_b64 exec, exec, s[28:29]
	v_lshrrev_b16_e32 v2, 8, v50
	v_cmp_ne_u16_e32 vcc, 0, v2
	v_mov_b32_e32 v0, 0
	v_mov_b32_e32 v1, 0
	s_and_saveexec_b64 s[28:29], vcc
	s_cbranch_execz .LBB6_614
; %bb.609:                              ;   in Loop: Header=BB6_356 Depth=4
	v_cmp_ne_u16_e32 vcc, s80, v2
	v_bfrev_b32_e32 v1, 1
	s_and_saveexec_b64 s[30:31], vcc
	s_cbranch_execz .LBB6_613
; %bb.610:                              ;   in Loop: Header=BB6_356 Depth=4
	v_and_b32_e32 v3, 0x7f, v2
	v_cmp_ne_u32_e32 vcc, s81, v3
	v_mov_b32_e32 v1, 0x7f800001
	s_and_saveexec_b64 s[34:35], vcc
	s_cbranch_execz .LBB6_612
; %bb.611:                              ;   in Loop: Header=BB6_356 Depth=4
	v_and_b32_e32 v4, 7, v2
	v_ffbh_u32_e32 v1, v4
	v_lshrrev_b32_e32 v6, 3, v3
	v_cmp_gt_u32_e32 vcc, 8, v3
	v_min_u32_e32 v3, 32, v1
	v_subrev_u32_e32 v1, 28, v3
	v_lshlrev_b64 v[1:2], v1, v[2:3]
	v_sub_u32_e32 v2, 29, v3
	v_and_b32_e32 v1, 7, v1
	v_cndmask_b32_e32 v2, v6, v2, vcc
	v_cndmask_b32_e32 v1, v4, v1, vcc
	v_lshlrev_b32_e32 v3, 16, v50
	v_bfrev_b32_e32 v4, 60
	v_lshlrev_b32_e32 v1, 20, v1
	v_and_b32_e32 v3, 0x80000000, v3
	v_lshl_add_u32 v2, v2, 23, v4
	v_or3_b32 v1, v3, v2, v1
.LBB6_612:                              ;   in Loop: Header=BB6_356 Depth=4
	s_or_b64 exec, exec, s[34:35]
.LBB6_613:                              ;   in Loop: Header=BB6_356 Depth=4
	s_or_b64 exec, exec, s[30:31]
.LBB6_614:                              ;   in Loop: Header=BB6_356 Depth=4
	s_or_b64 exec, exec, s[28:29]
	v_lshrrev_b16_e32 v2, 8, v38
	v_cmp_ne_u16_e32 vcc, 0, v2
	s_and_saveexec_b64 s[28:29], vcc
	s_cbranch_execz .LBB6_620
; %bb.615:                              ;   in Loop: Header=BB6_356 Depth=4
	v_cmp_ne_u16_e32 vcc, s80, v2
	v_bfrev_b32_e32 v0, 1
	s_and_saveexec_b64 s[30:31], vcc
	s_cbranch_execz .LBB6_619
; %bb.616:                              ;   in Loop: Header=BB6_356 Depth=4
	v_and_b32_e32 v3, 0x7f, v2
	v_cmp_ne_u32_e32 vcc, s81, v3
	v_mov_b32_e32 v0, 0x7f800001
	s_and_saveexec_b64 s[34:35], vcc
	s_cbranch_execz .LBB6_618
; %bb.617:                              ;   in Loop: Header=BB6_356 Depth=4
	v_and_b32_e32 v0, 7, v2
	v_lshrrev_b32_e32 v4, 3, v3
	v_cmp_gt_u32_e32 vcc, 8, v3
	v_ffbh_u32_e32 v3, v0
	v_min_u32_e32 v6, 32, v3
	v_subrev_u32_e32 v3, 28, v6
	v_lshlrev_b64 v[2:3], v3, v[2:3]
	v_sub_u32_e32 v3, 29, v6
	v_and_b32_e32 v2, 7, v2
	v_cndmask_b32_e32 v3, v4, v3, vcc
	v_cndmask_b32_e32 v0, v0, v2, vcc
	v_lshlrev_b32_e32 v2, 16, v38
	v_bfrev_b32_e32 v4, 60
	v_lshlrev_b32_e32 v0, 20, v0
	v_and_b32_e32 v2, 0x80000000, v2
	v_lshl_add_u32 v3, v3, 23, v4
	v_or3_b32 v0, v2, v3, v0
.LBB6_618:                              ;   in Loop: Header=BB6_356 Depth=4
	s_or_b64 exec, exec, s[34:35]
.LBB6_619:                              ;   in Loop: Header=BB6_356 Depth=4
	s_or_b64 exec, exec, s[30:31]
.LBB6_620:                              ;   in Loop: Header=BB6_356 Depth=4
	s_or_b64 exec, exec, s[28:29]
	v_mul_f32_e32 v1, v1, v0
	v_and_b32_e32 v20, 0x7f800000, v1
	v_cmp_ne_u64_e32 vcc, s[62:63], v[20:21]
                                        ; implicit-def: $vgpr0
                                        ; kill: killed $vgpr0
	s_and_saveexec_b64 s[28:29], vcc
	s_xor_b64 s[30:31], exec, s[28:29]
	s_cbranch_execz .LBB6_634
; %bb.621:                              ;   in Loop: Header=BB6_356 Depth=4
	v_and_b32_e32 v20, 0x7fffffff, v1
	v_cmp_gt_u64_e32 vcc, s[78:79], v[20:21]
	v_and_b32_sdwa v0, v1, s80 dst_sel:DWORD dst_unused:UNUSED_PAD src0_sel:BYTE_3 src1_sel:DWORD
                                        ; implicit-def: $vgpr2
                                        ; kill: killed $vgpr2
	s_and_saveexec_b64 s[28:29], vcc
	s_xor_b64 s[34:35], exec, s[28:29]
	s_cbranch_execz .LBB6_631
; %bb.622:                              ;   in Loop: Header=BB6_356 Depth=4
	v_mov_b32_e32 v2, 0
	v_cmp_ne_u32_e32 vcc, 0, v1
	buffer_store_dword v2, off, s[0:3], s33 offset:132 ; 4-byte Folded Spill
	s_and_saveexec_b64 s[36:37], vcc
	s_cbranch_execz .LBB6_630
; %bb.623:                              ;   in Loop: Header=BB6_356 Depth=4
	v_and_b32_e32 v2, 0x7fffff, v1
	v_bfe_u32 v1, v1, 23, 8
	v_cmp_gt_u32_e64 s[28:29], s47, v1
	v_sub_u32_e32 v3, 0x79, v1
	v_cmp_eq_u32_e32 vcc, 0, v1
	v_cndmask_b32_e64 v3, 0, v3, s[28:29]
	v_mov_b32_e32 v4, 0x78
	v_or_b32_e32 v6, 0x800000, v2
	v_cndmask_b32_e32 v4, v3, v4, vcc
	v_cndmask_b32_e32 v20, v6, v2, vcc
	v_add_u32_e32 v2, 20, v4
	v_lshlrev_b64 v[2:3], v2, -1
	v_add_u32_e32 v6, 19, v4
	v_lshlrev_b64 v[6:7], v6, 1
	v_bfi_b32 v3, v3, 0, 0
	v_bfi_b32 v2, v2, 0, v20
	v_cmp_eq_u64_e64 s[28:29], v[2:3], v[6:7]
	v_lshrrev_b64 v[2:3], v4, v[20:21]
	v_mov_b32_e32 v23, v3
	v_mov_b32_e32 v22, v2
	s_and_saveexec_b64 s[38:39], s[28:29]
; %bb.624:                              ;   in Loop: Header=BB6_356 Depth=4
	v_bfe_u32 v3, v2, 20, 1
	v_add_co_u32_e64 v3, s[28:29], v2, v3
	v_add_co_u32_e64 v22, s[28:29], -1, v3
; %bb.625:                              ;   in Loop: Header=BB6_356 Depth=4
	s_or_b64 exec, exec, s[38:39]
	v_add_u32_e32 v1, 0xffffff81, v1
	v_mov_b32_e32 v3, 0xffffff82
	v_cndmask_b32_e32 v1, v1, v3, vcc
	v_lshrrev_b32_e32 v3, 23, v2
	v_add3_u32 v6, v4, v1, v3
	v_add_u32_e32 v4, 6, v6
	v_and_b32_e32 v1, 0xfffff, v22
	v_add_u32_e32 v20, v1, v2
	v_cmp_ne_u32_e32 vcc, 0, v4
                                        ; implicit-def: $vgpr2_vgpr3
                                        ; implicit-def: $vgpr1
	s_and_saveexec_b64 s[28:29], vcc
	s_xor_b64 s[28:29], exec, s[28:29]
; %bb.626:                              ;   in Loop: Header=BB6_356 Depth=4
	v_cmp_lt_u64_e32 vcc, s[88:89], v[20:21]
	v_add_u32_e32 v1, 7, v6
	v_cndmask_b32_e64 v2, 0, 1, vcc
	v_cndmask_b32_e32 v1, v4, v1, vcc
	v_lshrrev_b64 v[2:3], v2, v[20:21]
; %bb.627:                              ;   in Loop: Header=BB6_356 Depth=4
	s_andn2_saveexec_b64 s[28:29], s[28:29]
; %bb.628:                              ;   in Loop: Header=BB6_356 Depth=4
	v_mov_b32_e32 v2, v20
	v_bfe_u32 v1, v20, 23, 1
	v_mov_b32_e32 v3, v21
; %bb.629:                              ;   in Loop: Header=BB6_356 Depth=4
	s_or_b64 exec, exec, s[28:29]
	v_lshrrev_b64 v[2:3], 20, v[2:3]
	v_cmp_gt_i32_e32 vcc, 16, v1
	v_cndmask_b32_e32 v3, 0, v3, vcc
	v_cndmask_b32_e32 v2, 7, v2, vcc
	v_cmp_eq_u32_e32 vcc, 0, v1
	v_min_i32_e32 v1, 15, v1
	v_cmp_eq_u64_e64 s[28:29], 0, v[2:3]
	v_lshlrev_b32_e32 v1, 3, v1
	v_and_b32_e32 v1, 0xf8, v1
	v_and_or_b32 v1, v2, 7, v1
	s_and_b64 s[28:29], vcc, s[28:29]
	v_cndmask_b32_e64 v1, v1, 0, s[28:29]
	v_or_b32_e32 v0, v1, v0
	buffer_store_dword v0, off, s[0:3], s33 offset:132 ; 4-byte Folded Spill
.LBB6_630:                              ;   in Loop: Header=BB6_356 Depth=4
	s_or_b64 exec, exec, s[36:37]
                                        ; implicit-def: $vgpr0
.LBB6_631:                              ;   in Loop: Header=BB6_356 Depth=4
	s_andn2_saveexec_b64 s[28:29], s[34:35]
	s_cbranch_execz .LBB6_633
; %bb.632:                              ;   in Loop: Header=BB6_356 Depth=4
	v_or_b32_e32 v0, 0x7e, v0
	buffer_store_dword v0, off, s[0:3], s33 offset:132 ; 4-byte Folded Spill
.LBB6_633:                              ;   in Loop: Header=BB6_356 Depth=4
	s_or_b64 exec, exec, s[28:29]
                                        ; implicit-def: $vgpr1
.LBB6_634:                              ;   in Loop: Header=BB6_356 Depth=4
	s_andn2_saveexec_b64 s[28:29], s[30:31]
	s_cbranch_execz .LBB6_636
; %bb.635:                              ;   in Loop: Header=BB6_356 Depth=4
	v_or_b32_sdwa v0, v1, s81 dst_sel:DWORD dst_unused:UNUSED_PAD src0_sel:BYTE_3 src1_sel:DWORD
	buffer_store_dword v0, off, s[0:3], s33 offset:132 ; 4-byte Folded Spill
.LBB6_636:                              ;   in Loop: Header=BB6_356 Depth=4
	s_or_b64 exec, exec, s[28:29]
	v_lshrrev_b32_e32 v2, 16, v50
	v_cmp_ne_u16_sdwa vcc, v2, v21 src0_sel:BYTE_0 src1_sel:DWORD
	v_mov_b32_e32 v0, 0
	v_mov_b32_e32 v1, 0
	s_and_saveexec_b64 s[28:29], vcc
	s_cbranch_execz .LBB6_642
; %bb.637:                              ;   in Loop: Header=BB6_356 Depth=4
	v_cmp_ne_u16_sdwa vcc, v2, s80 src0_sel:BYTE_0 src1_sel:DWORD
	v_bfrev_b32_e32 v1, 1
	s_and_saveexec_b64 s[30:31], vcc
	s_cbranch_execz .LBB6_641
; %bb.638:                              ;   in Loop: Header=BB6_356 Depth=4
	v_bfe_u32 v3, v50, 16, 7
	v_cmp_ne_u32_e32 vcc, s81, v3
	v_mov_b32_e32 v1, 0x7f800001
	s_and_saveexec_b64 s[34:35], vcc
	s_cbranch_execz .LBB6_640
; %bb.639:                              ;   in Loop: Header=BB6_356 Depth=4
	v_and_b32_e32 v1, 7, v2
	v_lshrrev_b32_e32 v6, 3, v3
	v_cmp_gt_u32_e32 vcc, 8, v3
	v_ffbh_u32_e32 v3, v1
	v_min_u32_e32 v7, 32, v3
	v_subrev_u32_e32 v3, 28, v7
	v_lshlrev_b64 v[3:4], v3, v[2:3]
	v_sub_u32_e32 v4, 29, v7
	v_and_b32_e32 v3, 7, v3
	v_cndmask_b32_e32 v4, v6, v4, vcc
	v_cndmask_b32_e32 v1, v1, v3, vcc
	v_lshlrev_b32_e32 v2, 24, v2
	v_bfrev_b32_e32 v3, 60
	v_lshlrev_b32_e32 v1, 20, v1
	v_and_b32_e32 v2, 0x80000000, v2
	v_lshl_add_u32 v3, v4, 23, v3
	v_or3_b32 v1, v2, v3, v1
.LBB6_640:                              ;   in Loop: Header=BB6_356 Depth=4
	s_or_b64 exec, exec, s[34:35]
.LBB6_641:                              ;   in Loop: Header=BB6_356 Depth=4
	s_or_b64 exec, exec, s[30:31]
.LBB6_642:                              ;   in Loop: Header=BB6_356 Depth=4
	s_or_b64 exec, exec, s[28:29]
	v_lshrrev_b32_e32 v2, 16, v38
	v_cmp_ne_u16_sdwa vcc, v2, v21 src0_sel:BYTE_0 src1_sel:DWORD
	s_and_saveexec_b64 s[28:29], vcc
	s_cbranch_execz .LBB6_648
; %bb.643:                              ;   in Loop: Header=BB6_356 Depth=4
	v_cmp_ne_u16_sdwa vcc, v2, s80 src0_sel:BYTE_0 src1_sel:DWORD
	v_bfrev_b32_e32 v0, 1
	s_and_saveexec_b64 s[30:31], vcc
	s_cbranch_execz .LBB6_647
; %bb.644:                              ;   in Loop: Header=BB6_356 Depth=4
	v_bfe_u32 v3, v38, 16, 7
	v_cmp_ne_u32_e32 vcc, s81, v3
	v_mov_b32_e32 v0, 0x7f800001
	s_and_saveexec_b64 s[34:35], vcc
	s_cbranch_execz .LBB6_646
; %bb.645:                              ;   in Loop: Header=BB6_356 Depth=4
	v_and_b32_e32 v0, 7, v2
	v_lshrrev_b32_e32 v4, 3, v3
	v_cmp_gt_u32_e32 vcc, 8, v3
	v_ffbh_u32_e32 v3, v0
	v_min_u32_e32 v6, 32, v3
	v_subrev_u32_e32 v3, 28, v6
	v_lshlrev_b64 v[2:3], v3, v[2:3]
	v_sub_u32_e32 v3, 29, v6
	v_and_b32_e32 v2, 7, v2
	v_cndmask_b32_e32 v3, v4, v3, vcc
	v_cndmask_b32_e32 v0, v0, v2, vcc
	v_lshlrev_b32_e32 v2, 8, v38
	v_bfrev_b32_e32 v4, 60
	v_lshlrev_b32_e32 v0, 20, v0
	v_and_b32_e32 v2, 0x80000000, v2
	v_lshl_add_u32 v3, v3, 23, v4
	v_or3_b32 v0, v2, v3, v0
.LBB6_646:                              ;   in Loop: Header=BB6_356 Depth=4
	s_or_b64 exec, exec, s[34:35]
.LBB6_647:                              ;   in Loop: Header=BB6_356 Depth=4
	s_or_b64 exec, exec, s[30:31]
.LBB6_648:                              ;   in Loop: Header=BB6_356 Depth=4
	s_or_b64 exec, exec, s[28:29]
	v_mul_f32_e32 v1, v1, v0
	v_and_b32_e32 v20, 0x7f800000, v1
	v_cmp_ne_u64_e32 vcc, s[62:63], v[20:21]
                                        ; implicit-def: $vgpr0
                                        ; kill: killed $vgpr0
	s_and_saveexec_b64 s[28:29], vcc
	s_xor_b64 s[30:31], exec, s[28:29]
	s_cbranch_execz .LBB6_662
; %bb.649:                              ;   in Loop: Header=BB6_356 Depth=4
	v_and_b32_e32 v20, 0x7fffffff, v1
	v_cmp_gt_u64_e32 vcc, s[78:79], v[20:21]
	v_and_b32_sdwa v0, v1, s80 dst_sel:DWORD dst_unused:UNUSED_PAD src0_sel:BYTE_3 src1_sel:DWORD
                                        ; implicit-def: $vgpr2
                                        ; kill: killed $vgpr2
	s_and_saveexec_b64 s[28:29], vcc
	s_xor_b64 s[34:35], exec, s[28:29]
	s_cbranch_execz .LBB6_659
; %bb.650:                              ;   in Loop: Header=BB6_356 Depth=4
	v_mov_b32_e32 v2, 0
	v_cmp_ne_u32_e32 vcc, 0, v1
	buffer_store_dword v2, off, s[0:3], s33 offset:136 ; 4-byte Folded Spill
	s_and_saveexec_b64 s[36:37], vcc
	s_cbranch_execz .LBB6_658
; %bb.651:                              ;   in Loop: Header=BB6_356 Depth=4
	v_and_b32_e32 v2, 0x7fffff, v1
	v_bfe_u32 v1, v1, 23, 8
	v_cmp_gt_u32_e64 s[28:29], s47, v1
	v_sub_u32_e32 v3, 0x79, v1
	v_cmp_eq_u32_e32 vcc, 0, v1
	v_cndmask_b32_e64 v3, 0, v3, s[28:29]
	v_mov_b32_e32 v4, 0x78
	v_or_b32_e32 v6, 0x800000, v2
	v_cndmask_b32_e32 v4, v3, v4, vcc
	v_cndmask_b32_e32 v20, v6, v2, vcc
	v_add_u32_e32 v2, 20, v4
	v_lshlrev_b64 v[2:3], v2, -1
	v_add_u32_e32 v6, 19, v4
	v_lshlrev_b64 v[6:7], v6, 1
	v_bfi_b32 v3, v3, 0, 0
	v_bfi_b32 v2, v2, 0, v20
	v_cmp_eq_u64_e64 s[28:29], v[2:3], v[6:7]
	v_lshrrev_b64 v[2:3], v4, v[20:21]
	v_mov_b32_e32 v23, v3
	v_mov_b32_e32 v22, v2
	s_and_saveexec_b64 s[38:39], s[28:29]
; %bb.652:                              ;   in Loop: Header=BB6_356 Depth=4
	v_bfe_u32 v3, v2, 20, 1
	v_add_co_u32_e64 v3, s[28:29], v2, v3
	v_add_co_u32_e64 v22, s[28:29], -1, v3
; %bb.653:                              ;   in Loop: Header=BB6_356 Depth=4
	s_or_b64 exec, exec, s[38:39]
	v_add_u32_e32 v1, 0xffffff81, v1
	v_mov_b32_e32 v3, 0xffffff82
	v_cndmask_b32_e32 v1, v1, v3, vcc
	v_lshrrev_b32_e32 v3, 23, v2
	v_add3_u32 v6, v4, v1, v3
	v_add_u32_e32 v4, 6, v6
	v_and_b32_e32 v1, 0xfffff, v22
	v_add_u32_e32 v20, v1, v2
	v_cmp_ne_u32_e32 vcc, 0, v4
                                        ; implicit-def: $vgpr2_vgpr3
                                        ; implicit-def: $vgpr1
	s_and_saveexec_b64 s[28:29], vcc
	s_xor_b64 s[28:29], exec, s[28:29]
; %bb.654:                              ;   in Loop: Header=BB6_356 Depth=4
	v_cmp_lt_u64_e32 vcc, s[88:89], v[20:21]
	v_add_u32_e32 v1, 7, v6
	v_cndmask_b32_e64 v2, 0, 1, vcc
	v_cndmask_b32_e32 v1, v4, v1, vcc
	v_lshrrev_b64 v[2:3], v2, v[20:21]
; %bb.655:                              ;   in Loop: Header=BB6_356 Depth=4
	s_andn2_saveexec_b64 s[28:29], s[28:29]
; %bb.656:                              ;   in Loop: Header=BB6_356 Depth=4
	v_mov_b32_e32 v2, v20
	v_bfe_u32 v1, v20, 23, 1
	v_mov_b32_e32 v3, v21
; %bb.657:                              ;   in Loop: Header=BB6_356 Depth=4
	s_or_b64 exec, exec, s[28:29]
	v_lshrrev_b64 v[2:3], 20, v[2:3]
	v_cmp_gt_i32_e32 vcc, 16, v1
	v_cndmask_b32_e32 v3, 0, v3, vcc
	v_cndmask_b32_e32 v2, 7, v2, vcc
	v_cmp_eq_u32_e32 vcc, 0, v1
	v_min_i32_e32 v1, 15, v1
	v_cmp_eq_u64_e64 s[28:29], 0, v[2:3]
	v_lshlrev_b32_e32 v1, 3, v1
	v_and_b32_e32 v1, 0xf8, v1
	v_and_or_b32 v1, v2, 7, v1
	s_and_b64 s[28:29], vcc, s[28:29]
	v_cndmask_b32_e64 v1, v1, 0, s[28:29]
	v_or_b32_e32 v0, v1, v0
	buffer_store_dword v0, off, s[0:3], s33 offset:136 ; 4-byte Folded Spill
.LBB6_658:                              ;   in Loop: Header=BB6_356 Depth=4
	s_or_b64 exec, exec, s[36:37]
                                        ; implicit-def: $vgpr0
.LBB6_659:                              ;   in Loop: Header=BB6_356 Depth=4
	s_andn2_saveexec_b64 s[28:29], s[34:35]
	s_cbranch_execz .LBB6_661
; %bb.660:                              ;   in Loop: Header=BB6_356 Depth=4
	v_or_b32_e32 v0, 0x7e, v0
	buffer_store_dword v0, off, s[0:3], s33 offset:136 ; 4-byte Folded Spill
.LBB6_661:                              ;   in Loop: Header=BB6_356 Depth=4
	s_or_b64 exec, exec, s[28:29]
                                        ; implicit-def: $vgpr1
.LBB6_662:                              ;   in Loop: Header=BB6_356 Depth=4
	s_andn2_saveexec_b64 s[28:29], s[30:31]
	s_cbranch_execz .LBB6_664
; %bb.663:                              ;   in Loop: Header=BB6_356 Depth=4
	v_or_b32_sdwa v0, v1, s81 dst_sel:DWORD dst_unused:UNUSED_PAD src0_sel:BYTE_3 src1_sel:DWORD
	buffer_store_dword v0, off, s[0:3], s33 offset:136 ; 4-byte Folded Spill
.LBB6_664:                              ;   in Loop: Header=BB6_356 Depth=4
	s_or_b64 exec, exec, s[28:29]
	v_cmp_lt_u32_e32 vcc, s57, v50
	v_mov_b32_e32 v0, 0
	v_mov_b32_e32 v1, 0
	s_and_saveexec_b64 s[28:29], vcc
	s_cbranch_execz .LBB6_670
; %bb.665:                              ;   in Loop: Header=BB6_356 Depth=4
	v_lshrrev_b32_e32 v2, 24, v50
	v_cmp_ne_u32_e32 vcc, s80, v2
	v_bfrev_b32_e32 v1, 1
	s_and_saveexec_b64 s[30:31], vcc
	s_cbranch_execz .LBB6_669
; %bb.666:                              ;   in Loop: Header=BB6_356 Depth=4
	v_bfe_u32 v3, v50, 24, 7
	v_cmp_ne_u32_e32 vcc, s81, v3
	v_mov_b32_e32 v1, 0x7f800001
	s_and_saveexec_b64 s[34:35], vcc
	s_cbranch_execz .LBB6_668
; %bb.667:                              ;   in Loop: Header=BB6_356 Depth=4
	v_and_b32_e32 v1, 7, v2
	v_lshrrev_b32_e32 v6, 3, v3
	v_cmp_gt_u32_e32 vcc, 8, v3
	v_ffbh_u32_e32 v3, v1
	v_min_u32_e32 v7, 32, v3
	v_subrev_u32_e32 v3, 28, v7
	v_lshlrev_b64 v[3:4], v3, v[2:3]
	v_sub_u32_e32 v4, 29, v7
	v_and_b32_e32 v3, 7, v3
	v_cndmask_b32_e32 v4, v6, v4, vcc
	v_cndmask_b32_e32 v1, v1, v3, vcc
	v_lshlrev_b32_e32 v2, 24, v2
	v_bfrev_b32_e32 v3, 60
	v_lshlrev_b32_e32 v1, 20, v1
	v_and_b32_e32 v2, 0x80000000, v2
	v_lshl_add_u32 v3, v4, 23, v3
	v_or3_b32 v1, v2, v3, v1
.LBB6_668:                              ;   in Loop: Header=BB6_356 Depth=4
	s_or_b64 exec, exec, s[34:35]
.LBB6_669:                              ;   in Loop: Header=BB6_356 Depth=4
	s_or_b64 exec, exec, s[30:31]
.LBB6_670:                              ;   in Loop: Header=BB6_356 Depth=4
	s_or_b64 exec, exec, s[28:29]
	v_cmp_lt_u32_e32 vcc, s57, v38
	s_and_saveexec_b64 s[28:29], vcc
	s_cbranch_execz .LBB6_676
; %bb.671:                              ;   in Loop: Header=BB6_356 Depth=4
	v_lshrrev_b32_e32 v2, 24, v38
	v_cmp_ne_u32_e32 vcc, s80, v2
	v_bfrev_b32_e32 v0, 1
	s_and_saveexec_b64 s[30:31], vcc
	s_cbranch_execz .LBB6_675
; %bb.672:                              ;   in Loop: Header=BB6_356 Depth=4
	v_bfe_u32 v3, v38, 24, 7
	v_cmp_ne_u32_e32 vcc, s81, v3
	v_mov_b32_e32 v0, 0x7f800001
	s_and_saveexec_b64 s[34:35], vcc
	s_cbranch_execz .LBB6_674
; %bb.673:                              ;   in Loop: Header=BB6_356 Depth=4
	v_and_b32_e32 v0, 7, v2
	v_lshrrev_b32_e32 v6, 3, v3
	v_cmp_gt_u32_e32 vcc, 8, v3
	v_ffbh_u32_e32 v3, v0
	v_min_u32_e32 v7, 32, v3
	v_subrev_u32_e32 v3, 28, v7
	v_lshlrev_b64 v[3:4], v3, v[2:3]
	v_sub_u32_e32 v4, 29, v7
	v_and_b32_e32 v3, 7, v3
	v_cndmask_b32_e32 v4, v6, v4, vcc
	v_cndmask_b32_e32 v0, v0, v3, vcc
	v_lshlrev_b32_e32 v2, 24, v2
	v_bfrev_b32_e32 v3, 60
	v_lshlrev_b32_e32 v0, 20, v0
	v_and_b32_e32 v2, 0x80000000, v2
	v_lshl_add_u32 v3, v4, 23, v3
	v_or3_b32 v0, v2, v3, v0
.LBB6_674:                              ;   in Loop: Header=BB6_356 Depth=4
	s_or_b64 exec, exec, s[34:35]
.LBB6_675:                              ;   in Loop: Header=BB6_356 Depth=4
	s_or_b64 exec, exec, s[30:31]
.LBB6_676:                              ;   in Loop: Header=BB6_356 Depth=4
	s_or_b64 exec, exec, s[28:29]
	v_mul_f32_e32 v1, v1, v0
	v_and_b32_e32 v20, 0x7f800000, v1
	v_cmp_ne_u64_e32 vcc, s[62:63], v[20:21]
                                        ; implicit-def: $vgpr0
                                        ; kill: killed $vgpr0
	s_and_saveexec_b64 s[28:29], vcc
	s_xor_b64 s[30:31], exec, s[28:29]
	s_cbranch_execz .LBB6_690
; %bb.677:                              ;   in Loop: Header=BB6_356 Depth=4
	v_and_b32_e32 v20, 0x7fffffff, v1
	v_cmp_gt_u64_e32 vcc, s[78:79], v[20:21]
	v_and_b32_sdwa v0, v1, s80 dst_sel:DWORD dst_unused:UNUSED_PAD src0_sel:BYTE_3 src1_sel:DWORD
                                        ; implicit-def: $vgpr2
                                        ; kill: killed $vgpr2
	s_and_saveexec_b64 s[28:29], vcc
	s_xor_b64 s[34:35], exec, s[28:29]
	s_cbranch_execz .LBB6_687
; %bb.678:                              ;   in Loop: Header=BB6_356 Depth=4
	v_mov_b32_e32 v2, 0
	v_cmp_ne_u32_e32 vcc, 0, v1
	buffer_store_dword v2, off, s[0:3], s33 offset:140 ; 4-byte Folded Spill
	s_and_saveexec_b64 s[36:37], vcc
	s_cbranch_execz .LBB6_686
; %bb.679:                              ;   in Loop: Header=BB6_356 Depth=4
	v_and_b32_e32 v2, 0x7fffff, v1
	v_bfe_u32 v1, v1, 23, 8
	v_cmp_gt_u32_e64 s[28:29], s47, v1
	v_sub_u32_e32 v3, 0x79, v1
	v_cmp_eq_u32_e32 vcc, 0, v1
	v_cndmask_b32_e64 v3, 0, v3, s[28:29]
	v_mov_b32_e32 v4, 0x78
	v_or_b32_e32 v6, 0x800000, v2
	v_cndmask_b32_e32 v4, v3, v4, vcc
	v_cndmask_b32_e32 v20, v6, v2, vcc
	v_add_u32_e32 v2, 20, v4
	v_lshlrev_b64 v[2:3], v2, -1
	v_add_u32_e32 v6, 19, v4
	v_lshlrev_b64 v[6:7], v6, 1
	v_bfi_b32 v3, v3, 0, 0
	v_bfi_b32 v2, v2, 0, v20
	v_cmp_eq_u64_e64 s[28:29], v[2:3], v[6:7]
	v_lshrrev_b64 v[2:3], v4, v[20:21]
	v_mov_b32_e32 v23, v3
	v_mov_b32_e32 v22, v2
	s_and_saveexec_b64 s[38:39], s[28:29]
; %bb.680:                              ;   in Loop: Header=BB6_356 Depth=4
	v_bfe_u32 v3, v2, 20, 1
	v_add_co_u32_e64 v3, s[28:29], v2, v3
	v_add_co_u32_e64 v22, s[28:29], -1, v3
; %bb.681:                              ;   in Loop: Header=BB6_356 Depth=4
	s_or_b64 exec, exec, s[38:39]
	v_add_u32_e32 v1, 0xffffff81, v1
	v_mov_b32_e32 v3, 0xffffff82
	v_cndmask_b32_e32 v1, v1, v3, vcc
	v_lshrrev_b32_e32 v3, 23, v2
	v_add3_u32 v6, v4, v1, v3
	v_add_u32_e32 v4, 6, v6
	v_and_b32_e32 v1, 0xfffff, v22
	v_add_u32_e32 v20, v1, v2
	v_cmp_ne_u32_e32 vcc, 0, v4
                                        ; implicit-def: $vgpr2_vgpr3
                                        ; implicit-def: $vgpr1
	s_and_saveexec_b64 s[28:29], vcc
	s_xor_b64 s[28:29], exec, s[28:29]
; %bb.682:                              ;   in Loop: Header=BB6_356 Depth=4
	v_cmp_lt_u64_e32 vcc, s[88:89], v[20:21]
	v_add_u32_e32 v1, 7, v6
	v_cndmask_b32_e64 v2, 0, 1, vcc
	v_cndmask_b32_e32 v1, v4, v1, vcc
	v_lshrrev_b64 v[2:3], v2, v[20:21]
; %bb.683:                              ;   in Loop: Header=BB6_356 Depth=4
	s_andn2_saveexec_b64 s[28:29], s[28:29]
; %bb.684:                              ;   in Loop: Header=BB6_356 Depth=4
	v_mov_b32_e32 v2, v20
	v_bfe_u32 v1, v20, 23, 1
	v_mov_b32_e32 v3, v21
; %bb.685:                              ;   in Loop: Header=BB6_356 Depth=4
	s_or_b64 exec, exec, s[28:29]
	v_lshrrev_b64 v[2:3], 20, v[2:3]
	v_cmp_gt_i32_e32 vcc, 16, v1
	v_cndmask_b32_e32 v3, 0, v3, vcc
	v_cndmask_b32_e32 v2, 7, v2, vcc
	v_cmp_eq_u32_e32 vcc, 0, v1
	v_min_i32_e32 v1, 15, v1
	v_cmp_eq_u64_e64 s[28:29], 0, v[2:3]
	v_lshlrev_b32_e32 v1, 3, v1
	v_and_b32_e32 v1, 0xf8, v1
	v_and_or_b32 v1, v2, 7, v1
	s_and_b64 s[28:29], vcc, s[28:29]
	v_cndmask_b32_e64 v1, v1, 0, s[28:29]
	v_or_b32_e32 v0, v1, v0
	buffer_store_dword v0, off, s[0:3], s33 offset:140 ; 4-byte Folded Spill
.LBB6_686:                              ;   in Loop: Header=BB6_356 Depth=4
	s_or_b64 exec, exec, s[36:37]
                                        ; implicit-def: $vgpr0
.LBB6_687:                              ;   in Loop: Header=BB6_356 Depth=4
	s_andn2_saveexec_b64 s[28:29], s[34:35]
	s_cbranch_execz .LBB6_689
; %bb.688:                              ;   in Loop: Header=BB6_356 Depth=4
	v_or_b32_e32 v0, 0x7e, v0
	buffer_store_dword v0, off, s[0:3], s33 offset:140 ; 4-byte Folded Spill
.LBB6_689:                              ;   in Loop: Header=BB6_356 Depth=4
	s_or_b64 exec, exec, s[28:29]
                                        ; implicit-def: $vgpr1
.LBB6_690:                              ;   in Loop: Header=BB6_356 Depth=4
	s_andn2_saveexec_b64 s[28:29], s[30:31]
	s_cbranch_execz .LBB6_692
; %bb.691:                              ;   in Loop: Header=BB6_356 Depth=4
	v_or_b32_sdwa v0, v1, s81 dst_sel:DWORD dst_unused:UNUSED_PAD src0_sel:BYTE_3 src1_sel:DWORD
	buffer_store_dword v0, off, s[0:3], s33 offset:140 ; 4-byte Folded Spill
.LBB6_692:                              ;   in Loop: Header=BB6_356 Depth=4
	s_or_b64 exec, exec, s[28:29]
	v_mov_b32_e32 v20, v51
	v_cmp_ne_u16_sdwa vcc, v51, v21 src0_sel:BYTE_0 src1_sel:DWORD
	v_mov_b32_e32 v1, 0
	v_mov_b32_e32 v0, 0
	s_and_saveexec_b64 s[28:29], vcc
	s_cbranch_execz .LBB6_698
; %bb.693:                              ;   in Loop: Header=BB6_356 Depth=4
	v_cmp_ne_u16_sdwa vcc, v51, s80 src0_sel:BYTE_0 src1_sel:DWORD
	v_bfrev_b32_e32 v0, 1
	s_and_saveexec_b64 s[30:31], vcc
	s_cbranch_execz .LBB6_697
; %bb.694:                              ;   in Loop: Header=BB6_356 Depth=4
	v_and_b32_e32 v2, 0x7f, v51
	v_cmp_ne_u32_e32 vcc, s81, v2
	v_mov_b32_e32 v0, 0x7f800001
	s_and_saveexec_b64 s[34:35], vcc
	s_cbranch_execz .LBB6_696
; %bb.695:                              ;   in Loop: Header=BB6_356 Depth=4
	v_and_b32_e32 v0, 7, v51
	v_ffbh_u32_e32 v0, v0
	v_min_u32_e32 v0, 32, v0
	v_lshrrev_b32_e32 v3, 3, v2
	v_cmp_gt_u32_e32 vcc, 8, v2
	v_subrev_u32_e32 v2, 28, v0
	v_sub_u32_e32 v0, 29, v0
	v_cndmask_b32_e32 v2, 0, v2, vcc
	v_cndmask_b32_e32 v0, v3, v0, vcc
	v_lshlrev_b64 v[2:3], v2, v[20:21]
	v_lshlrev_b32_e32 v3, 24, v20
	v_lshlrev_b32_e32 v2, 20, v2
	v_bfrev_b32_e32 v4, 60
	v_and_b32_e32 v2, 0x700000, v2
	v_and_b32_e32 v3, 0x80000000, v3
	v_lshl_add_u32 v0, v0, 23, v4
	v_or3_b32 v0, v3, v0, v2
.LBB6_696:                              ;   in Loop: Header=BB6_356 Depth=4
	s_or_b64 exec, exec, s[34:35]
.LBB6_697:                              ;   in Loop: Header=BB6_356 Depth=4
	s_or_b64 exec, exec, s[30:31]
.LBB6_698:                              ;   in Loop: Header=BB6_356 Depth=4
	s_or_b64 exec, exec, s[28:29]
	v_cmp_ne_u16_sdwa vcc, v39, v21 src0_sel:BYTE_0 src1_sel:DWORD
	s_and_saveexec_b64 s[28:29], vcc
	s_cbranch_execz .LBB6_704
; %bb.699:                              ;   in Loop: Header=BB6_356 Depth=4
	v_cmp_ne_u16_sdwa vcc, v39, s80 src0_sel:BYTE_0 src1_sel:DWORD
	v_bfrev_b32_e32 v1, 1
	s_and_saveexec_b64 s[30:31], vcc
	s_cbranch_execz .LBB6_703
; %bb.700:                              ;   in Loop: Header=BB6_356 Depth=4
	v_and_b32_e32 v2, 0x7f, v39
	v_cmp_ne_u32_e32 vcc, s81, v2
	v_mov_b32_e32 v1, 0x7f800001
	s_and_saveexec_b64 s[34:35], vcc
	s_cbranch_execz .LBB6_702
; %bb.701:                              ;   in Loop: Header=BB6_356 Depth=4
	v_and_b32_e32 v1, 7, v39
	v_ffbh_u32_e32 v1, v1
	v_min_u32_e32 v1, 32, v1
	v_lshrrev_b32_e32 v6, 3, v2
	v_cmp_gt_u32_e32 vcc, 8, v2
	v_subrev_u32_e32 v2, 28, v1
	v_sub_u32_e32 v1, 29, v1
	v_mov_b32_e32 v3, v39
	v_mov_b32_e32 v4, v21
	v_cndmask_b32_e32 v6, v6, v1, vcc
	v_cndmask_b32_e32 v1, 0, v2, vcc
	v_lshlrev_b64 v[1:2], v1, v[3:4]
	v_lshlrev_b32_e32 v2, 24, v3
	v_lshlrev_b32_e32 v1, 20, v1
	v_bfrev_b32_e32 v3, 60
	v_and_b32_e32 v1, 0x700000, v1
	v_and_b32_e32 v2, 0x80000000, v2
	v_lshl_add_u32 v3, v6, 23, v3
	v_or3_b32 v1, v2, v3, v1
.LBB6_702:                              ;   in Loop: Header=BB6_356 Depth=4
	s_or_b64 exec, exec, s[34:35]
.LBB6_703:                              ;   in Loop: Header=BB6_356 Depth=4
	s_or_b64 exec, exec, s[30:31]
.LBB6_704:                              ;   in Loop: Header=BB6_356 Depth=4
	s_or_b64 exec, exec, s[28:29]
	v_mul_f32_e32 v1, v0, v1
	v_and_b32_e32 v2, 0x7f800000, v1
	v_mov_b32_e32 v3, v21
	v_cmp_ne_u64_e32 vcc, s[62:63], v[2:3]
                                        ; implicit-def: $vgpr0
                                        ; kill: killed $vgpr0
	s_and_saveexec_b64 s[28:29], vcc
	s_xor_b64 s[30:31], exec, s[28:29]
	s_cbranch_execz .LBB6_718
; %bb.705:                              ;   in Loop: Header=BB6_356 Depth=4
	v_and_b32_e32 v2, 0x7fffffff, v1
	v_mov_b32_e32 v3, v21
	v_cmp_gt_u64_e32 vcc, s[78:79], v[2:3]
	v_and_b32_sdwa v0, v1, s80 dst_sel:DWORD dst_unused:UNUSED_PAD src0_sel:BYTE_3 src1_sel:DWORD
                                        ; implicit-def: $vgpr2
                                        ; kill: killed $vgpr2
	s_and_saveexec_b64 s[28:29], vcc
	s_xor_b64 s[34:35], exec, s[28:29]
	s_cbranch_execz .LBB6_715
; %bb.706:                              ;   in Loop: Header=BB6_356 Depth=4
	v_mov_b32_e32 v2, 0
	v_cmp_ne_u32_e32 vcc, 0, v1
	buffer_store_dword v2, off, s[0:3], s33 offset:144 ; 4-byte Folded Spill
	s_and_saveexec_b64 s[36:37], vcc
	s_cbranch_execz .LBB6_714
; %bb.707:                              ;   in Loop: Header=BB6_356 Depth=4
	v_and_b32_e32 v2, 0x7fffff, v1
	v_bfe_u32 v1, v1, 23, 8
	v_cmp_gt_u32_e64 s[28:29], s47, v1
	v_sub_u32_e32 v3, 0x79, v1
	v_cmp_eq_u32_e32 vcc, 0, v1
	v_cndmask_b32_e64 v3, 0, v3, s[28:29]
	v_mov_b32_e32 v4, 0x78
	v_or_b32_e32 v6, 0x800000, v2
	v_cndmask_b32_e32 v4, v3, v4, vcc
	v_cndmask_b32_e32 v2, v6, v2, vcc
	v_add_u32_e32 v6, 20, v4
	v_lshlrev_b64 v[6:7], v6, -1
	v_mov_b32_e32 v3, v21
	v_add_u32_e32 v22, 19, v4
	v_bfi_b32 v6, v6, 0, v2
	v_lshlrev_b64 v[22:23], v22, 1
	v_lshrrev_b64 v[2:3], v4, v[2:3]
	v_bfi_b32 v7, v7, 0, 0
	v_cmp_eq_u64_e64 s[28:29], v[6:7], v[22:23]
	v_mov_b32_e32 v23, v3
	v_mov_b32_e32 v22, v2
	s_and_saveexec_b64 s[38:39], s[28:29]
; %bb.708:                              ;   in Loop: Header=BB6_356 Depth=4
	v_bfe_u32 v3, v2, 20, 1
	v_add_co_u32_e64 v3, s[28:29], v2, v3
	v_add_co_u32_e64 v22, s[28:29], -1, v3
; %bb.709:                              ;   in Loop: Header=BB6_356 Depth=4
	s_or_b64 exec, exec, s[38:39]
	v_add_u32_e32 v1, 0xffffff81, v1
	v_mov_b32_e32 v3, 0xffffff82
	v_cndmask_b32_e32 v1, v1, v3, vcc
	v_lshrrev_b32_e32 v3, 23, v2
	v_add3_u32 v6, v4, v1, v3
	v_add_u32_e32 v4, 6, v6
	v_and_b32_e32 v1, 0xfffff, v22
	v_add_u32_e32 v2, v1, v2
	v_mov_b32_e32 v3, v21
	v_cmp_ne_u32_e32 vcc, 0, v4
                                        ; implicit-def: $vgpr1
	s_and_saveexec_b64 s[28:29], vcc
	s_xor_b64 s[28:29], exec, s[28:29]
; %bb.710:                              ;   in Loop: Header=BB6_356 Depth=4
	v_cmp_lt_u64_e32 vcc, s[88:89], v[2:3]
	v_add_u32_e32 v1, 7, v6
	v_cndmask_b32_e32 v1, v4, v1, vcc
	v_cndmask_b32_e64 v4, 0, 1, vcc
	v_lshrrev_b64 v[2:3], v4, v[2:3]
; %bb.711:                              ;   in Loop: Header=BB6_356 Depth=4
	s_andn2_saveexec_b64 s[28:29], s[28:29]
; %bb.712:                              ;   in Loop: Header=BB6_356 Depth=4
	v_bfe_u32 v1, v2, 23, 1
; %bb.713:                              ;   in Loop: Header=BB6_356 Depth=4
	s_or_b64 exec, exec, s[28:29]
	v_lshrrev_b64 v[2:3], 20, v[2:3]
	v_cmp_gt_i32_e32 vcc, 16, v1
	v_cndmask_b32_e32 v3, 0, v3, vcc
	v_cndmask_b32_e32 v2, 7, v2, vcc
	v_cmp_eq_u32_e32 vcc, 0, v1
	v_min_i32_e32 v1, 15, v1
	v_cmp_eq_u64_e64 s[28:29], 0, v[2:3]
	v_lshlrev_b32_e32 v1, 3, v1
	v_and_b32_e32 v1, 0xf8, v1
	v_and_or_b32 v1, v2, 7, v1
	s_and_b64 s[28:29], vcc, s[28:29]
	v_cndmask_b32_e64 v1, v1, 0, s[28:29]
	v_or_b32_e32 v0, v1, v0
	buffer_store_dword v0, off, s[0:3], s33 offset:144 ; 4-byte Folded Spill
.LBB6_714:                              ;   in Loop: Header=BB6_356 Depth=4
	s_or_b64 exec, exec, s[36:37]
                                        ; implicit-def: $vgpr0
.LBB6_715:                              ;   in Loop: Header=BB6_356 Depth=4
	s_andn2_saveexec_b64 s[28:29], s[34:35]
	s_cbranch_execz .LBB6_717
; %bb.716:                              ;   in Loop: Header=BB6_356 Depth=4
	v_or_b32_e32 v0, 0x7e, v0
	buffer_store_dword v0, off, s[0:3], s33 offset:144 ; 4-byte Folded Spill
.LBB6_717:                              ;   in Loop: Header=BB6_356 Depth=4
	s_or_b64 exec, exec, s[28:29]
                                        ; implicit-def: $vgpr1
.LBB6_718:                              ;   in Loop: Header=BB6_356 Depth=4
	s_andn2_saveexec_b64 s[28:29], s[30:31]
	s_cbranch_execz .LBB6_720
; %bb.719:                              ;   in Loop: Header=BB6_356 Depth=4
	v_or_b32_sdwa v0, v1, s81 dst_sel:DWORD dst_unused:UNUSED_PAD src0_sel:BYTE_3 src1_sel:DWORD
	buffer_store_dword v0, off, s[0:3], s33 offset:144 ; 4-byte Folded Spill
.LBB6_720:                              ;   in Loop: Header=BB6_356 Depth=4
	s_or_b64 exec, exec, s[28:29]
	v_lshrrev_b16_e32 v2, 8, v20
	v_cmp_ne_u16_e32 vcc, 0, v2
	v_mov_b32_e32 v0, 0
	v_mov_b32_e32 v1, 0
	s_and_saveexec_b64 s[28:29], vcc
	s_cbranch_execz .LBB6_726
; %bb.721:                              ;   in Loop: Header=BB6_356 Depth=4
	v_cmp_ne_u16_e32 vcc, s80, v2
	v_bfrev_b32_e32 v1, 1
	s_and_saveexec_b64 s[30:31], vcc
	s_cbranch_execz .LBB6_725
; %bb.722:                              ;   in Loop: Header=BB6_356 Depth=4
	v_and_b32_e32 v3, 0x7f, v2
	v_cmp_ne_u32_e32 vcc, s81, v3
	v_mov_b32_e32 v1, 0x7f800001
	s_and_saveexec_b64 s[34:35], vcc
	s_cbranch_execz .LBB6_724
; %bb.723:                              ;   in Loop: Header=BB6_356 Depth=4
	v_and_b32_e32 v4, 7, v2
	v_ffbh_u32_e32 v1, v4
	v_lshrrev_b32_e32 v6, 3, v3
	v_cmp_gt_u32_e32 vcc, 8, v3
	v_min_u32_e32 v3, 32, v1
	v_subrev_u32_e32 v1, 28, v3
	v_lshlrev_b64 v[1:2], v1, v[2:3]
	v_sub_u32_e32 v2, 29, v3
	v_and_b32_e32 v1, 7, v1
	v_cndmask_b32_e32 v2, v6, v2, vcc
	v_cndmask_b32_e32 v1, v4, v1, vcc
	v_lshlrev_b32_e32 v3, 16, v20
	v_bfrev_b32_e32 v4, 60
	v_lshlrev_b32_e32 v1, 20, v1
	v_and_b32_e32 v3, 0x80000000, v3
	v_lshl_add_u32 v2, v2, 23, v4
	v_or3_b32 v1, v3, v2, v1
.LBB6_724:                              ;   in Loop: Header=BB6_356 Depth=4
	s_or_b64 exec, exec, s[34:35]
.LBB6_725:                              ;   in Loop: Header=BB6_356 Depth=4
	s_or_b64 exec, exec, s[30:31]
.LBB6_726:                              ;   in Loop: Header=BB6_356 Depth=4
	s_or_b64 exec, exec, s[28:29]
	v_lshrrev_b16_e32 v2, 8, v39
	v_cmp_ne_u16_e32 vcc, 0, v2
	s_and_saveexec_b64 s[28:29], vcc
	s_cbranch_execz .LBB6_732
; %bb.727:                              ;   in Loop: Header=BB6_356 Depth=4
	v_cmp_ne_u16_e32 vcc, s80, v2
	v_bfrev_b32_e32 v0, 1
	s_and_saveexec_b64 s[30:31], vcc
	s_cbranch_execz .LBB6_731
; %bb.728:                              ;   in Loop: Header=BB6_356 Depth=4
	v_and_b32_e32 v3, 0x7f, v2
	v_cmp_ne_u32_e32 vcc, s81, v3
	v_mov_b32_e32 v0, 0x7f800001
	s_and_saveexec_b64 s[34:35], vcc
	s_cbranch_execz .LBB6_730
; %bb.729:                              ;   in Loop: Header=BB6_356 Depth=4
	v_and_b32_e32 v0, 7, v2
	v_lshrrev_b32_e32 v4, 3, v3
	v_cmp_gt_u32_e32 vcc, 8, v3
	v_ffbh_u32_e32 v3, v0
	v_min_u32_e32 v6, 32, v3
	v_subrev_u32_e32 v3, 28, v6
	v_lshlrev_b64 v[2:3], v3, v[2:3]
	v_sub_u32_e32 v3, 29, v6
	v_and_b32_e32 v2, 7, v2
	v_cndmask_b32_e32 v3, v4, v3, vcc
	v_cndmask_b32_e32 v0, v0, v2, vcc
	v_lshlrev_b32_e32 v2, 16, v39
	v_bfrev_b32_e32 v4, 60
	v_lshlrev_b32_e32 v0, 20, v0
	v_and_b32_e32 v2, 0x80000000, v2
	v_lshl_add_u32 v3, v3, 23, v4
	v_or3_b32 v0, v2, v3, v0
.LBB6_730:                              ;   in Loop: Header=BB6_356 Depth=4
	s_or_b64 exec, exec, s[34:35]
.LBB6_731:                              ;   in Loop: Header=BB6_356 Depth=4
	s_or_b64 exec, exec, s[30:31]
.LBB6_732:                              ;   in Loop: Header=BB6_356 Depth=4
	s_or_b64 exec, exec, s[28:29]
	v_mul_f32_e32 v1, v1, v0
	v_and_b32_e32 v20, 0x7f800000, v1
	v_cmp_ne_u64_e32 vcc, s[62:63], v[20:21]
                                        ; implicit-def: $vgpr0
                                        ; kill: killed $vgpr0
	s_and_saveexec_b64 s[28:29], vcc
	s_xor_b64 s[30:31], exec, s[28:29]
	s_cbranch_execz .LBB6_746
; %bb.733:                              ;   in Loop: Header=BB6_356 Depth=4
	v_and_b32_e32 v20, 0x7fffffff, v1
	v_cmp_gt_u64_e32 vcc, s[78:79], v[20:21]
	v_and_b32_sdwa v0, v1, s80 dst_sel:DWORD dst_unused:UNUSED_PAD src0_sel:BYTE_3 src1_sel:DWORD
                                        ; implicit-def: $vgpr2
                                        ; kill: killed $vgpr2
	s_and_saveexec_b64 s[28:29], vcc
	s_xor_b64 s[34:35], exec, s[28:29]
	s_cbranch_execz .LBB6_743
; %bb.734:                              ;   in Loop: Header=BB6_356 Depth=4
	v_mov_b32_e32 v2, 0
	v_cmp_ne_u32_e32 vcc, 0, v1
	buffer_store_dword v2, off, s[0:3], s33 offset:148 ; 4-byte Folded Spill
	s_and_saveexec_b64 s[36:37], vcc
	s_cbranch_execz .LBB6_742
; %bb.735:                              ;   in Loop: Header=BB6_356 Depth=4
	v_and_b32_e32 v2, 0x7fffff, v1
	v_bfe_u32 v1, v1, 23, 8
	v_cmp_gt_u32_e64 s[28:29], s47, v1
	v_sub_u32_e32 v3, 0x79, v1
	v_cmp_eq_u32_e32 vcc, 0, v1
	v_cndmask_b32_e64 v3, 0, v3, s[28:29]
	v_mov_b32_e32 v4, 0x78
	v_or_b32_e32 v6, 0x800000, v2
	v_cndmask_b32_e32 v4, v3, v4, vcc
	v_cndmask_b32_e32 v20, v6, v2, vcc
	v_add_u32_e32 v2, 20, v4
	v_lshlrev_b64 v[2:3], v2, -1
	v_add_u32_e32 v6, 19, v4
	v_lshlrev_b64 v[6:7], v6, 1
	v_bfi_b32 v3, v3, 0, 0
	v_bfi_b32 v2, v2, 0, v20
	v_cmp_eq_u64_e64 s[28:29], v[2:3], v[6:7]
	v_lshrrev_b64 v[2:3], v4, v[20:21]
	v_mov_b32_e32 v23, v3
	v_mov_b32_e32 v22, v2
	s_and_saveexec_b64 s[38:39], s[28:29]
; %bb.736:                              ;   in Loop: Header=BB6_356 Depth=4
	v_bfe_u32 v3, v2, 20, 1
	v_add_co_u32_e64 v3, s[28:29], v2, v3
	v_add_co_u32_e64 v22, s[28:29], -1, v3
; %bb.737:                              ;   in Loop: Header=BB6_356 Depth=4
	s_or_b64 exec, exec, s[38:39]
	v_add_u32_e32 v1, 0xffffff81, v1
	v_mov_b32_e32 v3, 0xffffff82
	v_cndmask_b32_e32 v1, v1, v3, vcc
	v_lshrrev_b32_e32 v3, 23, v2
	v_add3_u32 v6, v4, v1, v3
	v_add_u32_e32 v4, 6, v6
	v_and_b32_e32 v1, 0xfffff, v22
	v_add_u32_e32 v20, v1, v2
	v_cmp_ne_u32_e32 vcc, 0, v4
                                        ; implicit-def: $vgpr2_vgpr3
                                        ; implicit-def: $vgpr1
	s_and_saveexec_b64 s[28:29], vcc
	s_xor_b64 s[28:29], exec, s[28:29]
; %bb.738:                              ;   in Loop: Header=BB6_356 Depth=4
	v_cmp_lt_u64_e32 vcc, s[88:89], v[20:21]
	v_add_u32_e32 v1, 7, v6
	v_cndmask_b32_e64 v2, 0, 1, vcc
	v_cndmask_b32_e32 v1, v4, v1, vcc
	v_lshrrev_b64 v[2:3], v2, v[20:21]
; %bb.739:                              ;   in Loop: Header=BB6_356 Depth=4
	s_andn2_saveexec_b64 s[28:29], s[28:29]
; %bb.740:                              ;   in Loop: Header=BB6_356 Depth=4
	v_mov_b32_e32 v2, v20
	v_bfe_u32 v1, v20, 23, 1
	v_mov_b32_e32 v3, v21
; %bb.741:                              ;   in Loop: Header=BB6_356 Depth=4
	s_or_b64 exec, exec, s[28:29]
	v_lshrrev_b64 v[2:3], 20, v[2:3]
	v_cmp_gt_i32_e32 vcc, 16, v1
	v_cndmask_b32_e32 v3, 0, v3, vcc
	v_cndmask_b32_e32 v2, 7, v2, vcc
	v_cmp_eq_u32_e32 vcc, 0, v1
	v_min_i32_e32 v1, 15, v1
	v_cmp_eq_u64_e64 s[28:29], 0, v[2:3]
	v_lshlrev_b32_e32 v1, 3, v1
	v_and_b32_e32 v1, 0xf8, v1
	v_and_or_b32 v1, v2, 7, v1
	s_and_b64 s[28:29], vcc, s[28:29]
	v_cndmask_b32_e64 v1, v1, 0, s[28:29]
	v_or_b32_e32 v0, v1, v0
	buffer_store_dword v0, off, s[0:3], s33 offset:148 ; 4-byte Folded Spill
.LBB6_742:                              ;   in Loop: Header=BB6_356 Depth=4
	s_or_b64 exec, exec, s[36:37]
                                        ; implicit-def: $vgpr0
.LBB6_743:                              ;   in Loop: Header=BB6_356 Depth=4
	s_andn2_saveexec_b64 s[28:29], s[34:35]
	s_cbranch_execz .LBB6_745
; %bb.744:                              ;   in Loop: Header=BB6_356 Depth=4
	v_or_b32_e32 v0, 0x7e, v0
	buffer_store_dword v0, off, s[0:3], s33 offset:148 ; 4-byte Folded Spill
.LBB6_745:                              ;   in Loop: Header=BB6_356 Depth=4
	s_or_b64 exec, exec, s[28:29]
                                        ; implicit-def: $vgpr1
.LBB6_746:                              ;   in Loop: Header=BB6_356 Depth=4
	s_andn2_saveexec_b64 s[28:29], s[30:31]
	s_cbranch_execz .LBB6_748
; %bb.747:                              ;   in Loop: Header=BB6_356 Depth=4
	v_or_b32_sdwa v0, v1, s81 dst_sel:DWORD dst_unused:UNUSED_PAD src0_sel:BYTE_3 src1_sel:DWORD
	buffer_store_dword v0, off, s[0:3], s33 offset:148 ; 4-byte Folded Spill
.LBB6_748:                              ;   in Loop: Header=BB6_356 Depth=4
	s_or_b64 exec, exec, s[28:29]
	v_lshrrev_b32_e32 v2, 16, v51
	v_cmp_ne_u16_sdwa vcc, v2, v21 src0_sel:BYTE_0 src1_sel:DWORD
	v_mov_b32_e32 v0, 0
	v_mov_b32_e32 v1, 0
	s_and_saveexec_b64 s[28:29], vcc
	s_cbranch_execz .LBB6_754
; %bb.749:                              ;   in Loop: Header=BB6_356 Depth=4
	v_cmp_ne_u16_sdwa vcc, v2, s80 src0_sel:BYTE_0 src1_sel:DWORD
	v_bfrev_b32_e32 v1, 1
	s_and_saveexec_b64 s[30:31], vcc
	s_cbranch_execz .LBB6_753
; %bb.750:                              ;   in Loop: Header=BB6_356 Depth=4
	v_bfe_u32 v3, v51, 16, 7
	v_cmp_ne_u32_e32 vcc, s81, v3
	v_mov_b32_e32 v1, 0x7f800001
	s_and_saveexec_b64 s[34:35], vcc
	s_cbranch_execz .LBB6_752
; %bb.751:                              ;   in Loop: Header=BB6_356 Depth=4
	v_and_b32_e32 v1, 7, v2
	v_lshrrev_b32_e32 v6, 3, v3
	v_cmp_gt_u32_e32 vcc, 8, v3
	v_ffbh_u32_e32 v3, v1
	v_min_u32_e32 v7, 32, v3
	v_subrev_u32_e32 v3, 28, v7
	v_lshlrev_b64 v[3:4], v3, v[2:3]
	v_sub_u32_e32 v4, 29, v7
	v_and_b32_e32 v3, 7, v3
	v_cndmask_b32_e32 v4, v6, v4, vcc
	v_cndmask_b32_e32 v1, v1, v3, vcc
	v_lshlrev_b32_e32 v2, 24, v2
	v_bfrev_b32_e32 v3, 60
	v_lshlrev_b32_e32 v1, 20, v1
	v_and_b32_e32 v2, 0x80000000, v2
	v_lshl_add_u32 v3, v4, 23, v3
	v_or3_b32 v1, v2, v3, v1
.LBB6_752:                              ;   in Loop: Header=BB6_356 Depth=4
	s_or_b64 exec, exec, s[34:35]
.LBB6_753:                              ;   in Loop: Header=BB6_356 Depth=4
	s_or_b64 exec, exec, s[30:31]
.LBB6_754:                              ;   in Loop: Header=BB6_356 Depth=4
	s_or_b64 exec, exec, s[28:29]
	v_lshrrev_b32_e32 v2, 16, v39
	v_cmp_ne_u16_sdwa vcc, v2, v21 src0_sel:BYTE_0 src1_sel:DWORD
	s_and_saveexec_b64 s[28:29], vcc
	s_cbranch_execz .LBB6_760
; %bb.755:                              ;   in Loop: Header=BB6_356 Depth=4
	v_cmp_ne_u16_sdwa vcc, v2, s80 src0_sel:BYTE_0 src1_sel:DWORD
	v_bfrev_b32_e32 v0, 1
	s_and_saveexec_b64 s[30:31], vcc
	s_cbranch_execz .LBB6_759
; %bb.756:                              ;   in Loop: Header=BB6_356 Depth=4
	v_bfe_u32 v3, v39, 16, 7
	v_cmp_ne_u32_e32 vcc, s81, v3
	v_mov_b32_e32 v0, 0x7f800001
	s_and_saveexec_b64 s[34:35], vcc
	s_cbranch_execz .LBB6_758
; %bb.757:                              ;   in Loop: Header=BB6_356 Depth=4
	v_and_b32_e32 v0, 7, v2
	v_lshrrev_b32_e32 v4, 3, v3
	v_cmp_gt_u32_e32 vcc, 8, v3
	v_ffbh_u32_e32 v3, v0
	v_min_u32_e32 v6, 32, v3
	v_subrev_u32_e32 v3, 28, v6
	v_lshlrev_b64 v[2:3], v3, v[2:3]
	v_sub_u32_e32 v3, 29, v6
	v_and_b32_e32 v2, 7, v2
	v_cndmask_b32_e32 v3, v4, v3, vcc
	v_cndmask_b32_e32 v0, v0, v2, vcc
	v_lshlrev_b32_e32 v2, 8, v39
	v_bfrev_b32_e32 v4, 60
	v_lshlrev_b32_e32 v0, 20, v0
	v_and_b32_e32 v2, 0x80000000, v2
	v_lshl_add_u32 v3, v3, 23, v4
	v_or3_b32 v0, v2, v3, v0
.LBB6_758:                              ;   in Loop: Header=BB6_356 Depth=4
	s_or_b64 exec, exec, s[34:35]
.LBB6_759:                              ;   in Loop: Header=BB6_356 Depth=4
	s_or_b64 exec, exec, s[30:31]
.LBB6_760:                              ;   in Loop: Header=BB6_356 Depth=4
	s_or_b64 exec, exec, s[28:29]
	v_mul_f32_e32 v1, v1, v0
	v_and_b32_e32 v20, 0x7f800000, v1
	v_cmp_ne_u64_e32 vcc, s[62:63], v[20:21]
                                        ; implicit-def: $vgpr0
                                        ; kill: killed $vgpr0
	s_and_saveexec_b64 s[28:29], vcc
	s_xor_b64 s[30:31], exec, s[28:29]
	s_cbranch_execz .LBB6_774
; %bb.761:                              ;   in Loop: Header=BB6_356 Depth=4
	v_and_b32_e32 v20, 0x7fffffff, v1
	v_cmp_gt_u64_e32 vcc, s[78:79], v[20:21]
	v_and_b32_sdwa v0, v1, s80 dst_sel:DWORD dst_unused:UNUSED_PAD src0_sel:BYTE_3 src1_sel:DWORD
                                        ; implicit-def: $vgpr2
                                        ; kill: killed $vgpr2
	s_and_saveexec_b64 s[28:29], vcc
	s_xor_b64 s[34:35], exec, s[28:29]
	s_cbranch_execz .LBB6_771
; %bb.762:                              ;   in Loop: Header=BB6_356 Depth=4
	v_mov_b32_e32 v2, 0
	v_cmp_ne_u32_e32 vcc, 0, v1
	buffer_store_dword v2, off, s[0:3], s33 offset:152 ; 4-byte Folded Spill
	s_and_saveexec_b64 s[36:37], vcc
	s_cbranch_execz .LBB6_770
; %bb.763:                              ;   in Loop: Header=BB6_356 Depth=4
	v_and_b32_e32 v2, 0x7fffff, v1
	v_bfe_u32 v1, v1, 23, 8
	v_cmp_gt_u32_e64 s[28:29], s47, v1
	v_sub_u32_e32 v3, 0x79, v1
	v_cmp_eq_u32_e32 vcc, 0, v1
	v_cndmask_b32_e64 v3, 0, v3, s[28:29]
	v_mov_b32_e32 v4, 0x78
	v_or_b32_e32 v6, 0x800000, v2
	v_cndmask_b32_e32 v4, v3, v4, vcc
	v_cndmask_b32_e32 v20, v6, v2, vcc
	v_add_u32_e32 v2, 20, v4
	v_lshlrev_b64 v[2:3], v2, -1
	v_add_u32_e32 v6, 19, v4
	v_lshlrev_b64 v[6:7], v6, 1
	v_bfi_b32 v3, v3, 0, 0
	v_bfi_b32 v2, v2, 0, v20
	v_cmp_eq_u64_e64 s[28:29], v[2:3], v[6:7]
	v_lshrrev_b64 v[2:3], v4, v[20:21]
	v_mov_b32_e32 v23, v3
	v_mov_b32_e32 v22, v2
	s_and_saveexec_b64 s[38:39], s[28:29]
; %bb.764:                              ;   in Loop: Header=BB6_356 Depth=4
	v_bfe_u32 v3, v2, 20, 1
	v_add_co_u32_e64 v3, s[28:29], v2, v3
	v_add_co_u32_e64 v22, s[28:29], -1, v3
; %bb.765:                              ;   in Loop: Header=BB6_356 Depth=4
	s_or_b64 exec, exec, s[38:39]
	v_add_u32_e32 v1, 0xffffff81, v1
	v_mov_b32_e32 v3, 0xffffff82
	v_cndmask_b32_e32 v1, v1, v3, vcc
	v_lshrrev_b32_e32 v3, 23, v2
	v_add3_u32 v6, v4, v1, v3
	v_add_u32_e32 v4, 6, v6
	v_and_b32_e32 v1, 0xfffff, v22
	v_add_u32_e32 v20, v1, v2
	v_cmp_ne_u32_e32 vcc, 0, v4
                                        ; implicit-def: $vgpr2_vgpr3
                                        ; implicit-def: $vgpr1
	s_and_saveexec_b64 s[28:29], vcc
	s_xor_b64 s[28:29], exec, s[28:29]
; %bb.766:                              ;   in Loop: Header=BB6_356 Depth=4
	v_cmp_lt_u64_e32 vcc, s[88:89], v[20:21]
	v_add_u32_e32 v1, 7, v6
	v_cndmask_b32_e64 v2, 0, 1, vcc
	v_cndmask_b32_e32 v1, v4, v1, vcc
	v_lshrrev_b64 v[2:3], v2, v[20:21]
; %bb.767:                              ;   in Loop: Header=BB6_356 Depth=4
	s_andn2_saveexec_b64 s[28:29], s[28:29]
; %bb.768:                              ;   in Loop: Header=BB6_356 Depth=4
	v_mov_b32_e32 v2, v20
	v_bfe_u32 v1, v20, 23, 1
	v_mov_b32_e32 v3, v21
; %bb.769:                              ;   in Loop: Header=BB6_356 Depth=4
	s_or_b64 exec, exec, s[28:29]
	v_lshrrev_b64 v[2:3], 20, v[2:3]
	v_cmp_gt_i32_e32 vcc, 16, v1
	v_cndmask_b32_e32 v3, 0, v3, vcc
	v_cndmask_b32_e32 v2, 7, v2, vcc
	v_cmp_eq_u32_e32 vcc, 0, v1
	v_min_i32_e32 v1, 15, v1
	v_cmp_eq_u64_e64 s[28:29], 0, v[2:3]
	v_lshlrev_b32_e32 v1, 3, v1
	v_and_b32_e32 v1, 0xf8, v1
	v_and_or_b32 v1, v2, 7, v1
	s_and_b64 s[28:29], vcc, s[28:29]
	v_cndmask_b32_e64 v1, v1, 0, s[28:29]
	v_or_b32_e32 v0, v1, v0
	buffer_store_dword v0, off, s[0:3], s33 offset:152 ; 4-byte Folded Spill
.LBB6_770:                              ;   in Loop: Header=BB6_356 Depth=4
	s_or_b64 exec, exec, s[36:37]
                                        ; implicit-def: $vgpr0
.LBB6_771:                              ;   in Loop: Header=BB6_356 Depth=4
	s_andn2_saveexec_b64 s[28:29], s[34:35]
	s_cbranch_execz .LBB6_773
; %bb.772:                              ;   in Loop: Header=BB6_356 Depth=4
	v_or_b32_e32 v0, 0x7e, v0
	buffer_store_dword v0, off, s[0:3], s33 offset:152 ; 4-byte Folded Spill
.LBB6_773:                              ;   in Loop: Header=BB6_356 Depth=4
	s_or_b64 exec, exec, s[28:29]
                                        ; implicit-def: $vgpr1
.LBB6_774:                              ;   in Loop: Header=BB6_356 Depth=4
	s_andn2_saveexec_b64 s[28:29], s[30:31]
	s_cbranch_execz .LBB6_776
; %bb.775:                              ;   in Loop: Header=BB6_356 Depth=4
	v_or_b32_sdwa v0, v1, s81 dst_sel:DWORD dst_unused:UNUSED_PAD src0_sel:BYTE_3 src1_sel:DWORD
	buffer_store_dword v0, off, s[0:3], s33 offset:152 ; 4-byte Folded Spill
.LBB6_776:                              ;   in Loop: Header=BB6_356 Depth=4
	s_or_b64 exec, exec, s[28:29]
	v_cmp_lt_u64_e32 vcc, s[56:57], v[50:51]
	v_mov_b32_e32 v0, 0
	v_mov_b32_e32 v1, 0
	s_and_saveexec_b64 s[28:29], vcc
	s_cbranch_execz .LBB6_782
; %bb.777:                              ;   in Loop: Header=BB6_356 Depth=4
	v_lshrrev_b32_e32 v2, 24, v51
	v_cmp_ne_u32_e32 vcc, s80, v2
	v_bfrev_b32_e32 v1, 1
	s_and_saveexec_b64 s[30:31], vcc
	s_cbranch_execz .LBB6_781
; %bb.778:                              ;   in Loop: Header=BB6_356 Depth=4
	v_bfe_u32 v3, v51, 24, 7
	v_cmp_ne_u32_e32 vcc, s81, v3
	v_mov_b32_e32 v1, 0x7f800001
	s_and_saveexec_b64 s[34:35], vcc
	s_cbranch_execz .LBB6_780
; %bb.779:                              ;   in Loop: Header=BB6_356 Depth=4
	v_and_b32_e32 v1, 7, v2
	v_lshrrev_b32_e32 v6, 3, v3
	v_cmp_gt_u32_e32 vcc, 8, v3
	v_ffbh_u32_e32 v3, v1
	v_min_u32_e32 v7, 32, v3
	v_subrev_u32_e32 v3, 28, v7
	v_lshlrev_b64 v[3:4], v3, v[2:3]
	v_sub_u32_e32 v4, 29, v7
	v_and_b32_e32 v3, 7, v3
	v_cndmask_b32_e32 v4, v6, v4, vcc
	v_cndmask_b32_e32 v1, v1, v3, vcc
	v_lshlrev_b32_e32 v2, 24, v2
	v_bfrev_b32_e32 v3, 60
	v_lshlrev_b32_e32 v1, 20, v1
	v_and_b32_e32 v2, 0x80000000, v2
	v_lshl_add_u32 v3, v4, 23, v3
	v_or3_b32 v1, v2, v3, v1
.LBB6_780:                              ;   in Loop: Header=BB6_356 Depth=4
	s_or_b64 exec, exec, s[34:35]
.LBB6_781:                              ;   in Loop: Header=BB6_356 Depth=4
	s_or_b64 exec, exec, s[30:31]
.LBB6_782:                              ;   in Loop: Header=BB6_356 Depth=4
	s_or_b64 exec, exec, s[28:29]
	v_cmp_lt_u64_e32 vcc, s[56:57], v[38:39]
	s_and_saveexec_b64 s[28:29], vcc
	s_cbranch_execz .LBB6_788
; %bb.783:                              ;   in Loop: Header=BB6_356 Depth=4
	v_lshrrev_b32_e32 v2, 24, v39
	v_cmp_ne_u32_e32 vcc, s80, v2
	v_bfrev_b32_e32 v0, 1
	s_and_saveexec_b64 s[30:31], vcc
	s_cbranch_execz .LBB6_787
; %bb.784:                              ;   in Loop: Header=BB6_356 Depth=4
	v_bfe_u32 v3, v39, 24, 7
	v_cmp_ne_u32_e32 vcc, s81, v3
	v_mov_b32_e32 v0, 0x7f800001
	s_and_saveexec_b64 s[34:35], vcc
	s_cbranch_execz .LBB6_786
; %bb.785:                              ;   in Loop: Header=BB6_356 Depth=4
	v_and_b32_e32 v0, 7, v2
	v_lshrrev_b32_e32 v6, 3, v3
	v_cmp_gt_u32_e32 vcc, 8, v3
	v_ffbh_u32_e32 v3, v0
	v_min_u32_e32 v7, 32, v3
	v_subrev_u32_e32 v3, 28, v7
	v_lshlrev_b64 v[3:4], v3, v[2:3]
	v_sub_u32_e32 v4, 29, v7
	v_and_b32_e32 v3, 7, v3
	v_cndmask_b32_e32 v4, v6, v4, vcc
	v_cndmask_b32_e32 v0, v0, v3, vcc
	v_lshlrev_b32_e32 v2, 24, v2
	v_bfrev_b32_e32 v3, 60
	v_lshlrev_b32_e32 v0, 20, v0
	v_and_b32_e32 v2, 0x80000000, v2
	v_lshl_add_u32 v3, v4, 23, v3
	v_or3_b32 v0, v2, v3, v0
.LBB6_786:                              ;   in Loop: Header=BB6_356 Depth=4
	s_or_b64 exec, exec, s[34:35]
.LBB6_787:                              ;   in Loop: Header=BB6_356 Depth=4
	s_or_b64 exec, exec, s[30:31]
.LBB6_788:                              ;   in Loop: Header=BB6_356 Depth=4
	s_or_b64 exec, exec, s[28:29]
	v_mul_f32_e32 v1, v1, v0
	v_and_b32_e32 v20, 0x7f800000, v1
	v_cmp_ne_u64_e32 vcc, s[62:63], v[20:21]
                                        ; implicit-def: $vgpr0
                                        ; kill: killed $vgpr0
	s_and_saveexec_b64 s[28:29], vcc
	s_xor_b64 s[30:31], exec, s[28:29]
	s_cbranch_execz .LBB6_802
; %bb.789:                              ;   in Loop: Header=BB6_356 Depth=4
	v_and_b32_e32 v20, 0x7fffffff, v1
	v_cmp_gt_u64_e32 vcc, s[78:79], v[20:21]
	v_and_b32_sdwa v0, v1, s80 dst_sel:DWORD dst_unused:UNUSED_PAD src0_sel:BYTE_3 src1_sel:DWORD
                                        ; implicit-def: $vgpr2
                                        ; kill: killed $vgpr2
	s_and_saveexec_b64 s[28:29], vcc
	s_xor_b64 s[34:35], exec, s[28:29]
	s_cbranch_execz .LBB6_799
; %bb.790:                              ;   in Loop: Header=BB6_356 Depth=4
	v_mov_b32_e32 v2, 0
	v_cmp_ne_u32_e32 vcc, 0, v1
	buffer_store_dword v2, off, s[0:3], s33 offset:156 ; 4-byte Folded Spill
	s_and_saveexec_b64 s[36:37], vcc
	s_cbranch_execz .LBB6_798
; %bb.791:                              ;   in Loop: Header=BB6_356 Depth=4
	v_and_b32_e32 v2, 0x7fffff, v1
	v_bfe_u32 v1, v1, 23, 8
	v_cmp_gt_u32_e64 s[28:29], s47, v1
	v_sub_u32_e32 v3, 0x79, v1
	v_cmp_eq_u32_e32 vcc, 0, v1
	v_cndmask_b32_e64 v3, 0, v3, s[28:29]
	v_mov_b32_e32 v4, 0x78
	v_or_b32_e32 v6, 0x800000, v2
	v_cndmask_b32_e32 v4, v3, v4, vcc
	v_cndmask_b32_e32 v20, v6, v2, vcc
	v_add_u32_e32 v2, 20, v4
	v_lshlrev_b64 v[2:3], v2, -1
	v_add_u32_e32 v6, 19, v4
	v_lshlrev_b64 v[6:7], v6, 1
	v_bfi_b32 v3, v3, 0, 0
	v_bfi_b32 v2, v2, 0, v20
	v_cmp_eq_u64_e64 s[28:29], v[2:3], v[6:7]
	v_lshrrev_b64 v[2:3], v4, v[20:21]
	v_mov_b32_e32 v23, v3
	v_mov_b32_e32 v22, v2
	s_and_saveexec_b64 s[38:39], s[28:29]
; %bb.792:                              ;   in Loop: Header=BB6_356 Depth=4
	v_bfe_u32 v3, v2, 20, 1
	v_add_co_u32_e64 v3, s[28:29], v2, v3
	v_add_co_u32_e64 v22, s[28:29], -1, v3
; %bb.793:                              ;   in Loop: Header=BB6_356 Depth=4
	s_or_b64 exec, exec, s[38:39]
	v_add_u32_e32 v1, 0xffffff81, v1
	v_mov_b32_e32 v3, 0xffffff82
	v_cndmask_b32_e32 v1, v1, v3, vcc
	v_lshrrev_b32_e32 v3, 23, v2
	v_add3_u32 v6, v4, v1, v3
	v_add_u32_e32 v4, 6, v6
	v_and_b32_e32 v1, 0xfffff, v22
	v_add_u32_e32 v20, v1, v2
	v_cmp_ne_u32_e32 vcc, 0, v4
                                        ; implicit-def: $vgpr2_vgpr3
                                        ; implicit-def: $vgpr1
	s_and_saveexec_b64 s[28:29], vcc
	s_xor_b64 s[28:29], exec, s[28:29]
; %bb.794:                              ;   in Loop: Header=BB6_356 Depth=4
	v_cmp_lt_u64_e32 vcc, s[88:89], v[20:21]
	v_add_u32_e32 v1, 7, v6
	v_cndmask_b32_e64 v2, 0, 1, vcc
	v_cndmask_b32_e32 v1, v4, v1, vcc
	v_lshrrev_b64 v[2:3], v2, v[20:21]
; %bb.795:                              ;   in Loop: Header=BB6_356 Depth=4
	s_andn2_saveexec_b64 s[28:29], s[28:29]
; %bb.796:                              ;   in Loop: Header=BB6_356 Depth=4
	v_mov_b32_e32 v2, v20
	v_bfe_u32 v1, v20, 23, 1
	v_mov_b32_e32 v3, v21
; %bb.797:                              ;   in Loop: Header=BB6_356 Depth=4
	s_or_b64 exec, exec, s[28:29]
	v_lshrrev_b64 v[2:3], 20, v[2:3]
	v_cmp_gt_i32_e32 vcc, 16, v1
	v_cndmask_b32_e32 v3, 0, v3, vcc
	v_cndmask_b32_e32 v2, 7, v2, vcc
	v_cmp_eq_u32_e32 vcc, 0, v1
	v_min_i32_e32 v1, 15, v1
	v_cmp_eq_u64_e64 s[28:29], 0, v[2:3]
	v_lshlrev_b32_e32 v1, 3, v1
	v_and_b32_e32 v1, 0xf8, v1
	v_and_or_b32 v1, v2, 7, v1
	s_and_b64 s[28:29], vcc, s[28:29]
	v_cndmask_b32_e64 v1, v1, 0, s[28:29]
	v_or_b32_e32 v0, v1, v0
	buffer_store_dword v0, off, s[0:3], s33 offset:156 ; 4-byte Folded Spill
.LBB6_798:                              ;   in Loop: Header=BB6_356 Depth=4
	s_or_b64 exec, exec, s[36:37]
                                        ; implicit-def: $vgpr0
.LBB6_799:                              ;   in Loop: Header=BB6_356 Depth=4
	s_andn2_saveexec_b64 s[28:29], s[34:35]
	s_cbranch_execz .LBB6_801
; %bb.800:                              ;   in Loop: Header=BB6_356 Depth=4
	v_or_b32_e32 v0, 0x7e, v0
	buffer_store_dword v0, off, s[0:3], s33 offset:156 ; 4-byte Folded Spill
.LBB6_801:                              ;   in Loop: Header=BB6_356 Depth=4
	s_or_b64 exec, exec, s[28:29]
                                        ; implicit-def: $vgpr1
.LBB6_802:                              ;   in Loop: Header=BB6_356 Depth=4
	s_andn2_saveexec_b64 s[28:29], s[30:31]
	s_cbranch_execz .LBB6_804
; %bb.803:                              ;   in Loop: Header=BB6_356 Depth=4
	v_or_b32_sdwa v0, v1, s81 dst_sel:DWORD dst_unused:UNUSED_PAD src0_sel:BYTE_3 src1_sel:DWORD
	buffer_store_dword v0, off, s[0:3], s33 offset:156 ; 4-byte Folded Spill
.LBB6_804:                              ;   in Loop: Header=BB6_356 Depth=4
	s_or_b64 exec, exec, s[28:29]
	v_cmp_ne_u16_sdwa vcc, v32, v21 src0_sel:BYTE_0 src1_sel:DWORD
	v_mov_b32_e32 v0, 0
	v_mov_b32_e32 v1, 0
	s_and_saveexec_b64 s[28:29], vcc
	s_cbranch_execz .LBB6_810
; %bb.805:                              ;   in Loop: Header=BB6_356 Depth=4
	v_cmp_ne_u16_sdwa vcc, v32, s80 src0_sel:BYTE_0 src1_sel:DWORD
	v_bfrev_b32_e32 v1, 1
	s_and_saveexec_b64 s[30:31], vcc
	s_cbranch_execz .LBB6_809
; %bb.806:                              ;   in Loop: Header=BB6_356 Depth=4
	v_and_b32_e32 v2, 0x7f, v32
	v_cmp_ne_u32_e32 vcc, s81, v2
	v_mov_b32_e32 v1, 0x7f800001
	s_and_saveexec_b64 s[34:35], vcc
	s_cbranch_execz .LBB6_808
; %bb.807:                              ;   in Loop: Header=BB6_356 Depth=4
	v_and_b32_e32 v1, 7, v32
	v_ffbh_u32_e32 v1, v1
	v_min_u32_e32 v1, 32, v1
	v_lshrrev_b32_e32 v3, 3, v2
	v_cmp_gt_u32_e32 vcc, 8, v2
	v_subrev_u32_e32 v2, 28, v1
	v_sub_u32_e32 v1, 29, v1
	v_cndmask_b32_e32 v3, v3, v1, vcc
	v_cndmask_b32_e32 v1, 0, v2, vcc
	v_lshlrev_b64 v[1:2], v1, v[32:33]
	v_lshlrev_b32_e32 v2, 24, v32
	v_lshlrev_b32_e32 v1, 20, v1
	v_bfrev_b32_e32 v4, 60
	v_and_b32_e32 v1, 0x700000, v1
	v_and_b32_e32 v2, 0x80000000, v2
	v_lshl_add_u32 v3, v3, 23, v4
	v_or3_b32 v1, v2, v3, v1
.LBB6_808:                              ;   in Loop: Header=BB6_356 Depth=4
	s_or_b64 exec, exec, s[34:35]
.LBB6_809:                              ;   in Loop: Header=BB6_356 Depth=4
	s_or_b64 exec, exec, s[30:31]
.LBB6_810:                              ;   in Loop: Header=BB6_356 Depth=4
	s_or_b64 exec, exec, s[28:29]
	s_waitcnt vmcnt(2)
	v_cmp_ne_u16_sdwa vcc, v24, v21 src0_sel:BYTE_0 src1_sel:DWORD
	s_and_saveexec_b64 s[28:29], vcc
	s_cbranch_execz .LBB6_816
; %bb.811:                              ;   in Loop: Header=BB6_356 Depth=4
	v_cmp_ne_u16_sdwa vcc, v24, s80 src0_sel:BYTE_0 src1_sel:DWORD
	v_bfrev_b32_e32 v0, 1
	s_and_saveexec_b64 s[30:31], vcc
	s_cbranch_execz .LBB6_815
; %bb.812:                              ;   in Loop: Header=BB6_356 Depth=4
	v_and_b32_e32 v2, 0x7f, v24
	v_cmp_ne_u32_e32 vcc, s81, v2
	v_mov_b32_e32 v0, 0x7f800001
	s_and_saveexec_b64 s[34:35], vcc
	s_cbranch_execz .LBB6_814
; %bb.813:                              ;   in Loop: Header=BB6_356 Depth=4
	v_and_b32_e32 v0, 7, v24
	v_ffbh_u32_e32 v0, v0
	v_min_u32_e32 v0, 32, v0
	v_lshrrev_b32_e32 v3, 3, v2
	v_cmp_gt_u32_e32 vcc, 8, v2
	v_subrev_u32_e32 v2, 28, v0
	v_sub_u32_e32 v0, 29, v0
	v_cndmask_b32_e32 v2, 0, v2, vcc
	v_cndmask_b32_e32 v0, v3, v0, vcc
	v_lshlrev_b64 v[2:3], v2, v[24:25]
	v_lshlrev_b32_e32 v3, 24, v24
	v_lshlrev_b32_e32 v2, 20, v2
	v_bfrev_b32_e32 v4, 60
	v_and_b32_e32 v2, 0x700000, v2
	v_and_b32_e32 v3, 0x80000000, v3
	v_lshl_add_u32 v0, v0, 23, v4
	v_or3_b32 v0, v3, v0, v2
.LBB6_814:                              ;   in Loop: Header=BB6_356 Depth=4
	s_or_b64 exec, exec, s[34:35]
.LBB6_815:                              ;   in Loop: Header=BB6_356 Depth=4
	s_or_b64 exec, exec, s[30:31]
.LBB6_816:                              ;   in Loop: Header=BB6_356 Depth=4
	s_or_b64 exec, exec, s[28:29]
	v_mul_f32_e32 v1, v1, v0
	v_and_b32_e32 v20, 0x7f800000, v1
	v_cmp_ne_u64_e32 vcc, s[62:63], v[20:21]
                                        ; implicit-def: $vgpr0
                                        ; kill: killed $vgpr0
	s_and_saveexec_b64 s[28:29], vcc
	s_xor_b64 s[30:31], exec, s[28:29]
	s_cbranch_execz .LBB6_830
; %bb.817:                              ;   in Loop: Header=BB6_356 Depth=4
	v_and_b32_e32 v20, 0x7fffffff, v1
	v_cmp_gt_u64_e32 vcc, s[78:79], v[20:21]
	v_and_b32_sdwa v0, v1, s80 dst_sel:DWORD dst_unused:UNUSED_PAD src0_sel:BYTE_3 src1_sel:DWORD
                                        ; implicit-def: $vgpr2
                                        ; kill: killed $vgpr2
	s_and_saveexec_b64 s[28:29], vcc
	s_xor_b64 s[34:35], exec, s[28:29]
	s_cbranch_execz .LBB6_827
; %bb.818:                              ;   in Loop: Header=BB6_356 Depth=4
	v_mov_b32_e32 v2, 0
	v_cmp_ne_u32_e32 vcc, 0, v1
	buffer_store_dword v2, off, s[0:3], s33 offset:160 ; 4-byte Folded Spill
	s_and_saveexec_b64 s[36:37], vcc
	s_cbranch_execz .LBB6_826
; %bb.819:                              ;   in Loop: Header=BB6_356 Depth=4
	v_and_b32_e32 v2, 0x7fffff, v1
	v_bfe_u32 v1, v1, 23, 8
	v_cmp_gt_u32_e64 s[28:29], s47, v1
	v_sub_u32_e32 v3, 0x79, v1
	v_cmp_eq_u32_e32 vcc, 0, v1
	v_cndmask_b32_e64 v3, 0, v3, s[28:29]
	v_mov_b32_e32 v4, 0x78
	v_or_b32_e32 v6, 0x800000, v2
	v_cndmask_b32_e32 v4, v3, v4, vcc
	v_cndmask_b32_e32 v20, v6, v2, vcc
	v_add_u32_e32 v2, 20, v4
	v_lshlrev_b64 v[2:3], v2, -1
	v_add_u32_e32 v6, 19, v4
	v_lshlrev_b64 v[6:7], v6, 1
	v_bfi_b32 v3, v3, 0, 0
	v_bfi_b32 v2, v2, 0, v20
	v_cmp_eq_u64_e64 s[28:29], v[2:3], v[6:7]
	v_lshrrev_b64 v[2:3], v4, v[20:21]
	v_mov_b32_e32 v23, v3
	v_mov_b32_e32 v22, v2
	s_and_saveexec_b64 s[38:39], s[28:29]
; %bb.820:                              ;   in Loop: Header=BB6_356 Depth=4
	v_bfe_u32 v3, v2, 20, 1
	v_add_co_u32_e64 v3, s[28:29], v2, v3
	v_add_co_u32_e64 v22, s[28:29], -1, v3
; %bb.821:                              ;   in Loop: Header=BB6_356 Depth=4
	s_or_b64 exec, exec, s[38:39]
	v_add_u32_e32 v1, 0xffffff81, v1
	v_mov_b32_e32 v3, 0xffffff82
	v_cndmask_b32_e32 v1, v1, v3, vcc
	v_lshrrev_b32_e32 v3, 23, v2
	v_add3_u32 v6, v4, v1, v3
	v_add_u32_e32 v4, 6, v6
	v_and_b32_e32 v1, 0xfffff, v22
	v_add_u32_e32 v20, v1, v2
	v_cmp_ne_u32_e32 vcc, 0, v4
                                        ; implicit-def: $vgpr2_vgpr3
                                        ; implicit-def: $vgpr1
	s_and_saveexec_b64 s[28:29], vcc
	s_xor_b64 s[28:29], exec, s[28:29]
; %bb.822:                              ;   in Loop: Header=BB6_356 Depth=4
	v_cmp_lt_u64_e32 vcc, s[88:89], v[20:21]
	v_add_u32_e32 v1, 7, v6
	v_cndmask_b32_e64 v2, 0, 1, vcc
	v_lshrrev_b64 v[2:3], v2, v[20:21]
	v_cndmask_b32_e32 v1, v4, v1, vcc
; %bb.823:                              ;   in Loop: Header=BB6_356 Depth=4
	s_andn2_saveexec_b64 s[28:29], s[28:29]
; %bb.824:                              ;   in Loop: Header=BB6_356 Depth=4
	v_mov_b32_e32 v2, v20
	v_bfe_u32 v1, v20, 23, 1
	v_mov_b32_e32 v3, v21
; %bb.825:                              ;   in Loop: Header=BB6_356 Depth=4
	s_or_b64 exec, exec, s[28:29]
	v_lshrrev_b64 v[2:3], 20, v[2:3]
	v_cmp_gt_i32_e32 vcc, 16, v1
	v_cndmask_b32_e32 v3, 0, v3, vcc
	v_cndmask_b32_e32 v2, 7, v2, vcc
	v_cmp_eq_u32_e32 vcc, 0, v1
	v_min_i32_e32 v1, 15, v1
	v_cmp_eq_u64_e64 s[28:29], 0, v[2:3]
	v_lshlrev_b32_e32 v1, 3, v1
	v_and_b32_e32 v1, 0xf8, v1
	v_and_or_b32 v1, v2, 7, v1
	s_and_b64 s[28:29], vcc, s[28:29]
	v_cndmask_b32_e64 v1, v1, 0, s[28:29]
	v_or_b32_e32 v0, v1, v0
	buffer_store_dword v0, off, s[0:3], s33 offset:160 ; 4-byte Folded Spill
.LBB6_826:                              ;   in Loop: Header=BB6_356 Depth=4
	s_or_b64 exec, exec, s[36:37]
                                        ; implicit-def: $vgpr0
.LBB6_827:                              ;   in Loop: Header=BB6_356 Depth=4
	s_andn2_saveexec_b64 s[28:29], s[34:35]
	s_cbranch_execz .LBB6_829
; %bb.828:                              ;   in Loop: Header=BB6_356 Depth=4
	v_or_b32_e32 v0, 0x7e, v0
	buffer_store_dword v0, off, s[0:3], s33 offset:160 ; 4-byte Folded Spill
.LBB6_829:                              ;   in Loop: Header=BB6_356 Depth=4
	s_or_b64 exec, exec, s[28:29]
                                        ; implicit-def: $vgpr1
.LBB6_830:                              ;   in Loop: Header=BB6_356 Depth=4
	s_andn2_saveexec_b64 s[28:29], s[30:31]
	s_cbranch_execz .LBB6_832
; %bb.831:                              ;   in Loop: Header=BB6_356 Depth=4
	v_or_b32_sdwa v0, v1, s81 dst_sel:DWORD dst_unused:UNUSED_PAD src0_sel:BYTE_3 src1_sel:DWORD
	buffer_store_dword v0, off, s[0:3], s33 offset:160 ; 4-byte Folded Spill
.LBB6_832:                              ;   in Loop: Header=BB6_356 Depth=4
	s_or_b64 exec, exec, s[28:29]
	v_lshrrev_b16_e32 v2, 8, v32
	v_cmp_ne_u16_e32 vcc, 0, v2
	v_mov_b32_e32 v0, 0
	v_mov_b32_e32 v1, 0
	s_and_saveexec_b64 s[28:29], vcc
	s_cbranch_execz .LBB6_838
; %bb.833:                              ;   in Loop: Header=BB6_356 Depth=4
	v_cmp_ne_u16_e32 vcc, s80, v2
	v_bfrev_b32_e32 v1, 1
	s_and_saveexec_b64 s[30:31], vcc
	s_cbranch_execz .LBB6_837
; %bb.834:                              ;   in Loop: Header=BB6_356 Depth=4
	v_and_b32_e32 v3, 0x7f, v2
	v_cmp_ne_u32_e32 vcc, s81, v3
	v_mov_b32_e32 v1, 0x7f800001
	s_and_saveexec_b64 s[34:35], vcc
	s_cbranch_execz .LBB6_836
; %bb.835:                              ;   in Loop: Header=BB6_356 Depth=4
	v_and_b32_e32 v4, 7, v2
	v_ffbh_u32_e32 v1, v4
	v_lshrrev_b32_e32 v6, 3, v3
	v_cmp_gt_u32_e32 vcc, 8, v3
	v_min_u32_e32 v3, 32, v1
	v_subrev_u32_e32 v1, 28, v3
	v_lshlrev_b64 v[1:2], v1, v[2:3]
	v_sub_u32_e32 v2, 29, v3
	v_and_b32_e32 v1, 7, v1
	v_cndmask_b32_e32 v2, v6, v2, vcc
	v_cndmask_b32_e32 v1, v4, v1, vcc
	v_lshlrev_b32_e32 v3, 16, v32
	v_bfrev_b32_e32 v4, 60
	v_lshlrev_b32_e32 v1, 20, v1
	v_and_b32_e32 v3, 0x80000000, v3
	v_lshl_add_u32 v2, v2, 23, v4
	v_or3_b32 v1, v3, v2, v1
.LBB6_836:                              ;   in Loop: Header=BB6_356 Depth=4
	s_or_b64 exec, exec, s[34:35]
.LBB6_837:                              ;   in Loop: Header=BB6_356 Depth=4
	s_or_b64 exec, exec, s[30:31]
.LBB6_838:                              ;   in Loop: Header=BB6_356 Depth=4
	s_or_b64 exec, exec, s[28:29]
	v_lshrrev_b16_e32 v2, 8, v24
	v_cmp_ne_u16_e32 vcc, 0, v2
	s_and_saveexec_b64 s[28:29], vcc
	s_cbranch_execz .LBB6_844
; %bb.839:                              ;   in Loop: Header=BB6_356 Depth=4
	v_cmp_ne_u16_e32 vcc, s80, v2
	v_bfrev_b32_e32 v0, 1
	s_and_saveexec_b64 s[30:31], vcc
	s_cbranch_execz .LBB6_843
; %bb.840:                              ;   in Loop: Header=BB6_356 Depth=4
	v_and_b32_e32 v3, 0x7f, v2
	v_cmp_ne_u32_e32 vcc, s81, v3
	v_mov_b32_e32 v0, 0x7f800001
	s_and_saveexec_b64 s[34:35], vcc
	s_cbranch_execz .LBB6_842
; %bb.841:                              ;   in Loop: Header=BB6_356 Depth=4
	v_and_b32_e32 v0, 7, v2
	v_lshrrev_b32_e32 v4, 3, v3
	v_cmp_gt_u32_e32 vcc, 8, v3
	v_ffbh_u32_e32 v3, v0
	v_min_u32_e32 v6, 32, v3
	v_subrev_u32_e32 v3, 28, v6
	v_lshlrev_b64 v[2:3], v3, v[2:3]
	v_sub_u32_e32 v3, 29, v6
	v_and_b32_e32 v2, 7, v2
	v_cndmask_b32_e32 v3, v4, v3, vcc
	v_cndmask_b32_e32 v0, v0, v2, vcc
	v_lshlrev_b32_e32 v2, 16, v24
	v_bfrev_b32_e32 v4, 60
	v_lshlrev_b32_e32 v0, 20, v0
	v_and_b32_e32 v2, 0x80000000, v2
	v_lshl_add_u32 v3, v3, 23, v4
	v_or3_b32 v0, v2, v3, v0
.LBB6_842:                              ;   in Loop: Header=BB6_356 Depth=4
	s_or_b64 exec, exec, s[34:35]
.LBB6_843:                              ;   in Loop: Header=BB6_356 Depth=4
	s_or_b64 exec, exec, s[30:31]
.LBB6_844:                              ;   in Loop: Header=BB6_356 Depth=4
	s_or_b64 exec, exec, s[28:29]
	v_mul_f32_e32 v1, v1, v0
	v_and_b32_e32 v20, 0x7f800000, v1
	v_cmp_ne_u64_e32 vcc, s[62:63], v[20:21]
                                        ; implicit-def: $vgpr0
                                        ; kill: killed $vgpr0
	s_and_saveexec_b64 s[28:29], vcc
	s_xor_b64 s[30:31], exec, s[28:29]
	s_cbranch_execz .LBB6_858
; %bb.845:                              ;   in Loop: Header=BB6_356 Depth=4
	v_and_b32_e32 v20, 0x7fffffff, v1
	v_cmp_gt_u64_e32 vcc, s[78:79], v[20:21]
	v_and_b32_sdwa v0, v1, s80 dst_sel:DWORD dst_unused:UNUSED_PAD src0_sel:BYTE_3 src1_sel:DWORD
                                        ; implicit-def: $vgpr2
                                        ; kill: killed $vgpr2
	s_and_saveexec_b64 s[28:29], vcc
	s_xor_b64 s[34:35], exec, s[28:29]
	s_cbranch_execz .LBB6_855
; %bb.846:                              ;   in Loop: Header=BB6_356 Depth=4
	v_mov_b32_e32 v2, 0
	v_cmp_ne_u32_e32 vcc, 0, v1
	buffer_store_dword v2, off, s[0:3], s33 offset:164 ; 4-byte Folded Spill
	s_and_saveexec_b64 s[36:37], vcc
	s_cbranch_execz .LBB6_854
; %bb.847:                              ;   in Loop: Header=BB6_356 Depth=4
	v_and_b32_e32 v2, 0x7fffff, v1
	v_bfe_u32 v1, v1, 23, 8
	v_cmp_gt_u32_e64 s[28:29], s47, v1
	v_sub_u32_e32 v3, 0x79, v1
	v_cmp_eq_u32_e32 vcc, 0, v1
	v_cndmask_b32_e64 v3, 0, v3, s[28:29]
	v_mov_b32_e32 v4, 0x78
	v_or_b32_e32 v6, 0x800000, v2
	v_cndmask_b32_e32 v4, v3, v4, vcc
	v_cndmask_b32_e32 v20, v6, v2, vcc
	v_add_u32_e32 v2, 20, v4
	v_lshlrev_b64 v[2:3], v2, -1
	v_add_u32_e32 v6, 19, v4
	v_lshlrev_b64 v[6:7], v6, 1
	v_bfi_b32 v3, v3, 0, 0
	v_bfi_b32 v2, v2, 0, v20
	v_cmp_eq_u64_e64 s[28:29], v[2:3], v[6:7]
	v_lshrrev_b64 v[2:3], v4, v[20:21]
	v_mov_b32_e32 v23, v3
	v_mov_b32_e32 v22, v2
	s_and_saveexec_b64 s[38:39], s[28:29]
; %bb.848:                              ;   in Loop: Header=BB6_356 Depth=4
	v_bfe_u32 v3, v2, 20, 1
	v_add_co_u32_e64 v3, s[28:29], v2, v3
	v_add_co_u32_e64 v22, s[28:29], -1, v3
; %bb.849:                              ;   in Loop: Header=BB6_356 Depth=4
	s_or_b64 exec, exec, s[38:39]
	v_add_u32_e32 v1, 0xffffff81, v1
	v_mov_b32_e32 v3, 0xffffff82
	v_cndmask_b32_e32 v1, v1, v3, vcc
	v_lshrrev_b32_e32 v3, 23, v2
	v_add3_u32 v6, v4, v1, v3
	v_add_u32_e32 v4, 6, v6
	v_and_b32_e32 v1, 0xfffff, v22
	v_add_u32_e32 v20, v1, v2
	v_cmp_ne_u32_e32 vcc, 0, v4
                                        ; implicit-def: $vgpr2_vgpr3
                                        ; implicit-def: $vgpr1
	s_and_saveexec_b64 s[28:29], vcc
	s_xor_b64 s[28:29], exec, s[28:29]
; %bb.850:                              ;   in Loop: Header=BB6_356 Depth=4
	v_cmp_lt_u64_e32 vcc, s[88:89], v[20:21]
	v_add_u32_e32 v1, 7, v6
	v_cndmask_b32_e64 v2, 0, 1, vcc
	v_lshrrev_b64 v[2:3], v2, v[20:21]
	v_cndmask_b32_e32 v1, v4, v1, vcc
; %bb.851:                              ;   in Loop: Header=BB6_356 Depth=4
	s_andn2_saveexec_b64 s[28:29], s[28:29]
; %bb.852:                              ;   in Loop: Header=BB6_356 Depth=4
	v_mov_b32_e32 v2, v20
	v_bfe_u32 v1, v20, 23, 1
	v_mov_b32_e32 v3, v21
; %bb.853:                              ;   in Loop: Header=BB6_356 Depth=4
	s_or_b64 exec, exec, s[28:29]
	v_lshrrev_b64 v[2:3], 20, v[2:3]
	v_cmp_gt_i32_e32 vcc, 16, v1
	v_cndmask_b32_e32 v3, 0, v3, vcc
	v_cndmask_b32_e32 v2, 7, v2, vcc
	v_cmp_eq_u32_e32 vcc, 0, v1
	v_min_i32_e32 v1, 15, v1
	v_cmp_eq_u64_e64 s[28:29], 0, v[2:3]
	v_lshlrev_b32_e32 v1, 3, v1
	v_and_b32_e32 v1, 0xf8, v1
	v_and_or_b32 v1, v2, 7, v1
	s_and_b64 s[28:29], vcc, s[28:29]
	v_cndmask_b32_e64 v1, v1, 0, s[28:29]
	v_or_b32_e32 v0, v1, v0
	buffer_store_dword v0, off, s[0:3], s33 offset:164 ; 4-byte Folded Spill
.LBB6_854:                              ;   in Loop: Header=BB6_356 Depth=4
	s_or_b64 exec, exec, s[36:37]
                                        ; implicit-def: $vgpr0
.LBB6_855:                              ;   in Loop: Header=BB6_356 Depth=4
	s_andn2_saveexec_b64 s[28:29], s[34:35]
	s_cbranch_execz .LBB6_857
; %bb.856:                              ;   in Loop: Header=BB6_356 Depth=4
	v_or_b32_e32 v0, 0x7e, v0
	buffer_store_dword v0, off, s[0:3], s33 offset:164 ; 4-byte Folded Spill
.LBB6_857:                              ;   in Loop: Header=BB6_356 Depth=4
	s_or_b64 exec, exec, s[28:29]
                                        ; implicit-def: $vgpr1
.LBB6_858:                              ;   in Loop: Header=BB6_356 Depth=4
	s_andn2_saveexec_b64 s[28:29], s[30:31]
	s_cbranch_execz .LBB6_860
; %bb.859:                              ;   in Loop: Header=BB6_356 Depth=4
	v_or_b32_sdwa v0, v1, s81 dst_sel:DWORD dst_unused:UNUSED_PAD src0_sel:BYTE_3 src1_sel:DWORD
	buffer_store_dword v0, off, s[0:3], s33 offset:164 ; 4-byte Folded Spill
.LBB6_860:                              ;   in Loop: Header=BB6_356 Depth=4
	s_or_b64 exec, exec, s[28:29]
	v_lshrrev_b32_e32 v2, 16, v32
	v_cmp_ne_u16_sdwa vcc, v2, v21 src0_sel:BYTE_0 src1_sel:DWORD
	v_mov_b32_e32 v0, 0
	v_mov_b32_e32 v1, 0
	s_and_saveexec_b64 s[28:29], vcc
	s_cbranch_execz .LBB6_866
; %bb.861:                              ;   in Loop: Header=BB6_356 Depth=4
	v_cmp_ne_u16_sdwa vcc, v2, s80 src0_sel:BYTE_0 src1_sel:DWORD
	v_bfrev_b32_e32 v1, 1
	s_and_saveexec_b64 s[30:31], vcc
	s_cbranch_execz .LBB6_865
; %bb.862:                              ;   in Loop: Header=BB6_356 Depth=4
	v_bfe_u32 v3, v32, 16, 7
	v_cmp_ne_u32_e32 vcc, s81, v3
	v_mov_b32_e32 v1, 0x7f800001
	s_and_saveexec_b64 s[34:35], vcc
	s_cbranch_execz .LBB6_864
; %bb.863:                              ;   in Loop: Header=BB6_356 Depth=4
	v_and_b32_e32 v1, 7, v2
	v_lshrrev_b32_e32 v6, 3, v3
	v_cmp_gt_u32_e32 vcc, 8, v3
	v_ffbh_u32_e32 v3, v1
	v_min_u32_e32 v7, 32, v3
	v_subrev_u32_e32 v3, 28, v7
	v_lshlrev_b64 v[3:4], v3, v[2:3]
	v_sub_u32_e32 v4, 29, v7
	v_and_b32_e32 v3, 7, v3
	v_cndmask_b32_e32 v4, v6, v4, vcc
	v_cndmask_b32_e32 v1, v1, v3, vcc
	v_lshlrev_b32_e32 v2, 24, v2
	v_bfrev_b32_e32 v3, 60
	v_lshlrev_b32_e32 v1, 20, v1
	v_and_b32_e32 v2, 0x80000000, v2
	v_lshl_add_u32 v3, v4, 23, v3
	v_or3_b32 v1, v2, v3, v1
.LBB6_864:                              ;   in Loop: Header=BB6_356 Depth=4
	s_or_b64 exec, exec, s[34:35]
.LBB6_865:                              ;   in Loop: Header=BB6_356 Depth=4
	s_or_b64 exec, exec, s[30:31]
.LBB6_866:                              ;   in Loop: Header=BB6_356 Depth=4
	s_or_b64 exec, exec, s[28:29]
	v_lshrrev_b32_e32 v2, 16, v24
	v_cmp_ne_u16_sdwa vcc, v2, v21 src0_sel:BYTE_0 src1_sel:DWORD
	s_and_saveexec_b64 s[28:29], vcc
	s_cbranch_execz .LBB6_872
; %bb.867:                              ;   in Loop: Header=BB6_356 Depth=4
	v_cmp_ne_u16_sdwa vcc, v2, s80 src0_sel:BYTE_0 src1_sel:DWORD
	v_bfrev_b32_e32 v0, 1
	s_and_saveexec_b64 s[30:31], vcc
	s_cbranch_execz .LBB6_871
; %bb.868:                              ;   in Loop: Header=BB6_356 Depth=4
	v_bfe_u32 v3, v24, 16, 7
	v_cmp_ne_u32_e32 vcc, s81, v3
	v_mov_b32_e32 v0, 0x7f800001
	s_and_saveexec_b64 s[34:35], vcc
	s_cbranch_execz .LBB6_870
; %bb.869:                              ;   in Loop: Header=BB6_356 Depth=4
	v_and_b32_e32 v0, 7, v2
	v_lshrrev_b32_e32 v4, 3, v3
	v_cmp_gt_u32_e32 vcc, 8, v3
	v_ffbh_u32_e32 v3, v0
	v_min_u32_e32 v6, 32, v3
	v_subrev_u32_e32 v3, 28, v6
	v_lshlrev_b64 v[2:3], v3, v[2:3]
	v_sub_u32_e32 v3, 29, v6
	v_and_b32_e32 v2, 7, v2
	v_cndmask_b32_e32 v3, v4, v3, vcc
	v_cndmask_b32_e32 v0, v0, v2, vcc
	v_lshlrev_b32_e32 v2, 8, v24
	v_bfrev_b32_e32 v4, 60
	v_lshlrev_b32_e32 v0, 20, v0
	v_and_b32_e32 v2, 0x80000000, v2
	v_lshl_add_u32 v3, v3, 23, v4
	v_or3_b32 v0, v2, v3, v0
.LBB6_870:                              ;   in Loop: Header=BB6_356 Depth=4
	s_or_b64 exec, exec, s[34:35]
.LBB6_871:                              ;   in Loop: Header=BB6_356 Depth=4
	s_or_b64 exec, exec, s[30:31]
.LBB6_872:                              ;   in Loop: Header=BB6_356 Depth=4
	s_or_b64 exec, exec, s[28:29]
	v_mul_f32_e32 v1, v1, v0
	v_and_b32_e32 v20, 0x7f800000, v1
	v_cmp_ne_u64_e32 vcc, s[62:63], v[20:21]
                                        ; implicit-def: $vgpr0
                                        ; kill: killed $vgpr0
	s_and_saveexec_b64 s[28:29], vcc
	s_xor_b64 s[30:31], exec, s[28:29]
	s_cbranch_execz .LBB6_886
; %bb.873:                              ;   in Loop: Header=BB6_356 Depth=4
	v_and_b32_e32 v20, 0x7fffffff, v1
	v_cmp_gt_u64_e32 vcc, s[78:79], v[20:21]
	v_and_b32_sdwa v0, v1, s80 dst_sel:DWORD dst_unused:UNUSED_PAD src0_sel:BYTE_3 src1_sel:DWORD
                                        ; implicit-def: $vgpr2
                                        ; kill: killed $vgpr2
	s_and_saveexec_b64 s[28:29], vcc
	s_xor_b64 s[34:35], exec, s[28:29]
	s_cbranch_execz .LBB6_883
; %bb.874:                              ;   in Loop: Header=BB6_356 Depth=4
	v_mov_b32_e32 v2, 0
	v_cmp_ne_u32_e32 vcc, 0, v1
	buffer_store_dword v2, off, s[0:3], s33 offset:168 ; 4-byte Folded Spill
	s_and_saveexec_b64 s[36:37], vcc
	s_cbranch_execz .LBB6_882
; %bb.875:                              ;   in Loop: Header=BB6_356 Depth=4
	v_and_b32_e32 v2, 0x7fffff, v1
	v_bfe_u32 v1, v1, 23, 8
	v_cmp_gt_u32_e64 s[28:29], s47, v1
	v_sub_u32_e32 v3, 0x79, v1
	v_cmp_eq_u32_e32 vcc, 0, v1
	v_cndmask_b32_e64 v3, 0, v3, s[28:29]
	v_mov_b32_e32 v4, 0x78
	v_or_b32_e32 v6, 0x800000, v2
	v_cndmask_b32_e32 v4, v3, v4, vcc
	v_cndmask_b32_e32 v20, v6, v2, vcc
	v_add_u32_e32 v2, 20, v4
	v_lshlrev_b64 v[2:3], v2, -1
	v_add_u32_e32 v6, 19, v4
	v_lshlrev_b64 v[6:7], v6, 1
	v_bfi_b32 v3, v3, 0, 0
	v_bfi_b32 v2, v2, 0, v20
	v_cmp_eq_u64_e64 s[28:29], v[2:3], v[6:7]
	v_lshrrev_b64 v[2:3], v4, v[20:21]
	v_mov_b32_e32 v23, v3
	v_mov_b32_e32 v22, v2
	s_and_saveexec_b64 s[38:39], s[28:29]
; %bb.876:                              ;   in Loop: Header=BB6_356 Depth=4
	v_bfe_u32 v3, v2, 20, 1
	v_add_co_u32_e64 v3, s[28:29], v2, v3
	v_add_co_u32_e64 v22, s[28:29], -1, v3
; %bb.877:                              ;   in Loop: Header=BB6_356 Depth=4
	s_or_b64 exec, exec, s[38:39]
	v_add_u32_e32 v1, 0xffffff81, v1
	v_mov_b32_e32 v3, 0xffffff82
	v_cndmask_b32_e32 v1, v1, v3, vcc
	v_lshrrev_b32_e32 v3, 23, v2
	v_add3_u32 v6, v4, v1, v3
	v_add_u32_e32 v4, 6, v6
	v_and_b32_e32 v1, 0xfffff, v22
	v_add_u32_e32 v20, v1, v2
	v_cmp_ne_u32_e32 vcc, 0, v4
                                        ; implicit-def: $vgpr2_vgpr3
                                        ; implicit-def: $vgpr1
	s_and_saveexec_b64 s[28:29], vcc
	s_xor_b64 s[28:29], exec, s[28:29]
; %bb.878:                              ;   in Loop: Header=BB6_356 Depth=4
	v_cmp_lt_u64_e32 vcc, s[88:89], v[20:21]
	v_add_u32_e32 v1, 7, v6
	v_cndmask_b32_e64 v2, 0, 1, vcc
	v_lshrrev_b64 v[2:3], v2, v[20:21]
	v_cndmask_b32_e32 v1, v4, v1, vcc
; %bb.879:                              ;   in Loop: Header=BB6_356 Depth=4
	s_andn2_saveexec_b64 s[28:29], s[28:29]
; %bb.880:                              ;   in Loop: Header=BB6_356 Depth=4
	v_mov_b32_e32 v2, v20
	v_bfe_u32 v1, v20, 23, 1
	v_mov_b32_e32 v3, v21
; %bb.881:                              ;   in Loop: Header=BB6_356 Depth=4
	s_or_b64 exec, exec, s[28:29]
	v_lshrrev_b64 v[2:3], 20, v[2:3]
	v_cmp_gt_i32_e32 vcc, 16, v1
	v_cndmask_b32_e32 v3, 0, v3, vcc
	v_cndmask_b32_e32 v2, 7, v2, vcc
	v_cmp_eq_u32_e32 vcc, 0, v1
	v_min_i32_e32 v1, 15, v1
	v_cmp_eq_u64_e64 s[28:29], 0, v[2:3]
	v_lshlrev_b32_e32 v1, 3, v1
	v_and_b32_e32 v1, 0xf8, v1
	v_and_or_b32 v1, v2, 7, v1
	s_and_b64 s[28:29], vcc, s[28:29]
	v_cndmask_b32_e64 v1, v1, 0, s[28:29]
	v_or_b32_e32 v0, v1, v0
	buffer_store_dword v0, off, s[0:3], s33 offset:168 ; 4-byte Folded Spill
.LBB6_882:                              ;   in Loop: Header=BB6_356 Depth=4
	s_or_b64 exec, exec, s[36:37]
                                        ; implicit-def: $vgpr0
.LBB6_883:                              ;   in Loop: Header=BB6_356 Depth=4
	s_andn2_saveexec_b64 s[28:29], s[34:35]
	s_cbranch_execz .LBB6_885
; %bb.884:                              ;   in Loop: Header=BB6_356 Depth=4
	v_or_b32_e32 v0, 0x7e, v0
	buffer_store_dword v0, off, s[0:3], s33 offset:168 ; 4-byte Folded Spill
.LBB6_885:                              ;   in Loop: Header=BB6_356 Depth=4
	s_or_b64 exec, exec, s[28:29]
                                        ; implicit-def: $vgpr1
.LBB6_886:                              ;   in Loop: Header=BB6_356 Depth=4
	s_andn2_saveexec_b64 s[28:29], s[30:31]
	s_cbranch_execz .LBB6_888
; %bb.887:                              ;   in Loop: Header=BB6_356 Depth=4
	v_or_b32_sdwa v0, v1, s81 dst_sel:DWORD dst_unused:UNUSED_PAD src0_sel:BYTE_3 src1_sel:DWORD
	buffer_store_dword v0, off, s[0:3], s33 offset:168 ; 4-byte Folded Spill
.LBB6_888:                              ;   in Loop: Header=BB6_356 Depth=4
	s_or_b64 exec, exec, s[28:29]
	v_cmp_lt_u32_e32 vcc, s57, v32
	v_mov_b32_e32 v0, 0
	v_mov_b32_e32 v1, 0
	s_and_saveexec_b64 s[28:29], vcc
	s_cbranch_execz .LBB6_894
; %bb.889:                              ;   in Loop: Header=BB6_356 Depth=4
	v_lshrrev_b32_e32 v2, 24, v32
	v_cmp_ne_u32_e32 vcc, s80, v2
	v_bfrev_b32_e32 v1, 1
	s_and_saveexec_b64 s[30:31], vcc
	s_cbranch_execz .LBB6_893
; %bb.890:                              ;   in Loop: Header=BB6_356 Depth=4
	v_bfe_u32 v3, v32, 24, 7
	v_cmp_ne_u32_e32 vcc, s81, v3
	v_mov_b32_e32 v1, 0x7f800001
	s_and_saveexec_b64 s[34:35], vcc
	s_cbranch_execz .LBB6_892
; %bb.891:                              ;   in Loop: Header=BB6_356 Depth=4
	v_and_b32_e32 v1, 7, v2
	v_lshrrev_b32_e32 v6, 3, v3
	v_cmp_gt_u32_e32 vcc, 8, v3
	v_ffbh_u32_e32 v3, v1
	v_min_u32_e32 v7, 32, v3
	v_subrev_u32_e32 v3, 28, v7
	v_lshlrev_b64 v[3:4], v3, v[2:3]
	v_sub_u32_e32 v4, 29, v7
	v_and_b32_e32 v3, 7, v3
	v_cndmask_b32_e32 v4, v6, v4, vcc
	v_cndmask_b32_e32 v1, v1, v3, vcc
	v_lshlrev_b32_e32 v2, 24, v2
	v_bfrev_b32_e32 v3, 60
	v_lshlrev_b32_e32 v1, 20, v1
	v_and_b32_e32 v2, 0x80000000, v2
	v_lshl_add_u32 v3, v4, 23, v3
	v_or3_b32 v1, v2, v3, v1
.LBB6_892:                              ;   in Loop: Header=BB6_356 Depth=4
	s_or_b64 exec, exec, s[34:35]
.LBB6_893:                              ;   in Loop: Header=BB6_356 Depth=4
	s_or_b64 exec, exec, s[30:31]
.LBB6_894:                              ;   in Loop: Header=BB6_356 Depth=4
	s_or_b64 exec, exec, s[28:29]
	v_cmp_lt_u32_e32 vcc, s57, v24
	s_and_saveexec_b64 s[28:29], vcc
	s_cbranch_execz .LBB6_900
; %bb.895:                              ;   in Loop: Header=BB6_356 Depth=4
	v_lshrrev_b32_e32 v2, 24, v24
	v_cmp_ne_u32_e32 vcc, s80, v2
	v_bfrev_b32_e32 v0, 1
	s_and_saveexec_b64 s[30:31], vcc
	s_cbranch_execz .LBB6_899
; %bb.896:                              ;   in Loop: Header=BB6_356 Depth=4
	v_bfe_u32 v3, v24, 24, 7
	v_cmp_ne_u32_e32 vcc, s81, v3
	v_mov_b32_e32 v0, 0x7f800001
	s_and_saveexec_b64 s[34:35], vcc
	s_cbranch_execz .LBB6_898
; %bb.897:                              ;   in Loop: Header=BB6_356 Depth=4
	v_and_b32_e32 v0, 7, v2
	v_lshrrev_b32_e32 v6, 3, v3
	v_cmp_gt_u32_e32 vcc, 8, v3
	v_ffbh_u32_e32 v3, v0
	v_min_u32_e32 v7, 32, v3
	v_subrev_u32_e32 v3, 28, v7
	v_lshlrev_b64 v[3:4], v3, v[2:3]
	v_sub_u32_e32 v4, 29, v7
	v_and_b32_e32 v3, 7, v3
	v_cndmask_b32_e32 v4, v6, v4, vcc
	v_cndmask_b32_e32 v0, v0, v3, vcc
	v_lshlrev_b32_e32 v2, 24, v2
	v_bfrev_b32_e32 v3, 60
	v_lshlrev_b32_e32 v0, 20, v0
	v_and_b32_e32 v2, 0x80000000, v2
	v_lshl_add_u32 v3, v4, 23, v3
	v_or3_b32 v0, v2, v3, v0
.LBB6_898:                              ;   in Loop: Header=BB6_356 Depth=4
	s_or_b64 exec, exec, s[34:35]
.LBB6_899:                              ;   in Loop: Header=BB6_356 Depth=4
	s_or_b64 exec, exec, s[30:31]
.LBB6_900:                              ;   in Loop: Header=BB6_356 Depth=4
	s_or_b64 exec, exec, s[28:29]
	v_mul_f32_e32 v2, v1, v0
	v_and_b32_e32 v20, 0x7f800000, v2
	v_cmp_ne_u64_e32 vcc, s[62:63], v[20:21]
                                        ; implicit-def: $vgpr0
                                        ; kill: killed $vgpr0
	s_and_saveexec_b64 s[28:29], vcc
	s_xor_b64 s[30:31], exec, s[28:29]
	s_cbranch_execz .LBB6_914
; %bb.901:                              ;   in Loop: Header=BB6_356 Depth=4
	v_and_b32_e32 v20, 0x7fffffff, v2
	v_cmp_gt_u64_e32 vcc, s[78:79], v[20:21]
	v_and_b32_sdwa v0, v2, s80 dst_sel:DWORD dst_unused:UNUSED_PAD src0_sel:BYTE_3 src1_sel:DWORD
                                        ; implicit-def: $vgpr1
                                        ; kill: killed $vgpr1
	s_and_saveexec_b64 s[28:29], vcc
	s_xor_b64 s[34:35], exec, s[28:29]
	s_cbranch_execz .LBB6_911
; %bb.902:                              ;   in Loop: Header=BB6_356 Depth=4
	v_mov_b32_e32 v1, 0
	v_cmp_ne_u32_e32 vcc, 0, v2
	buffer_store_dword v1, off, s[0:3], s33 offset:172 ; 4-byte Folded Spill
	s_and_saveexec_b64 s[36:37], vcc
	s_cbranch_execz .LBB6_910
; %bb.903:                              ;   in Loop: Header=BB6_356 Depth=4
	v_bfe_u32 v1, v2, 23, 8
	v_and_b32_e32 v3, 0x7fffff, v2
	v_cmp_gt_u32_e64 s[28:29], s47, v1
	v_sub_u32_e32 v2, 0x79, v1
	v_cmp_eq_u32_e32 vcc, 0, v1
	v_cndmask_b32_e64 v2, 0, v2, s[28:29]
	v_mov_b32_e32 v4, 0x78
	v_cndmask_b32_e32 v4, v2, v4, vcc
	v_or_b32_e32 v6, 0x800000, v3
	v_add_u32_e32 v2, 20, v4
	v_cndmask_b32_e32 v20, v6, v3, vcc
	v_lshlrev_b64 v[2:3], v2, -1
	v_add_u32_e32 v6, 19, v4
	v_lshlrev_b64 v[6:7], v6, 1
	v_bfi_b32 v3, v3, 0, 0
	v_bfi_b32 v2, v2, 0, v20
	v_cmp_eq_u64_e64 s[28:29], v[2:3], v[6:7]
	v_lshrrev_b64 v[2:3], v4, v[20:21]
	v_mov_b32_e32 v23, v3
	v_mov_b32_e32 v22, v2
	s_and_saveexec_b64 s[38:39], s[28:29]
; %bb.904:                              ;   in Loop: Header=BB6_356 Depth=4
	v_bfe_u32 v3, v2, 20, 1
	v_add_co_u32_e64 v3, s[28:29], v2, v3
	v_add_co_u32_e64 v22, s[28:29], -1, v3
; %bb.905:                              ;   in Loop: Header=BB6_356 Depth=4
	s_or_b64 exec, exec, s[38:39]
	v_add_u32_e32 v1, 0xffffff81, v1
	v_mov_b32_e32 v3, 0xffffff82
	v_cndmask_b32_e32 v1, v1, v3, vcc
	v_lshrrev_b32_e32 v3, 23, v2
	v_add3_u32 v6, v4, v1, v3
	v_add_u32_e32 v4, 6, v6
	v_and_b32_e32 v1, 0xfffff, v22
	v_add_u32_e32 v20, v1, v2
	v_cmp_ne_u32_e32 vcc, 0, v4
                                        ; implicit-def: $vgpr2_vgpr3
                                        ; implicit-def: $vgpr1
	s_and_saveexec_b64 s[28:29], vcc
	s_xor_b64 s[28:29], exec, s[28:29]
; %bb.906:                              ;   in Loop: Header=BB6_356 Depth=4
	v_cmp_lt_u64_e32 vcc, s[88:89], v[20:21]
	v_add_u32_e32 v1, 7, v6
	v_cndmask_b32_e64 v2, 0, 1, vcc
	v_lshrrev_b64 v[2:3], v2, v[20:21]
	v_cndmask_b32_e32 v1, v4, v1, vcc
; %bb.907:                              ;   in Loop: Header=BB6_356 Depth=4
	s_andn2_saveexec_b64 s[28:29], s[28:29]
; %bb.908:                              ;   in Loop: Header=BB6_356 Depth=4
	v_mov_b32_e32 v2, v20
	v_bfe_u32 v1, v20, 23, 1
	v_mov_b32_e32 v3, v21
; %bb.909:                              ;   in Loop: Header=BB6_356 Depth=4
	s_or_b64 exec, exec, s[28:29]
	v_lshrrev_b64 v[2:3], 20, v[2:3]
	v_cmp_gt_i32_e32 vcc, 16, v1
	v_cndmask_b32_e32 v3, 0, v3, vcc
	v_cndmask_b32_e32 v2, 7, v2, vcc
	v_cmp_eq_u32_e32 vcc, 0, v1
	v_min_i32_e32 v1, 15, v1
	v_cmp_eq_u64_e64 s[28:29], 0, v[2:3]
	v_lshlrev_b32_e32 v1, 3, v1
	v_and_b32_e32 v1, 0xf8, v1
	v_and_or_b32 v1, v2, 7, v1
	s_and_b64 s[28:29], vcc, s[28:29]
	v_cndmask_b32_e64 v1, v1, 0, s[28:29]
	v_or_b32_e32 v0, v1, v0
	buffer_store_dword v0, off, s[0:3], s33 offset:172 ; 4-byte Folded Spill
.LBB6_910:                              ;   in Loop: Header=BB6_356 Depth=4
	s_or_b64 exec, exec, s[36:37]
                                        ; implicit-def: $vgpr0
.LBB6_911:                              ;   in Loop: Header=BB6_356 Depth=4
	s_andn2_saveexec_b64 s[28:29], s[34:35]
	s_cbranch_execz .LBB6_913
; %bb.912:                              ;   in Loop: Header=BB6_356 Depth=4
	v_or_b32_e32 v0, 0x7e, v0
	buffer_store_dword v0, off, s[0:3], s33 offset:172 ; 4-byte Folded Spill
.LBB6_913:                              ;   in Loop: Header=BB6_356 Depth=4
	s_or_b64 exec, exec, s[28:29]
                                        ; implicit-def: $vgpr2
.LBB6_914:                              ;   in Loop: Header=BB6_356 Depth=4
	s_andn2_saveexec_b64 s[28:29], s[30:31]
	s_cbranch_execz .LBB6_916
; %bb.915:                              ;   in Loop: Header=BB6_356 Depth=4
	v_or_b32_sdwa v0, v2, s81 dst_sel:DWORD dst_unused:UNUSED_PAD src0_sel:BYTE_3 src1_sel:DWORD
	buffer_store_dword v0, off, s[0:3], s33 offset:172 ; 4-byte Folded Spill
.LBB6_916:                              ;   in Loop: Header=BB6_356 Depth=4
	s_or_b64 exec, exec, s[28:29]
	v_mov_b32_e32 v20, v33
	v_cmp_ne_u16_sdwa vcc, v33, v21 src0_sel:BYTE_0 src1_sel:DWORD
	v_mov_b32_e32 v2, 0
	v_mov_b32_e32 v0, 0
	s_and_saveexec_b64 s[28:29], vcc
	s_cbranch_execz .LBB6_922
; %bb.917:                              ;   in Loop: Header=BB6_356 Depth=4
	v_cmp_ne_u16_sdwa vcc, v33, s80 src0_sel:BYTE_0 src1_sel:DWORD
	v_bfrev_b32_e32 v0, 1
	s_and_saveexec_b64 s[30:31], vcc
	s_cbranch_execz .LBB6_921
; %bb.918:                              ;   in Loop: Header=BB6_356 Depth=4
	v_and_b32_e32 v1, 0x7f, v33
	v_cmp_ne_u32_e32 vcc, s81, v1
	v_mov_b32_e32 v0, 0x7f800001
	s_and_saveexec_b64 s[34:35], vcc
	s_cbranch_execz .LBB6_920
; %bb.919:                              ;   in Loop: Header=BB6_356 Depth=4
	v_and_b32_e32 v0, 7, v33
	v_ffbh_u32_e32 v0, v0
	v_min_u32_e32 v0, 32, v0
	v_lshrrev_b32_e32 v3, 3, v1
	v_cmp_gt_u32_e32 vcc, 8, v1
	v_subrev_u32_e32 v1, 28, v0
	v_sub_u32_e32 v0, 29, v0
	v_cndmask_b32_e32 v3, v3, v0, vcc
	v_cndmask_b32_e32 v0, 0, v1, vcc
	v_lshlrev_b64 v[0:1], v0, v[20:21]
	v_lshlrev_b32_e32 v1, 24, v20
	v_lshlrev_b32_e32 v0, 20, v0
	v_bfrev_b32_e32 v4, 60
	v_and_b32_e32 v0, 0x700000, v0
	v_and_b32_e32 v1, 0x80000000, v1
	v_lshl_add_u32 v3, v3, 23, v4
	v_or3_b32 v0, v1, v3, v0
.LBB6_920:                              ;   in Loop: Header=BB6_356 Depth=4
	s_or_b64 exec, exec, s[34:35]
.LBB6_921:                              ;   in Loop: Header=BB6_356 Depth=4
	s_or_b64 exec, exec, s[30:31]
.LBB6_922:                              ;   in Loop: Header=BB6_356 Depth=4
	s_or_b64 exec, exec, s[28:29]
	v_cmp_ne_u16_sdwa vcc, v25, v21 src0_sel:BYTE_0 src1_sel:DWORD
	s_and_saveexec_b64 s[28:29], vcc
	s_cbranch_execz .LBB6_928
; %bb.923:                              ;   in Loop: Header=BB6_356 Depth=4
	v_cmp_ne_u16_sdwa vcc, v25, s80 src0_sel:BYTE_0 src1_sel:DWORD
	v_bfrev_b32_e32 v2, 1
	s_and_saveexec_b64 s[30:31], vcc
	s_cbranch_execz .LBB6_927
; %bb.924:                              ;   in Loop: Header=BB6_356 Depth=4
	v_and_b32_e32 v1, 0x7f, v25
	v_cmp_ne_u32_e32 vcc, s81, v1
	v_mov_b32_e32 v2, 0x7f800001
	s_and_saveexec_b64 s[34:35], vcc
	s_cbranch_execz .LBB6_926
; %bb.925:                              ;   in Loop: Header=BB6_356 Depth=4
	v_and_b32_e32 v4, 7, v25
	v_lshrrev_b32_e32 v6, 3, v1
	v_cmp_gt_u32_e32 vcc, 8, v1
	v_ffbh_u32_e32 v1, v4
	v_min_u32_e32 v1, 32, v1
	v_subrev_u32_e32 v4, 28, v1
	v_mov_b32_e32 v2, v25
	v_mov_b32_e32 v3, v21
	v_cndmask_b32_e32 v4, 0, v4, vcc
	v_lshlrev_b64 v[3:4], v4, v[2:3]
	v_sub_u32_e32 v1, 29, v1
	v_cndmask_b32_e32 v1, v6, v1, vcc
	v_lshlrev_b32_e32 v3, 20, v3
	v_lshlrev_b32_e32 v2, 24, v2
	v_bfrev_b32_e32 v4, 60
	v_and_b32_e32 v3, 0x700000, v3
	v_and_b32_e32 v2, 0x80000000, v2
	v_lshl_add_u32 v1, v1, 23, v4
	v_or3_b32 v2, v2, v1, v3
.LBB6_926:                              ;   in Loop: Header=BB6_356 Depth=4
	s_or_b64 exec, exec, s[34:35]
.LBB6_927:                              ;   in Loop: Header=BB6_356 Depth=4
	s_or_b64 exec, exec, s[30:31]
.LBB6_928:                              ;   in Loop: Header=BB6_356 Depth=4
	s_or_b64 exec, exec, s[28:29]
	v_mul_f32_e32 v2, v0, v2
	v_and_b32_e32 v0, 0x7f800000, v2
	v_mov_b32_e32 v1, v21
	v_cmp_ne_u64_e32 vcc, s[62:63], v[0:1]
                                        ; implicit-def: $vgpr0
                                        ; kill: killed $vgpr0
	s_and_saveexec_b64 s[28:29], vcc
	s_xor_b64 s[30:31], exec, s[28:29]
	s_cbranch_execz .LBB6_942
; %bb.929:                              ;   in Loop: Header=BB6_356 Depth=4
	v_and_b32_e32 v0, 0x7fffffff, v2
	v_mov_b32_e32 v1, v21
	v_cmp_gt_u64_e32 vcc, s[78:79], v[0:1]
	v_and_b32_sdwa v0, v2, s80 dst_sel:DWORD dst_unused:UNUSED_PAD src0_sel:BYTE_3 src1_sel:DWORD
                                        ; implicit-def: $vgpr1
                                        ; kill: killed $vgpr1
	s_and_saveexec_b64 s[28:29], vcc
	s_xor_b64 s[34:35], exec, s[28:29]
	s_cbranch_execz .LBB6_939
; %bb.930:                              ;   in Loop: Header=BB6_356 Depth=4
	v_mov_b32_e32 v1, 0
	v_cmp_ne_u32_e32 vcc, 0, v2
	buffer_store_dword v1, off, s[0:3], s33 offset:180 ; 4-byte Folded Spill
	s_and_saveexec_b64 s[36:37], vcc
	s_cbranch_execz .LBB6_938
; %bb.931:                              ;   in Loop: Header=BB6_356 Depth=4
	v_bfe_u32 v4, v2, 23, 8
	v_and_b32_e32 v1, 0x7fffff, v2
	v_cmp_gt_u32_e64 s[28:29], s47, v4
	v_sub_u32_e32 v2, 0x79, v4
	v_cmp_eq_u32_e32 vcc, 0, v4
	v_cndmask_b32_e64 v2, 0, v2, s[28:29]
	v_mov_b32_e32 v6, 0x78
	v_or_b32_e32 v3, 0x800000, v1
	v_cndmask_b32_e32 v6, v2, v6, vcc
	v_cndmask_b32_e32 v1, v3, v1, vcc
	v_add_u32_e32 v3, 20, v6
	v_mov_b32_e32 v2, v21
	v_lshlrev_b64 v[22:23], v3, -1
	v_add_u32_e32 v3, 19, v6
	v_lshlrev_b64 v[28:29], v3, 1
	v_lshrrev_b64 v[2:3], v6, v[1:2]
	v_bfi_b32 v23, v23, 0, 0
	v_bfi_b32 v22, v22, 0, v1
	v_cmp_eq_u64_e64 s[28:29], v[22:23], v[28:29]
	v_mov_b32_e32 v23, v3
	v_mov_b32_e32 v22, v2
	s_and_saveexec_b64 s[38:39], s[28:29]
; %bb.932:                              ;   in Loop: Header=BB6_356 Depth=4
	v_bfe_u32 v1, v2, 20, 1
	v_add_co_u32_e64 v1, s[28:29], v2, v1
	v_add_co_u32_e64 v22, s[28:29], -1, v1
; %bb.933:                              ;   in Loop: Header=BB6_356 Depth=4
	s_or_b64 exec, exec, s[38:39]
	v_add_u32_e32 v1, 0xffffff81, v4
	v_mov_b32_e32 v3, 0xffffff82
	v_cndmask_b32_e32 v1, v1, v3, vcc
	v_lshrrev_b32_e32 v3, 23, v2
	v_add3_u32 v6, v6, v1, v3
	v_add_u32_e32 v4, 6, v6
	v_and_b32_e32 v1, 0xfffff, v22
	v_add_u32_e32 v2, v1, v2
	v_mov_b32_e32 v3, v21
	v_cmp_ne_u32_e32 vcc, 0, v4
                                        ; implicit-def: $vgpr1
	s_and_saveexec_b64 s[28:29], vcc
	s_xor_b64 s[28:29], exec, s[28:29]
; %bb.934:                              ;   in Loop: Header=BB6_356 Depth=4
	v_cmp_lt_u64_e32 vcc, s[88:89], v[2:3]
	v_add_u32_e32 v1, 7, v6
	v_cndmask_b32_e32 v1, v4, v1, vcc
	v_cndmask_b32_e64 v4, 0, 1, vcc
	v_lshrrev_b64 v[2:3], v4, v[2:3]
; %bb.935:                              ;   in Loop: Header=BB6_356 Depth=4
	s_andn2_saveexec_b64 s[28:29], s[28:29]
; %bb.936:                              ;   in Loop: Header=BB6_356 Depth=4
	v_bfe_u32 v1, v2, 23, 1
; %bb.937:                              ;   in Loop: Header=BB6_356 Depth=4
	s_or_b64 exec, exec, s[28:29]
	v_lshrrev_b64 v[2:3], 20, v[2:3]
	v_cmp_gt_i32_e32 vcc, 16, v1
	v_cndmask_b32_e32 v3, 0, v3, vcc
	v_cndmask_b32_e32 v2, 7, v2, vcc
	v_cmp_eq_u32_e32 vcc, 0, v1
	v_min_i32_e32 v1, 15, v1
	v_cmp_eq_u64_e64 s[28:29], 0, v[2:3]
	v_lshlrev_b32_e32 v1, 3, v1
	v_and_b32_e32 v1, 0xf8, v1
	v_and_or_b32 v1, v2, 7, v1
	s_and_b64 s[28:29], vcc, s[28:29]
	v_cndmask_b32_e64 v1, v1, 0, s[28:29]
	v_or_b32_e32 v0, v1, v0
	buffer_store_dword v0, off, s[0:3], s33 offset:180 ; 4-byte Folded Spill
.LBB6_938:                              ;   in Loop: Header=BB6_356 Depth=4
	s_or_b64 exec, exec, s[36:37]
                                        ; implicit-def: $vgpr0
.LBB6_939:                              ;   in Loop: Header=BB6_356 Depth=4
	s_andn2_saveexec_b64 s[28:29], s[34:35]
	s_cbranch_execz .LBB6_941
; %bb.940:                              ;   in Loop: Header=BB6_356 Depth=4
	v_or_b32_e32 v0, 0x7e, v0
	buffer_store_dword v0, off, s[0:3], s33 offset:180 ; 4-byte Folded Spill
.LBB6_941:                              ;   in Loop: Header=BB6_356 Depth=4
	s_or_b64 exec, exec, s[28:29]
                                        ; implicit-def: $vgpr2
.LBB6_942:                              ;   in Loop: Header=BB6_356 Depth=4
	s_andn2_saveexec_b64 s[28:29], s[30:31]
	s_cbranch_execz .LBB6_944
; %bb.943:                              ;   in Loop: Header=BB6_356 Depth=4
	v_or_b32_sdwa v0, v2, s81 dst_sel:DWORD dst_unused:UNUSED_PAD src0_sel:BYTE_3 src1_sel:DWORD
	buffer_store_dword v0, off, s[0:3], s33 offset:180 ; 4-byte Folded Spill
.LBB6_944:                              ;   in Loop: Header=BB6_356 Depth=4
	s_or_b64 exec, exec, s[28:29]
	v_lshrrev_b16_e32 v2, 8, v20
	v_cmp_ne_u16_e32 vcc, 0, v2
	v_mov_b32_e32 v0, 0
	v_mov_b32_e32 v3, 0
	s_and_saveexec_b64 s[28:29], vcc
	s_cbranch_execz .LBB6_950
; %bb.945:                              ;   in Loop: Header=BB6_356 Depth=4
	v_cmp_ne_u16_e32 vcc, s80, v2
	v_bfrev_b32_e32 v3, 1
	s_and_saveexec_b64 s[30:31], vcc
	s_cbranch_execz .LBB6_949
; %bb.946:                              ;   in Loop: Header=BB6_356 Depth=4
	v_and_b32_e32 v1, 0x7f, v2
	v_cmp_ne_u32_e32 vcc, s81, v1
	v_mov_b32_e32 v3, 0x7f800001
	s_and_saveexec_b64 s[34:35], vcc
	s_cbranch_execz .LBB6_948
; %bb.947:                              ;   in Loop: Header=BB6_356 Depth=4
	v_and_b32_e32 v3, 7, v2
	v_lshrrev_b32_e32 v4, 3, v1
	v_cmp_gt_u32_e32 vcc, 8, v1
	v_ffbh_u32_e32 v1, v3
	v_min_u32_e32 v6, 32, v1
	v_subrev_u32_e32 v1, 28, v6
	v_lshlrev_b64 v[1:2], v1, v[2:3]
	v_sub_u32_e32 v2, 29, v6
	v_and_b32_e32 v1, 7, v1
	v_cndmask_b32_e32 v2, v4, v2, vcc
	v_cndmask_b32_e32 v1, v3, v1, vcc
	v_lshlrev_b32_e32 v3, 16, v20
	v_bfrev_b32_e32 v4, 60
	v_lshlrev_b32_e32 v1, 20, v1
	v_and_b32_e32 v3, 0x80000000, v3
	v_lshl_add_u32 v2, v2, 23, v4
	v_or3_b32 v3, v3, v2, v1
.LBB6_948:                              ;   in Loop: Header=BB6_356 Depth=4
	s_or_b64 exec, exec, s[34:35]
.LBB6_949:                              ;   in Loop: Header=BB6_356 Depth=4
	s_or_b64 exec, exec, s[30:31]
.LBB6_950:                              ;   in Loop: Header=BB6_356 Depth=4
	s_or_b64 exec, exec, s[28:29]
	v_lshrrev_b16_e32 v2, 8, v25
	v_cmp_ne_u16_e32 vcc, 0, v2
	s_and_saveexec_b64 s[28:29], vcc
	s_cbranch_execz .LBB6_956
; %bb.951:                              ;   in Loop: Header=BB6_356 Depth=4
	v_cmp_ne_u16_e32 vcc, s80, v2
	v_bfrev_b32_e32 v0, 1
	s_and_saveexec_b64 s[30:31], vcc
	s_cbranch_execz .LBB6_955
; %bb.952:                              ;   in Loop: Header=BB6_356 Depth=4
	v_and_b32_e32 v1, 0x7f, v2
	v_cmp_ne_u32_e32 vcc, s81, v1
	v_mov_b32_e32 v0, 0x7f800001
	s_and_saveexec_b64 s[34:35], vcc
	s_cbranch_execz .LBB6_954
; %bb.953:                              ;   in Loop: Header=BB6_356 Depth=4
	v_and_b32_e32 v4, 7, v2
	v_ffbh_u32_e32 v0, v4
	v_min_u32_e32 v7, 32, v0
	v_subrev_u32_e32 v0, 28, v7
	v_lshrrev_b32_e32 v6, 3, v1
	v_cmp_gt_u32_e32 vcc, 8, v1
	v_lshlrev_b64 v[0:1], v0, v[2:3]
	v_sub_u32_e32 v1, 29, v7
	v_and_b32_e32 v0, 7, v0
	v_cndmask_b32_e32 v1, v6, v1, vcc
	v_cndmask_b32_e32 v0, v4, v0, vcc
	v_lshlrev_b32_e32 v2, 16, v25
	v_bfrev_b32_e32 v4, 60
	v_lshlrev_b32_e32 v0, 20, v0
	v_and_b32_e32 v2, 0x80000000, v2
	v_lshl_add_u32 v1, v1, 23, v4
	v_or3_b32 v0, v2, v1, v0
.LBB6_954:                              ;   in Loop: Header=BB6_356 Depth=4
	s_or_b64 exec, exec, s[34:35]
.LBB6_955:                              ;   in Loop: Header=BB6_356 Depth=4
	s_or_b64 exec, exec, s[30:31]
.LBB6_956:                              ;   in Loop: Header=BB6_356 Depth=4
	s_or_b64 exec, exec, s[28:29]
	v_mul_f32_e32 v2, v3, v0
	v_and_b32_e32 v20, 0x7f800000, v2
	v_cmp_ne_u64_e32 vcc, s[62:63], v[20:21]
                                        ; implicit-def: $vgpr0
                                        ; kill: killed $vgpr0
	s_and_saveexec_b64 s[28:29], vcc
	s_xor_b64 s[30:31], exec, s[28:29]
	s_cbranch_execz .LBB6_970
; %bb.957:                              ;   in Loop: Header=BB6_356 Depth=4
	v_and_b32_e32 v20, 0x7fffffff, v2
	v_cmp_gt_u64_e32 vcc, s[78:79], v[20:21]
	v_and_b32_sdwa v0, v2, s80 dst_sel:DWORD dst_unused:UNUSED_PAD src0_sel:BYTE_3 src1_sel:DWORD
                                        ; implicit-def: $vgpr1
                                        ; kill: killed $vgpr1
	s_and_saveexec_b64 s[28:29], vcc
	s_xor_b64 s[34:35], exec, s[28:29]
	s_cbranch_execz .LBB6_967
; %bb.958:                              ;   in Loop: Header=BB6_356 Depth=4
	v_mov_b32_e32 v1, 0
	v_cmp_ne_u32_e32 vcc, 0, v2
	buffer_store_dword v1, off, s[0:3], s33 offset:184 ; 4-byte Folded Spill
	s_and_saveexec_b64 s[36:37], vcc
	s_cbranch_execz .LBB6_966
; %bb.959:                              ;   in Loop: Header=BB6_356 Depth=4
	v_bfe_u32 v4, v2, 23, 8
	v_and_b32_e32 v1, 0x7fffff, v2
	v_cmp_gt_u32_e64 s[28:29], s47, v4
	v_sub_u32_e32 v2, 0x79, v4
	v_cmp_eq_u32_e32 vcc, 0, v4
	v_cndmask_b32_e64 v2, 0, v2, s[28:29]
	v_mov_b32_e32 v6, 0x78
	v_or_b32_e32 v3, 0x800000, v1
	v_cndmask_b32_e32 v6, v2, v6, vcc
	v_cndmask_b32_e32 v20, v3, v1, vcc
	v_add_u32_e32 v1, 20, v6
	v_lshlrev_b64 v[1:2], v1, -1
	v_add_u32_e32 v3, 19, v6
	v_lshlrev_b64 v[22:23], v3, 1
	v_bfi_b32 v2, v2, 0, 0
	v_bfi_b32 v1, v1, 0, v20
	v_cmp_eq_u64_e64 s[28:29], v[1:2], v[22:23]
	v_lshrrev_b64 v[2:3], v6, v[20:21]
	v_mov_b32_e32 v23, v3
	v_mov_b32_e32 v22, v2
	s_and_saveexec_b64 s[38:39], s[28:29]
; %bb.960:                              ;   in Loop: Header=BB6_356 Depth=4
	v_bfe_u32 v1, v2, 20, 1
	v_add_co_u32_e64 v1, s[28:29], v2, v1
	v_add_co_u32_e64 v22, s[28:29], -1, v1
; %bb.961:                              ;   in Loop: Header=BB6_356 Depth=4
	s_or_b64 exec, exec, s[38:39]
	v_add_u32_e32 v1, 0xffffff81, v4
	v_mov_b32_e32 v3, 0xffffff82
	v_cndmask_b32_e32 v1, v1, v3, vcc
	v_lshrrev_b32_e32 v3, 23, v2
	v_add3_u32 v6, v6, v1, v3
	v_add_u32_e32 v4, 6, v6
	v_and_b32_e32 v1, 0xfffff, v22
	v_add_u32_e32 v20, v1, v2
	v_cmp_ne_u32_e32 vcc, 0, v4
                                        ; implicit-def: $vgpr2_vgpr3
                                        ; implicit-def: $vgpr1
	s_and_saveexec_b64 s[28:29], vcc
	s_xor_b64 s[28:29], exec, s[28:29]
; %bb.962:                              ;   in Loop: Header=BB6_356 Depth=4
	v_cmp_lt_u64_e32 vcc, s[88:89], v[20:21]
	v_add_u32_e32 v1, 7, v6
	v_cndmask_b32_e64 v2, 0, 1, vcc
	v_lshrrev_b64 v[2:3], v2, v[20:21]
	v_cndmask_b32_e32 v1, v4, v1, vcc
; %bb.963:                              ;   in Loop: Header=BB6_356 Depth=4
	s_andn2_saveexec_b64 s[28:29], s[28:29]
; %bb.964:                              ;   in Loop: Header=BB6_356 Depth=4
	v_mov_b32_e32 v2, v20
	v_bfe_u32 v1, v20, 23, 1
	v_mov_b32_e32 v3, v21
; %bb.965:                              ;   in Loop: Header=BB6_356 Depth=4
	s_or_b64 exec, exec, s[28:29]
	v_lshrrev_b64 v[2:3], 20, v[2:3]
	v_cmp_gt_i32_e32 vcc, 16, v1
	v_cndmask_b32_e32 v3, 0, v3, vcc
	v_cndmask_b32_e32 v2, 7, v2, vcc
	v_cmp_eq_u32_e32 vcc, 0, v1
	v_min_i32_e32 v1, 15, v1
	v_cmp_eq_u64_e64 s[28:29], 0, v[2:3]
	v_lshlrev_b32_e32 v1, 3, v1
	v_and_b32_e32 v1, 0xf8, v1
	v_and_or_b32 v1, v2, 7, v1
	s_and_b64 s[28:29], vcc, s[28:29]
	v_cndmask_b32_e64 v1, v1, 0, s[28:29]
	v_or_b32_e32 v0, v1, v0
	buffer_store_dword v0, off, s[0:3], s33 offset:184 ; 4-byte Folded Spill
.LBB6_966:                              ;   in Loop: Header=BB6_356 Depth=4
	s_or_b64 exec, exec, s[36:37]
                                        ; implicit-def: $vgpr0
.LBB6_967:                              ;   in Loop: Header=BB6_356 Depth=4
	s_andn2_saveexec_b64 s[28:29], s[34:35]
	s_cbranch_execz .LBB6_969
; %bb.968:                              ;   in Loop: Header=BB6_356 Depth=4
	v_or_b32_e32 v0, 0x7e, v0
	buffer_store_dword v0, off, s[0:3], s33 offset:184 ; 4-byte Folded Spill
.LBB6_969:                              ;   in Loop: Header=BB6_356 Depth=4
	s_or_b64 exec, exec, s[28:29]
                                        ; implicit-def: $vgpr2
.LBB6_970:                              ;   in Loop: Header=BB6_356 Depth=4
	s_andn2_saveexec_b64 s[28:29], s[30:31]
	s_cbranch_execz .LBB6_972
; %bb.971:                              ;   in Loop: Header=BB6_356 Depth=4
	v_or_b32_sdwa v0, v2, s81 dst_sel:DWORD dst_unused:UNUSED_PAD src0_sel:BYTE_3 src1_sel:DWORD
	buffer_store_dword v0, off, s[0:3], s33 offset:184 ; 4-byte Folded Spill
.LBB6_972:                              ;   in Loop: Header=BB6_356 Depth=4
	s_or_b64 exec, exec, s[28:29]
	v_lshrrev_b32_e32 v2, 16, v33
	v_cmp_ne_u16_sdwa vcc, v2, v21 src0_sel:BYTE_0 src1_sel:DWORD
	v_mov_b32_e32 v0, 0
	v_mov_b32_e32 v3, 0
	s_and_saveexec_b64 s[28:29], vcc
	s_cbranch_execz .LBB6_978
; %bb.973:                              ;   in Loop: Header=BB6_356 Depth=4
	v_cmp_ne_u16_sdwa vcc, v2, s80 src0_sel:BYTE_0 src1_sel:DWORD
	v_bfrev_b32_e32 v3, 1
	s_and_saveexec_b64 s[30:31], vcc
	s_cbranch_execz .LBB6_977
; %bb.974:                              ;   in Loop: Header=BB6_356 Depth=4
	v_bfe_u32 v1, v33, 16, 7
	v_cmp_ne_u32_e32 vcc, s81, v1
	v_mov_b32_e32 v3, 0x7f800001
	s_and_saveexec_b64 s[34:35], vcc
	s_cbranch_execz .LBB6_976
; %bb.975:                              ;   in Loop: Header=BB6_356 Depth=4
	v_and_b32_e32 v6, 7, v2
	v_lshrrev_b32_e32 v7, 3, v1
	v_cmp_gt_u32_e32 vcc, 8, v1
	v_ffbh_u32_e32 v1, v6
	v_min_u32_e32 v1, 32, v1
	v_subrev_u32_e32 v3, 28, v1
	v_lshlrev_b64 v[3:4], v3, v[2:3]
	v_sub_u32_e32 v1, 29, v1
	v_and_b32_e32 v3, 7, v3
	v_cndmask_b32_e32 v1, v7, v1, vcc
	v_cndmask_b32_e32 v3, v6, v3, vcc
	v_lshlrev_b32_e32 v2, 24, v2
	v_bfrev_b32_e32 v4, 60
	v_lshlrev_b32_e32 v3, 20, v3
	v_and_b32_e32 v2, 0x80000000, v2
	v_lshl_add_u32 v1, v1, 23, v4
	v_or3_b32 v3, v2, v1, v3
.LBB6_976:                              ;   in Loop: Header=BB6_356 Depth=4
	s_or_b64 exec, exec, s[34:35]
.LBB6_977:                              ;   in Loop: Header=BB6_356 Depth=4
	s_or_b64 exec, exec, s[30:31]
.LBB6_978:                              ;   in Loop: Header=BB6_356 Depth=4
	s_or_b64 exec, exec, s[28:29]
	v_lshrrev_b32_e32 v2, 16, v25
	v_cmp_ne_u16_sdwa vcc, v2, v21 src0_sel:BYTE_0 src1_sel:DWORD
	s_and_saveexec_b64 s[28:29], vcc
	s_cbranch_execz .LBB6_984
; %bb.979:                              ;   in Loop: Header=BB6_356 Depth=4
	v_cmp_ne_u16_sdwa vcc, v2, s80 src0_sel:BYTE_0 src1_sel:DWORD
	v_bfrev_b32_e32 v0, 1
	s_and_saveexec_b64 s[30:31], vcc
	s_cbranch_execz .LBB6_983
; %bb.980:                              ;   in Loop: Header=BB6_356 Depth=4
	v_bfe_u32 v1, v25, 16, 7
	v_cmp_ne_u32_e32 vcc, s81, v1
	v_mov_b32_e32 v0, 0x7f800001
	s_and_saveexec_b64 s[34:35], vcc
	s_cbranch_execz .LBB6_982
; %bb.981:                              ;   in Loop: Header=BB6_356 Depth=4
	v_and_b32_e32 v4, 7, v2
	v_ffbh_u32_e32 v0, v4
	v_min_u32_e32 v7, 32, v0
	v_subrev_u32_e32 v0, 28, v7
	v_lshrrev_b32_e32 v6, 3, v1
	v_cmp_gt_u32_e32 vcc, 8, v1
	v_lshlrev_b64 v[0:1], v0, v[2:3]
	v_sub_u32_e32 v1, 29, v7
	v_and_b32_e32 v0, 7, v0
	v_cndmask_b32_e32 v1, v6, v1, vcc
	v_cndmask_b32_e32 v0, v4, v0, vcc
	v_lshlrev_b32_e32 v2, 8, v25
	v_bfrev_b32_e32 v4, 60
	v_lshlrev_b32_e32 v0, 20, v0
	v_and_b32_e32 v2, 0x80000000, v2
	v_lshl_add_u32 v1, v1, 23, v4
	v_or3_b32 v0, v2, v1, v0
.LBB6_982:                              ;   in Loop: Header=BB6_356 Depth=4
	s_or_b64 exec, exec, s[34:35]
.LBB6_983:                              ;   in Loop: Header=BB6_356 Depth=4
	s_or_b64 exec, exec, s[30:31]
.LBB6_984:                              ;   in Loop: Header=BB6_356 Depth=4
	s_or_b64 exec, exec, s[28:29]
	v_mul_f32_e32 v2, v3, v0
	v_and_b32_e32 v20, 0x7f800000, v2
	v_cmp_ne_u64_e32 vcc, s[62:63], v[20:21]
                                        ; implicit-def: $vgpr0
                                        ; kill: killed $vgpr0
	s_and_saveexec_b64 s[28:29], vcc
	s_xor_b64 s[30:31], exec, s[28:29]
	s_cbranch_execz .LBB6_998
; %bb.985:                              ;   in Loop: Header=BB6_356 Depth=4
	v_and_b32_e32 v20, 0x7fffffff, v2
	v_cmp_gt_u64_e32 vcc, s[78:79], v[20:21]
	v_and_b32_sdwa v0, v2, s80 dst_sel:DWORD dst_unused:UNUSED_PAD src0_sel:BYTE_3 src1_sel:DWORD
                                        ; implicit-def: $vgpr1
                                        ; kill: killed $vgpr1
	s_and_saveexec_b64 s[28:29], vcc
	s_xor_b64 s[34:35], exec, s[28:29]
	s_cbranch_execz .LBB6_995
; %bb.986:                              ;   in Loop: Header=BB6_356 Depth=4
	v_mov_b32_e32 v1, 0
	v_cmp_ne_u32_e32 vcc, 0, v2
	buffer_store_dword v1, off, s[0:3], s33 offset:188 ; 4-byte Folded Spill
	s_and_saveexec_b64 s[36:37], vcc
	s_cbranch_execz .LBB6_994
; %bb.987:                              ;   in Loop: Header=BB6_356 Depth=4
	v_bfe_u32 v4, v2, 23, 8
	v_and_b32_e32 v1, 0x7fffff, v2
	v_cmp_gt_u32_e64 s[28:29], s47, v4
	v_sub_u32_e32 v2, 0x79, v4
	v_cmp_eq_u32_e32 vcc, 0, v4
	v_cndmask_b32_e64 v2, 0, v2, s[28:29]
	v_mov_b32_e32 v6, 0x78
	v_or_b32_e32 v3, 0x800000, v1
	v_cndmask_b32_e32 v6, v2, v6, vcc
	v_cndmask_b32_e32 v20, v3, v1, vcc
	v_add_u32_e32 v1, 20, v6
	v_lshlrev_b64 v[1:2], v1, -1
	v_add_u32_e32 v3, 19, v6
	v_lshlrev_b64 v[22:23], v3, 1
	v_bfi_b32 v2, v2, 0, 0
	v_bfi_b32 v1, v1, 0, v20
	v_cmp_eq_u64_e64 s[28:29], v[1:2], v[22:23]
	v_lshrrev_b64 v[2:3], v6, v[20:21]
	v_mov_b32_e32 v23, v3
	v_mov_b32_e32 v22, v2
	s_and_saveexec_b64 s[38:39], s[28:29]
; %bb.988:                              ;   in Loop: Header=BB6_356 Depth=4
	v_bfe_u32 v1, v2, 20, 1
	v_add_co_u32_e64 v1, s[28:29], v2, v1
	v_add_co_u32_e64 v22, s[28:29], -1, v1
; %bb.989:                              ;   in Loop: Header=BB6_356 Depth=4
	s_or_b64 exec, exec, s[38:39]
	v_add_u32_e32 v1, 0xffffff81, v4
	v_mov_b32_e32 v3, 0xffffff82
	v_cndmask_b32_e32 v1, v1, v3, vcc
	v_lshrrev_b32_e32 v3, 23, v2
	v_add3_u32 v6, v6, v1, v3
	v_add_u32_e32 v4, 6, v6
	v_and_b32_e32 v1, 0xfffff, v22
	v_add_u32_e32 v20, v1, v2
	v_cmp_ne_u32_e32 vcc, 0, v4
                                        ; implicit-def: $vgpr2_vgpr3
                                        ; implicit-def: $vgpr1
	s_and_saveexec_b64 s[28:29], vcc
	s_xor_b64 s[28:29], exec, s[28:29]
; %bb.990:                              ;   in Loop: Header=BB6_356 Depth=4
	v_cmp_lt_u64_e32 vcc, s[88:89], v[20:21]
	v_add_u32_e32 v1, 7, v6
	v_cndmask_b32_e64 v2, 0, 1, vcc
	v_lshrrev_b64 v[2:3], v2, v[20:21]
	v_cndmask_b32_e32 v1, v4, v1, vcc
; %bb.991:                              ;   in Loop: Header=BB6_356 Depth=4
	s_andn2_saveexec_b64 s[28:29], s[28:29]
; %bb.992:                              ;   in Loop: Header=BB6_356 Depth=4
	v_mov_b32_e32 v2, v20
	v_bfe_u32 v1, v20, 23, 1
	v_mov_b32_e32 v3, v21
; %bb.993:                              ;   in Loop: Header=BB6_356 Depth=4
	s_or_b64 exec, exec, s[28:29]
	v_lshrrev_b64 v[2:3], 20, v[2:3]
	v_cmp_gt_i32_e32 vcc, 16, v1
	v_cndmask_b32_e32 v3, 0, v3, vcc
	v_cndmask_b32_e32 v2, 7, v2, vcc
	v_cmp_eq_u32_e32 vcc, 0, v1
	v_min_i32_e32 v1, 15, v1
	v_cmp_eq_u64_e64 s[28:29], 0, v[2:3]
	v_lshlrev_b32_e32 v1, 3, v1
	v_and_b32_e32 v1, 0xf8, v1
	v_and_or_b32 v1, v2, 7, v1
	s_and_b64 s[28:29], vcc, s[28:29]
	v_cndmask_b32_e64 v1, v1, 0, s[28:29]
	v_or_b32_e32 v0, v1, v0
	buffer_store_dword v0, off, s[0:3], s33 offset:188 ; 4-byte Folded Spill
.LBB6_994:                              ;   in Loop: Header=BB6_356 Depth=4
	s_or_b64 exec, exec, s[36:37]
                                        ; implicit-def: $vgpr0
.LBB6_995:                              ;   in Loop: Header=BB6_356 Depth=4
	s_andn2_saveexec_b64 s[28:29], s[34:35]
	s_cbranch_execz .LBB6_997
; %bb.996:                              ;   in Loop: Header=BB6_356 Depth=4
	v_or_b32_e32 v0, 0x7e, v0
	buffer_store_dword v0, off, s[0:3], s33 offset:188 ; 4-byte Folded Spill
.LBB6_997:                              ;   in Loop: Header=BB6_356 Depth=4
	s_or_b64 exec, exec, s[28:29]
                                        ; implicit-def: $vgpr2
.LBB6_998:                              ;   in Loop: Header=BB6_356 Depth=4
	s_andn2_saveexec_b64 s[28:29], s[30:31]
	s_cbranch_execz .LBB6_1000
; %bb.999:                              ;   in Loop: Header=BB6_356 Depth=4
	v_or_b32_sdwa v0, v2, s81 dst_sel:DWORD dst_unused:UNUSED_PAD src0_sel:BYTE_3 src1_sel:DWORD
	buffer_store_dword v0, off, s[0:3], s33 offset:188 ; 4-byte Folded Spill
.LBB6_1000:                             ;   in Loop: Header=BB6_356 Depth=4
	s_or_b64 exec, exec, s[28:29]
	v_cmp_lt_u64_e32 vcc, s[56:57], v[32:33]
	v_mov_b32_e32 v0, 0
	v_mov_b32_e32 v3, 0
	s_and_saveexec_b64 s[28:29], vcc
	s_cbranch_execz .LBB6_1006
; %bb.1001:                             ;   in Loop: Header=BB6_356 Depth=4
	v_lshrrev_b32_e32 v2, 24, v33
	v_cmp_ne_u32_e32 vcc, s80, v2
	v_bfrev_b32_e32 v3, 1
	s_and_saveexec_b64 s[30:31], vcc
	s_cbranch_execz .LBB6_1005
; %bb.1002:                             ;   in Loop: Header=BB6_356 Depth=4
	v_bfe_u32 v1, v33, 24, 7
	v_cmp_ne_u32_e32 vcc, s81, v1
	v_mov_b32_e32 v3, 0x7f800001
	s_and_saveexec_b64 s[34:35], vcc
	s_cbranch_execz .LBB6_1004
; %bb.1003:                             ;   in Loop: Header=BB6_356 Depth=4
	v_and_b32_e32 v6, 7, v2
	v_lshrrev_b32_e32 v7, 3, v1
	v_cmp_gt_u32_e32 vcc, 8, v1
	v_ffbh_u32_e32 v1, v6
	v_min_u32_e32 v1, 32, v1
	v_subrev_u32_e32 v3, 28, v1
	v_lshlrev_b64 v[3:4], v3, v[2:3]
	v_sub_u32_e32 v1, 29, v1
	v_and_b32_e32 v3, 7, v3
	v_cndmask_b32_e32 v1, v7, v1, vcc
	v_cndmask_b32_e32 v3, v6, v3, vcc
	v_lshlrev_b32_e32 v2, 24, v2
	v_bfrev_b32_e32 v4, 60
	v_lshlrev_b32_e32 v3, 20, v3
	v_and_b32_e32 v2, 0x80000000, v2
	v_lshl_add_u32 v1, v1, 23, v4
	v_or3_b32 v3, v2, v1, v3
.LBB6_1004:                             ;   in Loop: Header=BB6_356 Depth=4
	s_or_b64 exec, exec, s[34:35]
.LBB6_1005:                             ;   in Loop: Header=BB6_356 Depth=4
	s_or_b64 exec, exec, s[30:31]
.LBB6_1006:                             ;   in Loop: Header=BB6_356 Depth=4
	s_or_b64 exec, exec, s[28:29]
	v_cmp_lt_u64_e32 vcc, s[56:57], v[24:25]
	s_and_saveexec_b64 s[28:29], vcc
	s_cbranch_execz .LBB6_1012
; %bb.1007:                             ;   in Loop: Header=BB6_356 Depth=4
	v_lshrrev_b32_e32 v2, 24, v25
	v_cmp_ne_u32_e32 vcc, s80, v2
	v_bfrev_b32_e32 v0, 1
	s_and_saveexec_b64 s[30:31], vcc
	s_cbranch_execz .LBB6_1011
; %bb.1008:                             ;   in Loop: Header=BB6_356 Depth=4
	v_bfe_u32 v1, v25, 24, 7
	v_cmp_ne_u32_e32 vcc, s81, v1
	v_mov_b32_e32 v0, 0x7f800001
	s_and_saveexec_b64 s[34:35], vcc
	s_cbranch_execz .LBB6_1010
; %bb.1009:                             ;   in Loop: Header=BB6_356 Depth=4
	v_and_b32_e32 v4, 7, v2
	v_ffbh_u32_e32 v0, v4
	v_min_u32_e32 v7, 32, v0
	v_subrev_u32_e32 v0, 28, v7
	v_lshrrev_b32_e32 v6, 3, v1
	v_cmp_gt_u32_e32 vcc, 8, v1
	v_lshlrev_b64 v[0:1], v0, v[2:3]
	v_sub_u32_e32 v1, 29, v7
	v_and_b32_e32 v0, 7, v0
	v_cndmask_b32_e32 v1, v6, v1, vcc
	v_cndmask_b32_e32 v0, v4, v0, vcc
	v_lshlrev_b32_e32 v2, 24, v2
	v_bfrev_b32_e32 v4, 60
	v_lshlrev_b32_e32 v0, 20, v0
	v_and_b32_e32 v2, 0x80000000, v2
	v_lshl_add_u32 v1, v1, 23, v4
	v_or3_b32 v0, v2, v1, v0
.LBB6_1010:                             ;   in Loop: Header=BB6_356 Depth=4
	s_or_b64 exec, exec, s[34:35]
.LBB6_1011:                             ;   in Loop: Header=BB6_356 Depth=4
	s_or_b64 exec, exec, s[30:31]
.LBB6_1012:                             ;   in Loop: Header=BB6_356 Depth=4
	s_or_b64 exec, exec, s[28:29]
	v_mul_f32_e32 v2, v3, v0
	v_and_b32_e32 v20, 0x7f800000, v2
	v_cmp_ne_u64_e32 vcc, s[62:63], v[20:21]
                                        ; implicit-def: $vgpr32
	s_and_saveexec_b64 s[28:29], vcc
	s_xor_b64 s[30:31], exec, s[28:29]
	s_cbranch_execz .LBB6_1026
; %bb.1013:                             ;   in Loop: Header=BB6_356 Depth=4
	v_and_b32_e32 v20, 0x7fffffff, v2
	v_cmp_gt_u64_e32 vcc, s[78:79], v[20:21]
	v_and_b32_sdwa v0, v2, s80 dst_sel:DWORD dst_unused:UNUSED_PAD src0_sel:BYTE_3 src1_sel:DWORD
                                        ; implicit-def: $vgpr32
	s_and_saveexec_b64 s[28:29], vcc
	s_xor_b64 s[34:35], exec, s[28:29]
	s_cbranch_execz .LBB6_1023
; %bb.1014:                             ;   in Loop: Header=BB6_356 Depth=4
	v_mov_b32_e32 v32, 0
	v_cmp_ne_u32_e32 vcc, 0, v2
	s_and_saveexec_b64 s[36:37], vcc
	s_cbranch_execz .LBB6_1022
; %bb.1015:                             ;   in Loop: Header=BB6_356 Depth=4
	v_bfe_u32 v4, v2, 23, 8
	v_and_b32_e32 v1, 0x7fffff, v2
	v_cmp_gt_u32_e64 s[28:29], s47, v4
	v_sub_u32_e32 v2, 0x79, v4
	v_cmp_eq_u32_e32 vcc, 0, v4
	v_cndmask_b32_e64 v2, 0, v2, s[28:29]
	v_mov_b32_e32 v6, 0x78
	v_or_b32_e32 v3, 0x800000, v1
	v_cndmask_b32_e32 v6, v2, v6, vcc
	v_cndmask_b32_e32 v20, v3, v1, vcc
	v_add_u32_e32 v1, 20, v6
	v_lshlrev_b64 v[1:2], v1, -1
	v_add_u32_e32 v3, 19, v6
	v_lshlrev_b64 v[22:23], v3, 1
	v_bfi_b32 v2, v2, 0, 0
	v_bfi_b32 v1, v1, 0, v20
	v_cmp_eq_u64_e64 s[28:29], v[1:2], v[22:23]
	v_lshrrev_b64 v[2:3], v6, v[20:21]
	v_mov_b32_e32 v23, v3
	v_mov_b32_e32 v22, v2
	s_and_saveexec_b64 s[38:39], s[28:29]
; %bb.1016:                             ;   in Loop: Header=BB6_356 Depth=4
	v_bfe_u32 v1, v2, 20, 1
	v_add_co_u32_e64 v1, s[28:29], v2, v1
	v_add_co_u32_e64 v22, s[28:29], -1, v1
; %bb.1017:                             ;   in Loop: Header=BB6_356 Depth=4
	s_or_b64 exec, exec, s[38:39]
	v_add_u32_e32 v1, 0xffffff81, v4
	v_mov_b32_e32 v3, 0xffffff82
	v_cndmask_b32_e32 v1, v1, v3, vcc
	v_lshrrev_b32_e32 v3, 23, v2
	v_add3_u32 v6, v6, v1, v3
	v_add_u32_e32 v4, 6, v6
	v_and_b32_e32 v1, 0xfffff, v22
	v_add_u32_e32 v20, v1, v2
	v_cmp_ne_u32_e32 vcc, 0, v4
                                        ; implicit-def: $vgpr2_vgpr3
                                        ; implicit-def: $vgpr1
	s_and_saveexec_b64 s[28:29], vcc
	s_xor_b64 s[28:29], exec, s[28:29]
; %bb.1018:                             ;   in Loop: Header=BB6_356 Depth=4
	v_cmp_lt_u64_e32 vcc, s[88:89], v[20:21]
	v_add_u32_e32 v1, 7, v6
	v_cndmask_b32_e64 v2, 0, 1, vcc
	v_lshrrev_b64 v[2:3], v2, v[20:21]
	v_cndmask_b32_e32 v1, v4, v1, vcc
; %bb.1019:                             ;   in Loop: Header=BB6_356 Depth=4
	s_andn2_saveexec_b64 s[28:29], s[28:29]
; %bb.1020:                             ;   in Loop: Header=BB6_356 Depth=4
	v_mov_b32_e32 v2, v20
	v_bfe_u32 v1, v20, 23, 1
	v_mov_b32_e32 v3, v21
; %bb.1021:                             ;   in Loop: Header=BB6_356 Depth=4
	s_or_b64 exec, exec, s[28:29]
	v_lshrrev_b64 v[2:3], 20, v[2:3]
	v_cmp_gt_i32_e32 vcc, 16, v1
	v_cndmask_b32_e32 v3, 0, v3, vcc
	v_cndmask_b32_e32 v2, 7, v2, vcc
	v_cmp_eq_u32_e32 vcc, 0, v1
	v_min_i32_e32 v1, 15, v1
	v_cmp_eq_u64_e64 s[28:29], 0, v[2:3]
	v_lshlrev_b32_e32 v1, 3, v1
	v_and_b32_e32 v1, 0xf8, v1
	v_and_or_b32 v1, v2, 7, v1
	s_and_b64 s[28:29], vcc, s[28:29]
	v_cndmask_b32_e64 v1, v1, 0, s[28:29]
	v_or_b32_e32 v32, v1, v0
.LBB6_1022:                             ;   in Loop: Header=BB6_356 Depth=4
	s_or_b64 exec, exec, s[36:37]
                                        ; implicit-def: $vgpr0
.LBB6_1023:                             ;   in Loop: Header=BB6_356 Depth=4
	s_andn2_saveexec_b64 s[28:29], s[34:35]
; %bb.1024:                             ;   in Loop: Header=BB6_356 Depth=4
	v_or_b32_e32 v32, 0x7e, v0
; %bb.1025:                             ;   in Loop: Header=BB6_356 Depth=4
	s_or_b64 exec, exec, s[28:29]
                                        ; implicit-def: $vgpr2
.LBB6_1026:                             ;   in Loop: Header=BB6_356 Depth=4
	s_andn2_saveexec_b64 s[28:29], s[30:31]
; %bb.1027:                             ;   in Loop: Header=BB6_356 Depth=4
	v_or_b32_sdwa v32, v2, s81 dst_sel:DWORD dst_unused:UNUSED_PAD src0_sel:BYTE_3 src1_sel:DWORD
; %bb.1028:                             ;   in Loop: Header=BB6_356 Depth=4
	s_or_b64 exec, exec, s[28:29]
	v_cmp_ne_u16_sdwa vcc, v34, v21 src0_sel:BYTE_0 src1_sel:DWORD
	v_mov_b32_e32 v0, 0
	v_mov_b32_e32 v2, 0
	s_and_saveexec_b64 s[28:29], vcc
	s_cbranch_execz .LBB6_1034
; %bb.1029:                             ;   in Loop: Header=BB6_356 Depth=4
	v_cmp_ne_u16_sdwa vcc, v34, s80 src0_sel:BYTE_0 src1_sel:DWORD
	v_bfrev_b32_e32 v2, 1
	s_and_saveexec_b64 s[30:31], vcc
	s_cbranch_execz .LBB6_1033
; %bb.1030:                             ;   in Loop: Header=BB6_356 Depth=4
	v_and_b32_e32 v1, 0x7f, v34
	v_cmp_ne_u32_e32 vcc, s81, v1
	v_mov_b32_e32 v2, 0x7f800001
	s_and_saveexec_b64 s[34:35], vcc
	s_cbranch_execz .LBB6_1032
; %bb.1031:                             ;   in Loop: Header=BB6_356 Depth=4
	v_and_b32_e32 v2, 7, v34
	v_lshrrev_b32_e32 v3, 3, v1
	v_cmp_gt_u32_e32 vcc, 8, v1
	v_ffbh_u32_e32 v1, v2
	v_min_u32_e32 v1, 32, v1
	v_subrev_u32_e32 v2, 28, v1
	v_sub_u32_e32 v1, 29, v1
	v_cndmask_b32_e32 v3, v3, v1, vcc
	v_cndmask_b32_e32 v1, 0, v2, vcc
	v_lshlrev_b64 v[1:2], v1, v[34:35]
	v_lshlrev_b32_e32 v2, 24, v34
	v_lshlrev_b32_e32 v1, 20, v1
	v_bfrev_b32_e32 v4, 60
	v_and_b32_e32 v1, 0x700000, v1
	v_and_b32_e32 v2, 0x80000000, v2
	v_lshl_add_u32 v3, v3, 23, v4
	v_or3_b32 v2, v2, v3, v1
.LBB6_1032:                             ;   in Loop: Header=BB6_356 Depth=4
	s_or_b64 exec, exec, s[34:35]
.LBB6_1033:                             ;   in Loop: Header=BB6_356 Depth=4
	s_or_b64 exec, exec, s[30:31]
.LBB6_1034:                             ;   in Loop: Header=BB6_356 Depth=4
	s_or_b64 exec, exec, s[28:29]
	v_cmp_ne_u16_sdwa vcc, v26, v21 src0_sel:BYTE_0 src1_sel:DWORD
	s_and_saveexec_b64 s[28:29], vcc
	s_cbranch_execz .LBB6_1040
; %bb.1035:                             ;   in Loop: Header=BB6_356 Depth=4
	v_cmp_ne_u16_sdwa vcc, v26, s80 src0_sel:BYTE_0 src1_sel:DWORD
	v_bfrev_b32_e32 v0, 1
	s_and_saveexec_b64 s[30:31], vcc
	s_cbranch_execz .LBB6_1039
; %bb.1036:                             ;   in Loop: Header=BB6_356 Depth=4
	v_and_b32_e32 v1, 0x7f, v26
	v_cmp_ne_u32_e32 vcc, s81, v1
	v_mov_b32_e32 v0, 0x7f800001
	s_and_saveexec_b64 s[34:35], vcc
	s_cbranch_execz .LBB6_1038
; %bb.1037:                             ;   in Loop: Header=BB6_356 Depth=4
	v_and_b32_e32 v0, 7, v26
	v_ffbh_u32_e32 v0, v0
	v_min_u32_e32 v0, 32, v0
	v_lshrrev_b32_e32 v3, 3, v1
	v_cmp_gt_u32_e32 vcc, 8, v1
	v_subrev_u32_e32 v1, 28, v0
	v_sub_u32_e32 v0, 29, v0
	v_cndmask_b32_e32 v3, v3, v0, vcc
	v_cndmask_b32_e32 v0, 0, v1, vcc
	v_lshlrev_b64 v[0:1], v0, v[26:27]
	v_lshlrev_b32_e32 v1, 24, v26
	v_lshlrev_b32_e32 v0, 20, v0
	v_bfrev_b32_e32 v4, 60
	v_and_b32_e32 v0, 0x700000, v0
	v_and_b32_e32 v1, 0x80000000, v1
	v_lshl_add_u32 v3, v3, 23, v4
	v_or3_b32 v0, v1, v3, v0
.LBB6_1038:                             ;   in Loop: Header=BB6_356 Depth=4
	s_or_b64 exec, exec, s[34:35]
.LBB6_1039:                             ;   in Loop: Header=BB6_356 Depth=4
	s_or_b64 exec, exec, s[30:31]
.LBB6_1040:                             ;   in Loop: Header=BB6_356 Depth=4
	s_or_b64 exec, exec, s[28:29]
	v_mul_f32_e32 v2, v2, v0
	v_and_b32_e32 v20, 0x7f800000, v2
	v_cmp_ne_u64_e32 vcc, s[62:63], v[20:21]
                                        ; implicit-def: $vgpr43
	s_and_saveexec_b64 s[28:29], vcc
	s_xor_b64 s[30:31], exec, s[28:29]
	s_cbranch_execz .LBB6_1054
; %bb.1041:                             ;   in Loop: Header=BB6_356 Depth=4
	v_and_b32_e32 v20, 0x7fffffff, v2
	v_cmp_gt_u64_e32 vcc, s[78:79], v[20:21]
	v_and_b32_sdwa v0, v2, s80 dst_sel:DWORD dst_unused:UNUSED_PAD src0_sel:BYTE_3 src1_sel:DWORD
                                        ; implicit-def: $vgpr43
	s_and_saveexec_b64 s[28:29], vcc
	s_xor_b64 s[34:35], exec, s[28:29]
	s_cbranch_execz .LBB6_1051
; %bb.1042:                             ;   in Loop: Header=BB6_356 Depth=4
	v_mov_b32_e32 v43, 0
	v_cmp_ne_u32_e32 vcc, 0, v2
	s_and_saveexec_b64 s[36:37], vcc
	s_cbranch_execz .LBB6_1050
; %bb.1043:                             ;   in Loop: Header=BB6_356 Depth=4
	v_bfe_u32 v4, v2, 23, 8
	v_and_b32_e32 v1, 0x7fffff, v2
	v_cmp_gt_u32_e64 s[28:29], s47, v4
	v_sub_u32_e32 v2, 0x79, v4
	v_cmp_eq_u32_e32 vcc, 0, v4
	v_cndmask_b32_e64 v2, 0, v2, s[28:29]
	v_mov_b32_e32 v6, 0x78
	v_or_b32_e32 v3, 0x800000, v1
	v_cndmask_b32_e32 v6, v2, v6, vcc
	v_cndmask_b32_e32 v20, v3, v1, vcc
	v_add_u32_e32 v1, 20, v6
	v_lshlrev_b64 v[1:2], v1, -1
	v_add_u32_e32 v3, 19, v6
	v_lshlrev_b64 v[22:23], v3, 1
	v_bfi_b32 v2, v2, 0, 0
	v_bfi_b32 v1, v1, 0, v20
	v_cmp_eq_u64_e64 s[28:29], v[1:2], v[22:23]
	v_lshrrev_b64 v[2:3], v6, v[20:21]
	v_mov_b32_e32 v23, v3
	v_mov_b32_e32 v22, v2
	s_and_saveexec_b64 s[38:39], s[28:29]
; %bb.1044:                             ;   in Loop: Header=BB6_356 Depth=4
	v_bfe_u32 v1, v2, 20, 1
	v_add_co_u32_e64 v1, s[28:29], v2, v1
	v_add_co_u32_e64 v22, s[28:29], -1, v1
; %bb.1045:                             ;   in Loop: Header=BB6_356 Depth=4
	s_or_b64 exec, exec, s[38:39]
	v_add_u32_e32 v1, 0xffffff81, v4
	v_mov_b32_e32 v3, 0xffffff82
	v_cndmask_b32_e32 v1, v1, v3, vcc
	v_lshrrev_b32_e32 v3, 23, v2
	v_add3_u32 v6, v6, v1, v3
	v_add_u32_e32 v4, 6, v6
	v_and_b32_e32 v1, 0xfffff, v22
	v_add_u32_e32 v20, v1, v2
	v_cmp_ne_u32_e32 vcc, 0, v4
                                        ; implicit-def: $vgpr2_vgpr3
                                        ; implicit-def: $vgpr1
	s_and_saveexec_b64 s[28:29], vcc
	s_xor_b64 s[28:29], exec, s[28:29]
; %bb.1046:                             ;   in Loop: Header=BB6_356 Depth=4
	v_cmp_lt_u64_e32 vcc, s[88:89], v[20:21]
	v_add_u32_e32 v1, 7, v6
	v_cndmask_b32_e64 v2, 0, 1, vcc
	v_lshrrev_b64 v[2:3], v2, v[20:21]
	v_cndmask_b32_e32 v1, v4, v1, vcc
; %bb.1047:                             ;   in Loop: Header=BB6_356 Depth=4
	s_andn2_saveexec_b64 s[28:29], s[28:29]
; %bb.1048:                             ;   in Loop: Header=BB6_356 Depth=4
	v_mov_b32_e32 v2, v20
	v_bfe_u32 v1, v20, 23, 1
	v_mov_b32_e32 v3, v21
; %bb.1049:                             ;   in Loop: Header=BB6_356 Depth=4
	s_or_b64 exec, exec, s[28:29]
	v_lshrrev_b64 v[2:3], 20, v[2:3]
	v_cmp_gt_i32_e32 vcc, 16, v1
	v_cndmask_b32_e32 v3, 0, v3, vcc
	v_cndmask_b32_e32 v2, 7, v2, vcc
	v_cmp_eq_u32_e32 vcc, 0, v1
	v_min_i32_e32 v1, 15, v1
	v_cmp_eq_u64_e64 s[28:29], 0, v[2:3]
	v_lshlrev_b32_e32 v1, 3, v1
	v_and_b32_e32 v1, 0xf8, v1
	v_and_or_b32 v1, v2, 7, v1
	s_and_b64 s[28:29], vcc, s[28:29]
	v_cndmask_b32_e64 v1, v1, 0, s[28:29]
	v_or_b32_e32 v43, v1, v0
.LBB6_1050:                             ;   in Loop: Header=BB6_356 Depth=4
	s_or_b64 exec, exec, s[36:37]
                                        ; implicit-def: $vgpr0
.LBB6_1051:                             ;   in Loop: Header=BB6_356 Depth=4
	s_andn2_saveexec_b64 s[28:29], s[34:35]
; %bb.1052:                             ;   in Loop: Header=BB6_356 Depth=4
	v_or_b32_e32 v43, 0x7e, v0
; %bb.1053:                             ;   in Loop: Header=BB6_356 Depth=4
	s_or_b64 exec, exec, s[28:29]
                                        ; implicit-def: $vgpr2
.LBB6_1054:                             ;   in Loop: Header=BB6_356 Depth=4
	s_andn2_saveexec_b64 s[28:29], s[30:31]
; %bb.1055:                             ;   in Loop: Header=BB6_356 Depth=4
	v_or_b32_sdwa v43, v2, s81 dst_sel:DWORD dst_unused:UNUSED_PAD src0_sel:BYTE_3 src1_sel:DWORD
; %bb.1056:                             ;   in Loop: Header=BB6_356 Depth=4
	s_or_b64 exec, exec, s[28:29]
	v_lshrrev_b16_e32 v2, 8, v34
	v_cmp_ne_u16_e32 vcc, 0, v2
	v_mov_b32_e32 v0, 0
	v_mov_b32_e32 v3, 0
	s_and_saveexec_b64 s[28:29], vcc
	s_cbranch_execz .LBB6_1062
; %bb.1057:                             ;   in Loop: Header=BB6_356 Depth=4
	v_cmp_ne_u16_e32 vcc, s80, v2
	v_bfrev_b32_e32 v3, 1
	s_and_saveexec_b64 s[30:31], vcc
	s_cbranch_execz .LBB6_1061
; %bb.1058:                             ;   in Loop: Header=BB6_356 Depth=4
	v_and_b32_e32 v1, 0x7f, v2
	v_cmp_ne_u32_e32 vcc, s81, v1
	v_mov_b32_e32 v3, 0x7f800001
	s_and_saveexec_b64 s[34:35], vcc
	s_cbranch_execz .LBB6_1060
; %bb.1059:                             ;   in Loop: Header=BB6_356 Depth=4
	v_and_b32_e32 v3, 7, v2
	v_lshrrev_b32_e32 v4, 3, v1
	v_cmp_gt_u32_e32 vcc, 8, v1
	v_ffbh_u32_e32 v1, v3
	v_min_u32_e32 v6, 32, v1
	v_subrev_u32_e32 v1, 28, v6
	v_lshlrev_b64 v[1:2], v1, v[2:3]
	v_sub_u32_e32 v2, 29, v6
	v_and_b32_e32 v1, 7, v1
	v_cndmask_b32_e32 v2, v4, v2, vcc
	v_cndmask_b32_e32 v1, v3, v1, vcc
	v_lshlrev_b32_e32 v3, 16, v34
	v_bfrev_b32_e32 v4, 60
	v_lshlrev_b32_e32 v1, 20, v1
	v_and_b32_e32 v3, 0x80000000, v3
	v_lshl_add_u32 v2, v2, 23, v4
	v_or3_b32 v3, v3, v2, v1
.LBB6_1060:                             ;   in Loop: Header=BB6_356 Depth=4
	s_or_b64 exec, exec, s[34:35]
.LBB6_1061:                             ;   in Loop: Header=BB6_356 Depth=4
	s_or_b64 exec, exec, s[30:31]
.LBB6_1062:                             ;   in Loop: Header=BB6_356 Depth=4
	s_or_b64 exec, exec, s[28:29]
	v_lshrrev_b16_e32 v2, 8, v26
	v_cmp_ne_u16_e32 vcc, 0, v2
	s_and_saveexec_b64 s[28:29], vcc
	s_cbranch_execz .LBB6_1068
; %bb.1063:                             ;   in Loop: Header=BB6_356 Depth=4
	v_cmp_ne_u16_e32 vcc, s80, v2
	v_bfrev_b32_e32 v0, 1
	s_and_saveexec_b64 s[30:31], vcc
	s_cbranch_execz .LBB6_1067
; %bb.1064:                             ;   in Loop: Header=BB6_356 Depth=4
	v_and_b32_e32 v1, 0x7f, v2
	v_cmp_ne_u32_e32 vcc, s81, v1
	v_mov_b32_e32 v0, 0x7f800001
	s_and_saveexec_b64 s[34:35], vcc
	s_cbranch_execz .LBB6_1066
; %bb.1065:                             ;   in Loop: Header=BB6_356 Depth=4
	v_and_b32_e32 v4, 7, v2
	v_ffbh_u32_e32 v0, v4
	v_min_u32_e32 v7, 32, v0
	v_subrev_u32_e32 v0, 28, v7
	v_lshrrev_b32_e32 v6, 3, v1
	v_cmp_gt_u32_e32 vcc, 8, v1
	v_lshlrev_b64 v[0:1], v0, v[2:3]
	v_sub_u32_e32 v1, 29, v7
	v_and_b32_e32 v0, 7, v0
	v_cndmask_b32_e32 v1, v6, v1, vcc
	v_cndmask_b32_e32 v0, v4, v0, vcc
	v_lshlrev_b32_e32 v2, 16, v26
	v_bfrev_b32_e32 v4, 60
	v_lshlrev_b32_e32 v0, 20, v0
	v_and_b32_e32 v2, 0x80000000, v2
	v_lshl_add_u32 v1, v1, 23, v4
	v_or3_b32 v0, v2, v1, v0
.LBB6_1066:                             ;   in Loop: Header=BB6_356 Depth=4
	s_or_b64 exec, exec, s[34:35]
.LBB6_1067:                             ;   in Loop: Header=BB6_356 Depth=4
	s_or_b64 exec, exec, s[30:31]
.LBB6_1068:                             ;   in Loop: Header=BB6_356 Depth=4
	s_or_b64 exec, exec, s[28:29]
	v_mul_f32_e32 v2, v3, v0
	v_and_b32_e32 v20, 0x7f800000, v2
	v_cmp_ne_u64_e32 vcc, s[62:63], v[20:21]
                                        ; implicit-def: $vgpr54
	s_and_saveexec_b64 s[28:29], vcc
	s_xor_b64 s[30:31], exec, s[28:29]
	s_cbranch_execz .LBB6_1082
; %bb.1069:                             ;   in Loop: Header=BB6_356 Depth=4
	v_and_b32_e32 v20, 0x7fffffff, v2
	v_cmp_gt_u64_e32 vcc, s[78:79], v[20:21]
	v_and_b32_sdwa v0, v2, s80 dst_sel:DWORD dst_unused:UNUSED_PAD src0_sel:BYTE_3 src1_sel:DWORD
                                        ; implicit-def: $vgpr54
	s_and_saveexec_b64 s[28:29], vcc
	s_xor_b64 s[34:35], exec, s[28:29]
	s_cbranch_execz .LBB6_1079
; %bb.1070:                             ;   in Loop: Header=BB6_356 Depth=4
	v_mov_b32_e32 v54, 0
	v_cmp_ne_u32_e32 vcc, 0, v2
	s_and_saveexec_b64 s[36:37], vcc
	s_cbranch_execz .LBB6_1078
; %bb.1071:                             ;   in Loop: Header=BB6_356 Depth=4
	v_bfe_u32 v4, v2, 23, 8
	v_and_b32_e32 v1, 0x7fffff, v2
	v_cmp_gt_u32_e64 s[28:29], s47, v4
	v_sub_u32_e32 v2, 0x79, v4
	v_cmp_eq_u32_e32 vcc, 0, v4
	v_cndmask_b32_e64 v2, 0, v2, s[28:29]
	v_mov_b32_e32 v6, 0x78
	v_or_b32_e32 v3, 0x800000, v1
	v_cndmask_b32_e32 v6, v2, v6, vcc
	v_cndmask_b32_e32 v20, v3, v1, vcc
	v_add_u32_e32 v1, 20, v6
	v_lshlrev_b64 v[1:2], v1, -1
	v_add_u32_e32 v3, 19, v6
	v_lshlrev_b64 v[22:23], v3, 1
	v_bfi_b32 v2, v2, 0, 0
	v_bfi_b32 v1, v1, 0, v20
	v_cmp_eq_u64_e64 s[28:29], v[1:2], v[22:23]
	v_lshrrev_b64 v[2:3], v6, v[20:21]
	v_mov_b32_e32 v23, v3
	v_mov_b32_e32 v22, v2
	s_and_saveexec_b64 s[38:39], s[28:29]
; %bb.1072:                             ;   in Loop: Header=BB6_356 Depth=4
	v_bfe_u32 v1, v2, 20, 1
	v_add_co_u32_e64 v1, s[28:29], v2, v1
	v_add_co_u32_e64 v22, s[28:29], -1, v1
; %bb.1073:                             ;   in Loop: Header=BB6_356 Depth=4
	s_or_b64 exec, exec, s[38:39]
	v_add_u32_e32 v1, 0xffffff81, v4
	v_mov_b32_e32 v3, 0xffffff82
	v_cndmask_b32_e32 v1, v1, v3, vcc
	v_lshrrev_b32_e32 v3, 23, v2
	v_add3_u32 v6, v6, v1, v3
	v_add_u32_e32 v4, 6, v6
	v_and_b32_e32 v1, 0xfffff, v22
	v_add_u32_e32 v20, v1, v2
	v_cmp_ne_u32_e32 vcc, 0, v4
                                        ; implicit-def: $vgpr2_vgpr3
                                        ; implicit-def: $vgpr1
	s_and_saveexec_b64 s[28:29], vcc
	s_xor_b64 s[28:29], exec, s[28:29]
; %bb.1074:                             ;   in Loop: Header=BB6_356 Depth=4
	v_cmp_lt_u64_e32 vcc, s[88:89], v[20:21]
	v_add_u32_e32 v1, 7, v6
	v_cndmask_b32_e64 v2, 0, 1, vcc
	v_lshrrev_b64 v[2:3], v2, v[20:21]
	v_cndmask_b32_e32 v1, v4, v1, vcc
; %bb.1075:                             ;   in Loop: Header=BB6_356 Depth=4
	s_andn2_saveexec_b64 s[28:29], s[28:29]
; %bb.1076:                             ;   in Loop: Header=BB6_356 Depth=4
	v_mov_b32_e32 v2, v20
	v_bfe_u32 v1, v20, 23, 1
	v_mov_b32_e32 v3, v21
; %bb.1077:                             ;   in Loop: Header=BB6_356 Depth=4
	s_or_b64 exec, exec, s[28:29]
	v_lshrrev_b64 v[2:3], 20, v[2:3]
	v_cmp_gt_i32_e32 vcc, 16, v1
	v_cndmask_b32_e32 v3, 0, v3, vcc
	v_cndmask_b32_e32 v2, 7, v2, vcc
	v_cmp_eq_u32_e32 vcc, 0, v1
	v_min_i32_e32 v1, 15, v1
	v_cmp_eq_u64_e64 s[28:29], 0, v[2:3]
	v_lshlrev_b32_e32 v1, 3, v1
	v_and_b32_e32 v1, 0xf8, v1
	v_and_or_b32 v1, v2, 7, v1
	s_and_b64 s[28:29], vcc, s[28:29]
	v_cndmask_b32_e64 v1, v1, 0, s[28:29]
	v_or_b32_e32 v54, v1, v0
.LBB6_1078:                             ;   in Loop: Header=BB6_356 Depth=4
	s_or_b64 exec, exec, s[36:37]
                                        ; implicit-def: $vgpr0
.LBB6_1079:                             ;   in Loop: Header=BB6_356 Depth=4
	s_andn2_saveexec_b64 s[28:29], s[34:35]
; %bb.1080:                             ;   in Loop: Header=BB6_356 Depth=4
	v_or_b32_e32 v54, 0x7e, v0
; %bb.1081:                             ;   in Loop: Header=BB6_356 Depth=4
	s_or_b64 exec, exec, s[28:29]
                                        ; implicit-def: $vgpr2
.LBB6_1082:                             ;   in Loop: Header=BB6_356 Depth=4
	s_andn2_saveexec_b64 s[28:29], s[30:31]
; %bb.1083:                             ;   in Loop: Header=BB6_356 Depth=4
	v_or_b32_sdwa v54, v2, s81 dst_sel:DWORD dst_unused:UNUSED_PAD src0_sel:BYTE_3 src1_sel:DWORD
; %bb.1084:                             ;   in Loop: Header=BB6_356 Depth=4
	s_or_b64 exec, exec, s[28:29]
	v_lshrrev_b32_e32 v2, 16, v34
	v_cmp_ne_u16_sdwa vcc, v2, v21 src0_sel:BYTE_0 src1_sel:DWORD
	v_mov_b32_e32 v0, 0
	v_mov_b32_e32 v3, 0
	s_and_saveexec_b64 s[28:29], vcc
	s_cbranch_execz .LBB6_1090
; %bb.1085:                             ;   in Loop: Header=BB6_356 Depth=4
	v_cmp_ne_u16_sdwa vcc, v2, s80 src0_sel:BYTE_0 src1_sel:DWORD
	v_bfrev_b32_e32 v3, 1
	s_and_saveexec_b64 s[30:31], vcc
	s_cbranch_execz .LBB6_1089
; %bb.1086:                             ;   in Loop: Header=BB6_356 Depth=4
	v_bfe_u32 v1, v34, 16, 7
	v_cmp_ne_u32_e32 vcc, s81, v1
	v_mov_b32_e32 v3, 0x7f800001
	s_and_saveexec_b64 s[34:35], vcc
	s_cbranch_execz .LBB6_1088
; %bb.1087:                             ;   in Loop: Header=BB6_356 Depth=4
	v_and_b32_e32 v6, 7, v2
	v_lshrrev_b32_e32 v7, 3, v1
	v_cmp_gt_u32_e32 vcc, 8, v1
	v_ffbh_u32_e32 v1, v6
	v_min_u32_e32 v1, 32, v1
	v_subrev_u32_e32 v3, 28, v1
	v_lshlrev_b64 v[3:4], v3, v[2:3]
	v_sub_u32_e32 v1, 29, v1
	v_and_b32_e32 v3, 7, v3
	v_cndmask_b32_e32 v1, v7, v1, vcc
	v_cndmask_b32_e32 v3, v6, v3, vcc
	v_lshlrev_b32_e32 v2, 24, v2
	v_bfrev_b32_e32 v4, 60
	v_lshlrev_b32_e32 v3, 20, v3
	v_and_b32_e32 v2, 0x80000000, v2
	v_lshl_add_u32 v1, v1, 23, v4
	v_or3_b32 v3, v2, v1, v3
.LBB6_1088:                             ;   in Loop: Header=BB6_356 Depth=4
	s_or_b64 exec, exec, s[34:35]
.LBB6_1089:                             ;   in Loop: Header=BB6_356 Depth=4
	s_or_b64 exec, exec, s[30:31]
.LBB6_1090:                             ;   in Loop: Header=BB6_356 Depth=4
	s_or_b64 exec, exec, s[28:29]
	v_lshrrev_b32_e32 v2, 16, v26
	v_cmp_ne_u16_sdwa vcc, v2, v21 src0_sel:BYTE_0 src1_sel:DWORD
	s_and_saveexec_b64 s[28:29], vcc
	s_cbranch_execz .LBB6_1096
; %bb.1091:                             ;   in Loop: Header=BB6_356 Depth=4
	v_cmp_ne_u16_sdwa vcc, v2, s80 src0_sel:BYTE_0 src1_sel:DWORD
	v_bfrev_b32_e32 v0, 1
	s_and_saveexec_b64 s[30:31], vcc
	s_cbranch_execz .LBB6_1095
; %bb.1092:                             ;   in Loop: Header=BB6_356 Depth=4
	v_bfe_u32 v1, v26, 16, 7
	v_cmp_ne_u32_e32 vcc, s81, v1
	v_mov_b32_e32 v0, 0x7f800001
	s_and_saveexec_b64 s[34:35], vcc
	s_cbranch_execz .LBB6_1094
; %bb.1093:                             ;   in Loop: Header=BB6_356 Depth=4
	v_and_b32_e32 v4, 7, v2
	v_ffbh_u32_e32 v0, v4
	v_min_u32_e32 v7, 32, v0
	v_subrev_u32_e32 v0, 28, v7
	v_lshrrev_b32_e32 v6, 3, v1
	v_cmp_gt_u32_e32 vcc, 8, v1
	v_lshlrev_b64 v[0:1], v0, v[2:3]
	v_sub_u32_e32 v1, 29, v7
	v_and_b32_e32 v0, 7, v0
	v_cndmask_b32_e32 v1, v6, v1, vcc
	v_cndmask_b32_e32 v0, v4, v0, vcc
	v_lshlrev_b32_e32 v2, 8, v26
	v_bfrev_b32_e32 v4, 60
	v_lshlrev_b32_e32 v0, 20, v0
	v_and_b32_e32 v2, 0x80000000, v2
	v_lshl_add_u32 v1, v1, 23, v4
	v_or3_b32 v0, v2, v1, v0
.LBB6_1094:                             ;   in Loop: Header=BB6_356 Depth=4
	s_or_b64 exec, exec, s[34:35]
.LBB6_1095:                             ;   in Loop: Header=BB6_356 Depth=4
	s_or_b64 exec, exec, s[30:31]
.LBB6_1096:                             ;   in Loop: Header=BB6_356 Depth=4
	s_or_b64 exec, exec, s[28:29]
	v_mul_f32_e32 v2, v3, v0
	v_and_b32_e32 v20, 0x7f800000, v2
	v_cmp_ne_u64_e32 vcc, s[62:63], v[20:21]
                                        ; implicit-def: $vgpr29
	s_and_saveexec_b64 s[28:29], vcc
	s_xor_b64 s[30:31], exec, s[28:29]
	s_cbranch_execz .LBB6_1110
; %bb.1097:                             ;   in Loop: Header=BB6_356 Depth=4
	v_and_b32_e32 v20, 0x7fffffff, v2
	v_cmp_gt_u64_e32 vcc, s[78:79], v[20:21]
	v_and_b32_sdwa v0, v2, s80 dst_sel:DWORD dst_unused:UNUSED_PAD src0_sel:BYTE_3 src1_sel:DWORD
                                        ; implicit-def: $vgpr29
	s_and_saveexec_b64 s[28:29], vcc
	s_xor_b64 s[34:35], exec, s[28:29]
	s_cbranch_execz .LBB6_1107
; %bb.1098:                             ;   in Loop: Header=BB6_356 Depth=4
	v_mov_b32_e32 v29, 0
	v_cmp_ne_u32_e32 vcc, 0, v2
	s_and_saveexec_b64 s[36:37], vcc
	s_cbranch_execz .LBB6_1106
; %bb.1099:                             ;   in Loop: Header=BB6_356 Depth=4
	v_bfe_u32 v4, v2, 23, 8
	v_and_b32_e32 v1, 0x7fffff, v2
	v_cmp_gt_u32_e64 s[28:29], s47, v4
	v_sub_u32_e32 v2, 0x79, v4
	v_cmp_eq_u32_e32 vcc, 0, v4
	v_cndmask_b32_e64 v2, 0, v2, s[28:29]
	v_mov_b32_e32 v6, 0x78
	v_or_b32_e32 v3, 0x800000, v1
	v_cndmask_b32_e32 v6, v2, v6, vcc
	v_cndmask_b32_e32 v20, v3, v1, vcc
	v_add_u32_e32 v1, 20, v6
	v_lshlrev_b64 v[1:2], v1, -1
	v_add_u32_e32 v3, 19, v6
	v_lshlrev_b64 v[22:23], v3, 1
	v_bfi_b32 v2, v2, 0, 0
	v_bfi_b32 v1, v1, 0, v20
	v_cmp_eq_u64_e64 s[28:29], v[1:2], v[22:23]
	v_lshrrev_b64 v[2:3], v6, v[20:21]
	v_mov_b32_e32 v23, v3
	v_mov_b32_e32 v22, v2
	s_and_saveexec_b64 s[38:39], s[28:29]
; %bb.1100:                             ;   in Loop: Header=BB6_356 Depth=4
	v_bfe_u32 v1, v2, 20, 1
	v_add_co_u32_e64 v1, s[28:29], v2, v1
	v_add_co_u32_e64 v22, s[28:29], -1, v1
; %bb.1101:                             ;   in Loop: Header=BB6_356 Depth=4
	s_or_b64 exec, exec, s[38:39]
	v_add_u32_e32 v1, 0xffffff81, v4
	v_mov_b32_e32 v3, 0xffffff82
	v_cndmask_b32_e32 v1, v1, v3, vcc
	v_lshrrev_b32_e32 v3, 23, v2
	v_add3_u32 v6, v6, v1, v3
	v_add_u32_e32 v4, 6, v6
	v_and_b32_e32 v1, 0xfffff, v22
	v_add_u32_e32 v20, v1, v2
	v_cmp_ne_u32_e32 vcc, 0, v4
                                        ; implicit-def: $vgpr2_vgpr3
                                        ; implicit-def: $vgpr1
	s_and_saveexec_b64 s[28:29], vcc
	s_xor_b64 s[28:29], exec, s[28:29]
; %bb.1102:                             ;   in Loop: Header=BB6_356 Depth=4
	v_cmp_lt_u64_e32 vcc, s[88:89], v[20:21]
	v_add_u32_e32 v1, 7, v6
	v_cndmask_b32_e64 v2, 0, 1, vcc
	v_lshrrev_b64 v[2:3], v2, v[20:21]
	v_cndmask_b32_e32 v1, v4, v1, vcc
; %bb.1103:                             ;   in Loop: Header=BB6_356 Depth=4
	s_andn2_saveexec_b64 s[28:29], s[28:29]
; %bb.1104:                             ;   in Loop: Header=BB6_356 Depth=4
	v_mov_b32_e32 v2, v20
	v_bfe_u32 v1, v20, 23, 1
	v_mov_b32_e32 v3, v21
; %bb.1105:                             ;   in Loop: Header=BB6_356 Depth=4
	s_or_b64 exec, exec, s[28:29]
	v_lshrrev_b64 v[2:3], 20, v[2:3]
	v_cmp_gt_i32_e32 vcc, 16, v1
	v_cndmask_b32_e32 v3, 0, v3, vcc
	v_cndmask_b32_e32 v2, 7, v2, vcc
	v_cmp_eq_u32_e32 vcc, 0, v1
	v_min_i32_e32 v1, 15, v1
	v_cmp_eq_u64_e64 s[28:29], 0, v[2:3]
	v_lshlrev_b32_e32 v1, 3, v1
	v_and_b32_e32 v1, 0xf8, v1
	v_and_or_b32 v1, v2, 7, v1
	s_and_b64 s[28:29], vcc, s[28:29]
	v_cndmask_b32_e64 v1, v1, 0, s[28:29]
	v_or_b32_e32 v29, v1, v0
.LBB6_1106:                             ;   in Loop: Header=BB6_356 Depth=4
	s_or_b64 exec, exec, s[36:37]
                                        ; implicit-def: $vgpr0
.LBB6_1107:                             ;   in Loop: Header=BB6_356 Depth=4
	s_andn2_saveexec_b64 s[28:29], s[34:35]
; %bb.1108:                             ;   in Loop: Header=BB6_356 Depth=4
	v_or_b32_e32 v29, 0x7e, v0
; %bb.1109:                             ;   in Loop: Header=BB6_356 Depth=4
	s_or_b64 exec, exec, s[28:29]
                                        ; implicit-def: $vgpr2
.LBB6_1110:                             ;   in Loop: Header=BB6_356 Depth=4
	s_andn2_saveexec_b64 s[28:29], s[30:31]
; %bb.1111:                             ;   in Loop: Header=BB6_356 Depth=4
	v_or_b32_sdwa v29, v2, s81 dst_sel:DWORD dst_unused:UNUSED_PAD src0_sel:BYTE_3 src1_sel:DWORD
; %bb.1112:                             ;   in Loop: Header=BB6_356 Depth=4
	s_or_b64 exec, exec, s[28:29]
	v_cmp_lt_u32_e32 vcc, s57, v34
	v_mov_b32_e32 v0, 0
	v_mov_b32_e32 v3, 0
	s_and_saveexec_b64 s[28:29], vcc
	s_cbranch_execz .LBB6_1118
; %bb.1113:                             ;   in Loop: Header=BB6_356 Depth=4
	v_lshrrev_b32_e32 v2, 24, v34
	v_cmp_ne_u32_e32 vcc, s80, v2
	v_bfrev_b32_e32 v3, 1
	s_and_saveexec_b64 s[30:31], vcc
	s_cbranch_execz .LBB6_1117
; %bb.1114:                             ;   in Loop: Header=BB6_356 Depth=4
	v_bfe_u32 v1, v34, 24, 7
	v_cmp_ne_u32_e32 vcc, s81, v1
	v_mov_b32_e32 v3, 0x7f800001
	s_and_saveexec_b64 s[34:35], vcc
	s_cbranch_execz .LBB6_1116
; %bb.1115:                             ;   in Loop: Header=BB6_356 Depth=4
	v_and_b32_e32 v6, 7, v2
	v_lshrrev_b32_e32 v7, 3, v1
	v_cmp_gt_u32_e32 vcc, 8, v1
	v_ffbh_u32_e32 v1, v6
	v_min_u32_e32 v1, 32, v1
	v_subrev_u32_e32 v3, 28, v1
	v_lshlrev_b64 v[3:4], v3, v[2:3]
	v_sub_u32_e32 v1, 29, v1
	v_and_b32_e32 v3, 7, v3
	v_cndmask_b32_e32 v1, v7, v1, vcc
	v_cndmask_b32_e32 v3, v6, v3, vcc
	v_lshlrev_b32_e32 v2, 24, v2
	v_bfrev_b32_e32 v4, 60
	v_lshlrev_b32_e32 v3, 20, v3
	v_and_b32_e32 v2, 0x80000000, v2
	v_lshl_add_u32 v1, v1, 23, v4
	v_or3_b32 v3, v2, v1, v3
.LBB6_1116:                             ;   in Loop: Header=BB6_356 Depth=4
	s_or_b64 exec, exec, s[34:35]
.LBB6_1117:                             ;   in Loop: Header=BB6_356 Depth=4
	s_or_b64 exec, exec, s[30:31]
.LBB6_1118:                             ;   in Loop: Header=BB6_356 Depth=4
	s_or_b64 exec, exec, s[28:29]
	v_cmp_lt_u32_e32 vcc, s57, v26
	s_and_saveexec_b64 s[28:29], vcc
	s_cbranch_execz .LBB6_1124
; %bb.1119:                             ;   in Loop: Header=BB6_356 Depth=4
	v_lshrrev_b32_e32 v2, 24, v26
	v_cmp_ne_u32_e32 vcc, s80, v2
	v_bfrev_b32_e32 v0, 1
	s_and_saveexec_b64 s[30:31], vcc
	s_cbranch_execz .LBB6_1123
; %bb.1120:                             ;   in Loop: Header=BB6_356 Depth=4
	v_bfe_u32 v1, v26, 24, 7
	v_cmp_ne_u32_e32 vcc, s81, v1
	v_mov_b32_e32 v0, 0x7f800001
	s_and_saveexec_b64 s[34:35], vcc
	s_cbranch_execz .LBB6_1122
; %bb.1121:                             ;   in Loop: Header=BB6_356 Depth=4
	v_and_b32_e32 v4, 7, v2
	v_ffbh_u32_e32 v0, v4
	v_min_u32_e32 v7, 32, v0
	v_subrev_u32_e32 v0, 28, v7
	v_lshrrev_b32_e32 v6, 3, v1
	v_cmp_gt_u32_e32 vcc, 8, v1
	v_lshlrev_b64 v[0:1], v0, v[2:3]
	v_sub_u32_e32 v1, 29, v7
	v_and_b32_e32 v0, 7, v0
	v_cndmask_b32_e32 v1, v6, v1, vcc
	v_cndmask_b32_e32 v0, v4, v0, vcc
	v_lshlrev_b32_e32 v2, 24, v2
	v_bfrev_b32_e32 v4, 60
	v_lshlrev_b32_e32 v0, 20, v0
	v_and_b32_e32 v2, 0x80000000, v2
	v_lshl_add_u32 v1, v1, 23, v4
	v_or3_b32 v0, v2, v1, v0
.LBB6_1122:                             ;   in Loop: Header=BB6_356 Depth=4
	s_or_b64 exec, exec, s[34:35]
.LBB6_1123:                             ;   in Loop: Header=BB6_356 Depth=4
	s_or_b64 exec, exec, s[30:31]
.LBB6_1124:                             ;   in Loop: Header=BB6_356 Depth=4
	s_or_b64 exec, exec, s[28:29]
	v_mul_f32_e32 v2, v3, v0
	v_and_b32_e32 v20, 0x7f800000, v2
	v_cmp_ne_u64_e32 vcc, s[62:63], v[20:21]
                                        ; implicit-def: $vgpr55
	s_and_saveexec_b64 s[28:29], vcc
	s_xor_b64 s[30:31], exec, s[28:29]
	s_cbranch_execz .LBB6_1138
; %bb.1125:                             ;   in Loop: Header=BB6_356 Depth=4
	v_and_b32_e32 v20, 0x7fffffff, v2
	v_cmp_gt_u64_e32 vcc, s[78:79], v[20:21]
	v_and_b32_sdwa v0, v2, s80 dst_sel:DWORD dst_unused:UNUSED_PAD src0_sel:BYTE_3 src1_sel:DWORD
                                        ; implicit-def: $vgpr55
	s_and_saveexec_b64 s[28:29], vcc
	s_xor_b64 s[34:35], exec, s[28:29]
	s_cbranch_execz .LBB6_1135
; %bb.1126:                             ;   in Loop: Header=BB6_356 Depth=4
	v_mov_b32_e32 v55, 0
	v_cmp_ne_u32_e32 vcc, 0, v2
	s_and_saveexec_b64 s[36:37], vcc
	s_cbranch_execz .LBB6_1134
; %bb.1127:                             ;   in Loop: Header=BB6_356 Depth=4
	v_bfe_u32 v4, v2, 23, 8
	v_and_b32_e32 v1, 0x7fffff, v2
	v_cmp_gt_u32_e64 s[28:29], s47, v4
	v_sub_u32_e32 v2, 0x79, v4
	v_cmp_eq_u32_e32 vcc, 0, v4
	v_cndmask_b32_e64 v2, 0, v2, s[28:29]
	v_mov_b32_e32 v6, 0x78
	v_or_b32_e32 v3, 0x800000, v1
	v_cndmask_b32_e32 v6, v2, v6, vcc
	v_cndmask_b32_e32 v20, v3, v1, vcc
	v_add_u32_e32 v1, 20, v6
	v_lshlrev_b64 v[1:2], v1, -1
	v_add_u32_e32 v3, 19, v6
	v_lshlrev_b64 v[22:23], v3, 1
	v_bfi_b32 v2, v2, 0, 0
	v_bfi_b32 v1, v1, 0, v20
	v_cmp_eq_u64_e64 s[28:29], v[1:2], v[22:23]
	v_lshrrev_b64 v[2:3], v6, v[20:21]
	v_mov_b32_e32 v23, v3
	v_mov_b32_e32 v22, v2
	s_and_saveexec_b64 s[38:39], s[28:29]
; %bb.1128:                             ;   in Loop: Header=BB6_356 Depth=4
	v_bfe_u32 v1, v2, 20, 1
	v_add_co_u32_e64 v1, s[28:29], v2, v1
	v_add_co_u32_e64 v22, s[28:29], -1, v1
; %bb.1129:                             ;   in Loop: Header=BB6_356 Depth=4
	s_or_b64 exec, exec, s[38:39]
	v_add_u32_e32 v1, 0xffffff81, v4
	v_mov_b32_e32 v3, 0xffffff82
	v_cndmask_b32_e32 v1, v1, v3, vcc
	v_lshrrev_b32_e32 v3, 23, v2
	v_add3_u32 v6, v6, v1, v3
	v_add_u32_e32 v4, 6, v6
	v_and_b32_e32 v1, 0xfffff, v22
	v_add_u32_e32 v20, v1, v2
	v_cmp_ne_u32_e32 vcc, 0, v4
                                        ; implicit-def: $vgpr2_vgpr3
                                        ; implicit-def: $vgpr1
	s_and_saveexec_b64 s[28:29], vcc
	s_xor_b64 s[28:29], exec, s[28:29]
; %bb.1130:                             ;   in Loop: Header=BB6_356 Depth=4
	v_cmp_lt_u64_e32 vcc, s[88:89], v[20:21]
	v_add_u32_e32 v1, 7, v6
	v_cndmask_b32_e64 v2, 0, 1, vcc
	v_lshrrev_b64 v[2:3], v2, v[20:21]
	v_cndmask_b32_e32 v1, v4, v1, vcc
; %bb.1131:                             ;   in Loop: Header=BB6_356 Depth=4
	s_andn2_saveexec_b64 s[28:29], s[28:29]
; %bb.1132:                             ;   in Loop: Header=BB6_356 Depth=4
	v_mov_b32_e32 v2, v20
	v_bfe_u32 v1, v20, 23, 1
	v_mov_b32_e32 v3, v21
; %bb.1133:                             ;   in Loop: Header=BB6_356 Depth=4
	s_or_b64 exec, exec, s[28:29]
	v_lshrrev_b64 v[2:3], 20, v[2:3]
	v_cmp_gt_i32_e32 vcc, 16, v1
	v_cndmask_b32_e32 v3, 0, v3, vcc
	v_cndmask_b32_e32 v2, 7, v2, vcc
	v_cmp_eq_u32_e32 vcc, 0, v1
	v_min_i32_e32 v1, 15, v1
	v_cmp_eq_u64_e64 s[28:29], 0, v[2:3]
	v_lshlrev_b32_e32 v1, 3, v1
	v_and_b32_e32 v1, 0xf8, v1
	v_and_or_b32 v1, v2, 7, v1
	s_and_b64 s[28:29], vcc, s[28:29]
	v_cndmask_b32_e64 v1, v1, 0, s[28:29]
	v_or_b32_e32 v55, v1, v0
.LBB6_1134:                             ;   in Loop: Header=BB6_356 Depth=4
	s_or_b64 exec, exec, s[36:37]
                                        ; implicit-def: $vgpr0
.LBB6_1135:                             ;   in Loop: Header=BB6_356 Depth=4
	s_andn2_saveexec_b64 s[28:29], s[34:35]
; %bb.1136:                             ;   in Loop: Header=BB6_356 Depth=4
	v_or_b32_e32 v55, 0x7e, v0
; %bb.1137:                             ;   in Loop: Header=BB6_356 Depth=4
	s_or_b64 exec, exec, s[28:29]
                                        ; implicit-def: $vgpr2
.LBB6_1138:                             ;   in Loop: Header=BB6_356 Depth=4
	s_andn2_saveexec_b64 s[28:29], s[30:31]
; %bb.1139:                             ;   in Loop: Header=BB6_356 Depth=4
	v_or_b32_sdwa v55, v2, s81 dst_sel:DWORD dst_unused:UNUSED_PAD src0_sel:BYTE_3 src1_sel:DWORD
; %bb.1140:                             ;   in Loop: Header=BB6_356 Depth=4
	s_or_b64 exec, exec, s[28:29]
	v_mov_b32_e32 v20, v35
	v_cmp_ne_u16_sdwa vcc, v35, v21 src0_sel:BYTE_0 src1_sel:DWORD
	v_mov_b32_e32 v2, 0
	v_mov_b32_e32 v0, 0
	s_and_saveexec_b64 s[28:29], vcc
	s_cbranch_execz .LBB6_1146
; %bb.1141:                             ;   in Loop: Header=BB6_356 Depth=4
	v_cmp_ne_u16_sdwa vcc, v35, s80 src0_sel:BYTE_0 src1_sel:DWORD
	v_bfrev_b32_e32 v0, 1
	s_and_saveexec_b64 s[30:31], vcc
	s_cbranch_execz .LBB6_1145
; %bb.1142:                             ;   in Loop: Header=BB6_356 Depth=4
	v_and_b32_e32 v1, 0x7f, v35
	v_cmp_ne_u32_e32 vcc, s81, v1
	v_mov_b32_e32 v0, 0x7f800001
	s_and_saveexec_b64 s[34:35], vcc
	s_cbranch_execz .LBB6_1144
; %bb.1143:                             ;   in Loop: Header=BB6_356 Depth=4
	v_and_b32_e32 v0, 7, v35
	v_ffbh_u32_e32 v0, v0
	v_min_u32_e32 v0, 32, v0
	v_lshrrev_b32_e32 v3, 3, v1
	v_cmp_gt_u32_e32 vcc, 8, v1
	v_subrev_u32_e32 v1, 28, v0
	v_sub_u32_e32 v0, 29, v0
	v_cndmask_b32_e32 v3, v3, v0, vcc
	v_cndmask_b32_e32 v0, 0, v1, vcc
	v_lshlrev_b64 v[0:1], v0, v[20:21]
	v_lshlrev_b32_e32 v1, 24, v20
	v_lshlrev_b32_e32 v0, 20, v0
	v_bfrev_b32_e32 v4, 60
	v_and_b32_e32 v0, 0x700000, v0
	v_and_b32_e32 v1, 0x80000000, v1
	v_lshl_add_u32 v3, v3, 23, v4
	v_or3_b32 v0, v1, v3, v0
.LBB6_1144:                             ;   in Loop: Header=BB6_356 Depth=4
	s_or_b64 exec, exec, s[34:35]
.LBB6_1145:                             ;   in Loop: Header=BB6_356 Depth=4
	s_or_b64 exec, exec, s[30:31]
.LBB6_1146:                             ;   in Loop: Header=BB6_356 Depth=4
	s_or_b64 exec, exec, s[28:29]
	v_cmp_ne_u16_sdwa vcc, v27, v21 src0_sel:BYTE_0 src1_sel:DWORD
	s_and_saveexec_b64 s[28:29], vcc
	s_cbranch_execz .LBB6_1152
; %bb.1147:                             ;   in Loop: Header=BB6_356 Depth=4
	v_cmp_ne_u16_sdwa vcc, v27, s80 src0_sel:BYTE_0 src1_sel:DWORD
	v_bfrev_b32_e32 v2, 1
	s_and_saveexec_b64 s[30:31], vcc
	s_cbranch_execz .LBB6_1151
; %bb.1148:                             ;   in Loop: Header=BB6_356 Depth=4
	v_and_b32_e32 v1, 0x7f, v27
	v_cmp_ne_u32_e32 vcc, s81, v1
	v_mov_b32_e32 v2, 0x7f800001
	s_and_saveexec_b64 s[34:35], vcc
	s_cbranch_execz .LBB6_1150
; %bb.1149:                             ;   in Loop: Header=BB6_356 Depth=4
	v_and_b32_e32 v4, 7, v27
	v_lshrrev_b32_e32 v6, 3, v1
	v_cmp_gt_u32_e32 vcc, 8, v1
	v_ffbh_u32_e32 v1, v4
	v_min_u32_e32 v1, 32, v1
	v_subrev_u32_e32 v4, 28, v1
	v_mov_b32_e32 v2, v27
	v_mov_b32_e32 v3, v21
	v_cndmask_b32_e32 v4, 0, v4, vcc
	v_lshlrev_b64 v[3:4], v4, v[2:3]
	v_sub_u32_e32 v1, 29, v1
	v_cndmask_b32_e32 v1, v6, v1, vcc
	v_lshlrev_b32_e32 v3, 20, v3
	v_lshlrev_b32_e32 v2, 24, v2
	v_bfrev_b32_e32 v4, 60
	v_and_b32_e32 v3, 0x700000, v3
	v_and_b32_e32 v2, 0x80000000, v2
	v_lshl_add_u32 v1, v1, 23, v4
	v_or3_b32 v2, v2, v1, v3
.LBB6_1150:                             ;   in Loop: Header=BB6_356 Depth=4
	s_or_b64 exec, exec, s[34:35]
.LBB6_1151:                             ;   in Loop: Header=BB6_356 Depth=4
	s_or_b64 exec, exec, s[30:31]
.LBB6_1152:                             ;   in Loop: Header=BB6_356 Depth=4
	s_or_b64 exec, exec, s[28:29]
	v_mul_f32_e32 v2, v0, v2
	v_and_b32_e32 v0, 0x7f800000, v2
	v_mov_b32_e32 v1, v21
	v_cmp_ne_u64_e32 vcc, s[62:63], v[0:1]
                                        ; implicit-def: $vgpr56
	s_and_saveexec_b64 s[28:29], vcc
	s_xor_b64 s[30:31], exec, s[28:29]
	s_cbranch_execz .LBB6_1166
; %bb.1153:                             ;   in Loop: Header=BB6_356 Depth=4
	v_and_b32_e32 v0, 0x7fffffff, v2
	v_mov_b32_e32 v1, v21
	v_cmp_gt_u64_e32 vcc, s[78:79], v[0:1]
	v_and_b32_sdwa v0, v2, s80 dst_sel:DWORD dst_unused:UNUSED_PAD src0_sel:BYTE_3 src1_sel:DWORD
                                        ; implicit-def: $vgpr56
	s_and_saveexec_b64 s[28:29], vcc
	s_xor_b64 s[34:35], exec, s[28:29]
	s_cbranch_execz .LBB6_1163
; %bb.1154:                             ;   in Loop: Header=BB6_356 Depth=4
	v_mov_b32_e32 v56, 0
	v_cmp_ne_u32_e32 vcc, 0, v2
	s_and_saveexec_b64 s[36:37], vcc
	s_cbranch_execz .LBB6_1162
; %bb.1155:                             ;   in Loop: Header=BB6_356 Depth=4
	v_bfe_u32 v4, v2, 23, 8
	v_and_b32_e32 v1, 0x7fffff, v2
	v_cmp_gt_u32_e64 s[28:29], s47, v4
	v_sub_u32_e32 v2, 0x79, v4
	v_cmp_eq_u32_e32 vcc, 0, v4
	v_cndmask_b32_e64 v2, 0, v2, s[28:29]
	v_mov_b32_e32 v6, 0x78
	v_or_b32_e32 v3, 0x800000, v1
	v_cndmask_b32_e32 v6, v2, v6, vcc
	v_cndmask_b32_e32 v1, v3, v1, vcc
	v_add_u32_e32 v3, 20, v6
	v_mov_b32_e32 v2, v21
	v_lshlrev_b64 v[22:23], v3, -1
	v_add_u32_e32 v3, 19, v6
	v_lshlrev_b64 v[24:25], v3, 1
	v_lshrrev_b64 v[2:3], v6, v[1:2]
	v_bfi_b32 v23, v23, 0, 0
	v_bfi_b32 v22, v22, 0, v1
	v_cmp_eq_u64_e64 s[28:29], v[22:23], v[24:25]
	v_mov_b32_e32 v23, v3
	v_mov_b32_e32 v22, v2
	s_and_saveexec_b64 s[38:39], s[28:29]
; %bb.1156:                             ;   in Loop: Header=BB6_356 Depth=4
	v_bfe_u32 v1, v2, 20, 1
	v_add_co_u32_e64 v1, s[28:29], v2, v1
	v_add_co_u32_e64 v22, s[28:29], -1, v1
; %bb.1157:                             ;   in Loop: Header=BB6_356 Depth=4
	s_or_b64 exec, exec, s[38:39]
	v_add_u32_e32 v1, 0xffffff81, v4
	v_mov_b32_e32 v3, 0xffffff82
	v_cndmask_b32_e32 v1, v1, v3, vcc
	v_lshrrev_b32_e32 v3, 23, v2
	v_add3_u32 v6, v6, v1, v3
	v_add_u32_e32 v4, 6, v6
	v_and_b32_e32 v1, 0xfffff, v22
	v_add_u32_e32 v2, v1, v2
	v_mov_b32_e32 v3, v21
	v_cmp_ne_u32_e32 vcc, 0, v4
                                        ; implicit-def: $vgpr1
	s_and_saveexec_b64 s[28:29], vcc
	s_xor_b64 s[28:29], exec, s[28:29]
; %bb.1158:                             ;   in Loop: Header=BB6_356 Depth=4
	v_cmp_lt_u64_e32 vcc, s[88:89], v[2:3]
	v_add_u32_e32 v1, 7, v6
	v_cndmask_b32_e32 v1, v4, v1, vcc
	v_cndmask_b32_e64 v4, 0, 1, vcc
	v_lshrrev_b64 v[2:3], v4, v[2:3]
; %bb.1159:                             ;   in Loop: Header=BB6_356 Depth=4
	s_andn2_saveexec_b64 s[28:29], s[28:29]
; %bb.1160:                             ;   in Loop: Header=BB6_356 Depth=4
	v_bfe_u32 v1, v2, 23, 1
; %bb.1161:                             ;   in Loop: Header=BB6_356 Depth=4
	s_or_b64 exec, exec, s[28:29]
	v_lshrrev_b64 v[2:3], 20, v[2:3]
	v_cmp_gt_i32_e32 vcc, 16, v1
	v_cndmask_b32_e32 v3, 0, v3, vcc
	v_cndmask_b32_e32 v2, 7, v2, vcc
	v_cmp_eq_u32_e32 vcc, 0, v1
	v_min_i32_e32 v1, 15, v1
	v_cmp_eq_u64_e64 s[28:29], 0, v[2:3]
	v_lshlrev_b32_e32 v1, 3, v1
	v_and_b32_e32 v1, 0xf8, v1
	v_and_or_b32 v1, v2, 7, v1
	s_and_b64 s[28:29], vcc, s[28:29]
	v_cndmask_b32_e64 v1, v1, 0, s[28:29]
	v_or_b32_e32 v56, v1, v0
.LBB6_1162:                             ;   in Loop: Header=BB6_356 Depth=4
	s_or_b64 exec, exec, s[36:37]
                                        ; implicit-def: $vgpr0
.LBB6_1163:                             ;   in Loop: Header=BB6_356 Depth=4
	s_andn2_saveexec_b64 s[28:29], s[34:35]
; %bb.1164:                             ;   in Loop: Header=BB6_356 Depth=4
	v_or_b32_e32 v56, 0x7e, v0
; %bb.1165:                             ;   in Loop: Header=BB6_356 Depth=4
	s_or_b64 exec, exec, s[28:29]
                                        ; implicit-def: $vgpr2
.LBB6_1166:                             ;   in Loop: Header=BB6_356 Depth=4
	s_andn2_saveexec_b64 s[28:29], s[30:31]
; %bb.1167:                             ;   in Loop: Header=BB6_356 Depth=4
	v_or_b32_sdwa v56, v2, s81 dst_sel:DWORD dst_unused:UNUSED_PAD src0_sel:BYTE_3 src1_sel:DWORD
; %bb.1168:                             ;   in Loop: Header=BB6_356 Depth=4
	s_or_b64 exec, exec, s[28:29]
	v_lshrrev_b16_e32 v2, 8, v20
	v_cmp_ne_u16_e32 vcc, 0, v2
	v_mov_b32_e32 v0, 0
	v_mov_b32_e32 v3, 0
	s_and_saveexec_b64 s[28:29], vcc
	s_cbranch_execz .LBB6_1174
; %bb.1169:                             ;   in Loop: Header=BB6_356 Depth=4
	v_cmp_ne_u16_e32 vcc, s80, v2
	v_bfrev_b32_e32 v3, 1
	s_and_saveexec_b64 s[30:31], vcc
	s_cbranch_execz .LBB6_1173
; %bb.1170:                             ;   in Loop: Header=BB6_356 Depth=4
	v_and_b32_e32 v1, 0x7f, v2
	v_cmp_ne_u32_e32 vcc, s81, v1
	v_mov_b32_e32 v3, 0x7f800001
	s_and_saveexec_b64 s[34:35], vcc
	s_cbranch_execz .LBB6_1172
; %bb.1171:                             ;   in Loop: Header=BB6_356 Depth=4
	v_and_b32_e32 v3, 7, v2
	v_lshrrev_b32_e32 v4, 3, v1
	v_cmp_gt_u32_e32 vcc, 8, v1
	v_ffbh_u32_e32 v1, v3
	v_min_u32_e32 v6, 32, v1
	v_subrev_u32_e32 v1, 28, v6
	v_lshlrev_b64 v[1:2], v1, v[2:3]
	v_sub_u32_e32 v2, 29, v6
	v_and_b32_e32 v1, 7, v1
	v_cndmask_b32_e32 v2, v4, v2, vcc
	v_cndmask_b32_e32 v1, v3, v1, vcc
	v_lshlrev_b32_e32 v3, 16, v20
	v_bfrev_b32_e32 v4, 60
	v_lshlrev_b32_e32 v1, 20, v1
	v_and_b32_e32 v3, 0x80000000, v3
	v_lshl_add_u32 v2, v2, 23, v4
	v_or3_b32 v3, v3, v2, v1
.LBB6_1172:                             ;   in Loop: Header=BB6_356 Depth=4
	s_or_b64 exec, exec, s[34:35]
.LBB6_1173:                             ;   in Loop: Header=BB6_356 Depth=4
	s_or_b64 exec, exec, s[30:31]
.LBB6_1174:                             ;   in Loop: Header=BB6_356 Depth=4
	s_or_b64 exec, exec, s[28:29]
	v_lshrrev_b16_e32 v2, 8, v27
	v_cmp_ne_u16_e32 vcc, 0, v2
	s_and_saveexec_b64 s[28:29], vcc
	s_cbranch_execz .LBB6_1180
; %bb.1175:                             ;   in Loop: Header=BB6_356 Depth=4
	v_cmp_ne_u16_e32 vcc, s80, v2
	v_bfrev_b32_e32 v0, 1
	s_and_saveexec_b64 s[30:31], vcc
	s_cbranch_execz .LBB6_1179
; %bb.1176:                             ;   in Loop: Header=BB6_356 Depth=4
	v_and_b32_e32 v1, 0x7f, v2
	v_cmp_ne_u32_e32 vcc, s81, v1
	v_mov_b32_e32 v0, 0x7f800001
	s_and_saveexec_b64 s[34:35], vcc
	s_cbranch_execz .LBB6_1178
; %bb.1177:                             ;   in Loop: Header=BB6_356 Depth=4
	v_and_b32_e32 v4, 7, v2
	v_ffbh_u32_e32 v0, v4
	v_min_u32_e32 v7, 32, v0
	v_subrev_u32_e32 v0, 28, v7
	v_lshrrev_b32_e32 v6, 3, v1
	v_cmp_gt_u32_e32 vcc, 8, v1
	v_lshlrev_b64 v[0:1], v0, v[2:3]
	v_sub_u32_e32 v1, 29, v7
	v_and_b32_e32 v0, 7, v0
	v_cndmask_b32_e32 v1, v6, v1, vcc
	v_cndmask_b32_e32 v0, v4, v0, vcc
	v_lshlrev_b32_e32 v2, 16, v27
	v_bfrev_b32_e32 v4, 60
	v_lshlrev_b32_e32 v0, 20, v0
	v_and_b32_e32 v2, 0x80000000, v2
	v_lshl_add_u32 v1, v1, 23, v4
	v_or3_b32 v0, v2, v1, v0
.LBB6_1178:                             ;   in Loop: Header=BB6_356 Depth=4
	s_or_b64 exec, exec, s[34:35]
.LBB6_1179:                             ;   in Loop: Header=BB6_356 Depth=4
	s_or_b64 exec, exec, s[30:31]
.LBB6_1180:                             ;   in Loop: Header=BB6_356 Depth=4
	s_or_b64 exec, exec, s[28:29]
	v_mul_f32_e32 v2, v3, v0
	v_and_b32_e32 v20, 0x7f800000, v2
	v_cmp_ne_u64_e32 vcc, s[62:63], v[20:21]
                                        ; implicit-def: $vgpr36
	s_and_saveexec_b64 s[28:29], vcc
	s_xor_b64 s[30:31], exec, s[28:29]
	s_cbranch_execz .LBB6_1194
; %bb.1181:                             ;   in Loop: Header=BB6_356 Depth=4
	v_and_b32_e32 v20, 0x7fffffff, v2
	v_cmp_gt_u64_e32 vcc, s[78:79], v[20:21]
	v_and_b32_sdwa v0, v2, s80 dst_sel:DWORD dst_unused:UNUSED_PAD src0_sel:BYTE_3 src1_sel:DWORD
                                        ; implicit-def: $vgpr36
	s_and_saveexec_b64 s[28:29], vcc
	s_xor_b64 s[34:35], exec, s[28:29]
	s_cbranch_execz .LBB6_1191
; %bb.1182:                             ;   in Loop: Header=BB6_356 Depth=4
	v_mov_b32_e32 v36, 0
	v_cmp_ne_u32_e32 vcc, 0, v2
	s_and_saveexec_b64 s[36:37], vcc
	s_cbranch_execz .LBB6_1190
; %bb.1183:                             ;   in Loop: Header=BB6_356 Depth=4
	v_bfe_u32 v4, v2, 23, 8
	v_and_b32_e32 v1, 0x7fffff, v2
	v_cmp_gt_u32_e64 s[28:29], s47, v4
	v_sub_u32_e32 v2, 0x79, v4
	v_cmp_eq_u32_e32 vcc, 0, v4
	v_cndmask_b32_e64 v2, 0, v2, s[28:29]
	v_mov_b32_e32 v6, 0x78
	v_or_b32_e32 v3, 0x800000, v1
	v_cndmask_b32_e32 v6, v2, v6, vcc
	v_cndmask_b32_e32 v20, v3, v1, vcc
	v_add_u32_e32 v1, 20, v6
	v_lshlrev_b64 v[1:2], v1, -1
	v_add_u32_e32 v3, 19, v6
	v_lshlrev_b64 v[22:23], v3, 1
	v_bfi_b32 v2, v2, 0, 0
	v_bfi_b32 v1, v1, 0, v20
	v_cmp_eq_u64_e64 s[28:29], v[1:2], v[22:23]
	v_lshrrev_b64 v[2:3], v6, v[20:21]
	v_mov_b32_e32 v23, v3
	v_mov_b32_e32 v22, v2
	s_and_saveexec_b64 s[38:39], s[28:29]
; %bb.1184:                             ;   in Loop: Header=BB6_356 Depth=4
	v_bfe_u32 v1, v2, 20, 1
	v_add_co_u32_e64 v1, s[28:29], v2, v1
	v_add_co_u32_e64 v22, s[28:29], -1, v1
; %bb.1185:                             ;   in Loop: Header=BB6_356 Depth=4
	s_or_b64 exec, exec, s[38:39]
	v_add_u32_e32 v1, 0xffffff81, v4
	v_mov_b32_e32 v3, 0xffffff82
	v_cndmask_b32_e32 v1, v1, v3, vcc
	v_lshrrev_b32_e32 v3, 23, v2
	v_add3_u32 v6, v6, v1, v3
	v_add_u32_e32 v4, 6, v6
	v_and_b32_e32 v1, 0xfffff, v22
	v_add_u32_e32 v20, v1, v2
	v_cmp_ne_u32_e32 vcc, 0, v4
                                        ; implicit-def: $vgpr2_vgpr3
                                        ; implicit-def: $vgpr1
	s_and_saveexec_b64 s[28:29], vcc
	s_xor_b64 s[28:29], exec, s[28:29]
; %bb.1186:                             ;   in Loop: Header=BB6_356 Depth=4
	v_cmp_lt_u64_e32 vcc, s[88:89], v[20:21]
	v_add_u32_e32 v1, 7, v6
	v_cndmask_b32_e64 v2, 0, 1, vcc
	v_lshrrev_b64 v[2:3], v2, v[20:21]
	v_cndmask_b32_e32 v1, v4, v1, vcc
; %bb.1187:                             ;   in Loop: Header=BB6_356 Depth=4
	s_andn2_saveexec_b64 s[28:29], s[28:29]
; %bb.1188:                             ;   in Loop: Header=BB6_356 Depth=4
	v_mov_b32_e32 v2, v20
	v_bfe_u32 v1, v20, 23, 1
	v_mov_b32_e32 v3, v21
; %bb.1189:                             ;   in Loop: Header=BB6_356 Depth=4
	s_or_b64 exec, exec, s[28:29]
	v_lshrrev_b64 v[2:3], 20, v[2:3]
	v_cmp_gt_i32_e32 vcc, 16, v1
	v_cndmask_b32_e32 v3, 0, v3, vcc
	v_cndmask_b32_e32 v2, 7, v2, vcc
	v_cmp_eq_u32_e32 vcc, 0, v1
	v_min_i32_e32 v1, 15, v1
	v_cmp_eq_u64_e64 s[28:29], 0, v[2:3]
	v_lshlrev_b32_e32 v1, 3, v1
	v_and_b32_e32 v1, 0xf8, v1
	v_and_or_b32 v1, v2, 7, v1
	s_and_b64 s[28:29], vcc, s[28:29]
	v_cndmask_b32_e64 v1, v1, 0, s[28:29]
	v_or_b32_e32 v36, v1, v0
.LBB6_1190:                             ;   in Loop: Header=BB6_356 Depth=4
	s_or_b64 exec, exec, s[36:37]
                                        ; implicit-def: $vgpr0
.LBB6_1191:                             ;   in Loop: Header=BB6_356 Depth=4
	s_andn2_saveexec_b64 s[28:29], s[34:35]
; %bb.1192:                             ;   in Loop: Header=BB6_356 Depth=4
	v_or_b32_e32 v36, 0x7e, v0
; %bb.1193:                             ;   in Loop: Header=BB6_356 Depth=4
	s_or_b64 exec, exec, s[28:29]
                                        ; implicit-def: $vgpr2
.LBB6_1194:                             ;   in Loop: Header=BB6_356 Depth=4
	s_andn2_saveexec_b64 s[28:29], s[30:31]
; %bb.1195:                             ;   in Loop: Header=BB6_356 Depth=4
	v_or_b32_sdwa v36, v2, s81 dst_sel:DWORD dst_unused:UNUSED_PAD src0_sel:BYTE_3 src1_sel:DWORD
; %bb.1196:                             ;   in Loop: Header=BB6_356 Depth=4
	s_or_b64 exec, exec, s[28:29]
	v_lshrrev_b32_e32 v2, 16, v35
	v_cmp_ne_u16_sdwa vcc, v2, v21 src0_sel:BYTE_0 src1_sel:DWORD
	v_mov_b32_e32 v0, 0
	v_mov_b32_e32 v3, 0
	s_and_saveexec_b64 s[28:29], vcc
	s_cbranch_execz .LBB6_1202
; %bb.1197:                             ;   in Loop: Header=BB6_356 Depth=4
	v_cmp_ne_u16_sdwa vcc, v2, s80 src0_sel:BYTE_0 src1_sel:DWORD
	v_bfrev_b32_e32 v3, 1
	s_and_saveexec_b64 s[30:31], vcc
	s_cbranch_execz .LBB6_1201
; %bb.1198:                             ;   in Loop: Header=BB6_356 Depth=4
	v_bfe_u32 v1, v35, 16, 7
	v_cmp_ne_u32_e32 vcc, s81, v1
	v_mov_b32_e32 v3, 0x7f800001
	s_and_saveexec_b64 s[34:35], vcc
	s_cbranch_execz .LBB6_1200
; %bb.1199:                             ;   in Loop: Header=BB6_356 Depth=4
	v_and_b32_e32 v6, 7, v2
	v_lshrrev_b32_e32 v7, 3, v1
	v_cmp_gt_u32_e32 vcc, 8, v1
	v_ffbh_u32_e32 v1, v6
	v_min_u32_e32 v1, 32, v1
	v_subrev_u32_e32 v3, 28, v1
	v_lshlrev_b64 v[3:4], v3, v[2:3]
	v_sub_u32_e32 v1, 29, v1
	v_and_b32_e32 v3, 7, v3
	v_cndmask_b32_e32 v1, v7, v1, vcc
	v_cndmask_b32_e32 v3, v6, v3, vcc
	v_lshlrev_b32_e32 v2, 24, v2
	v_bfrev_b32_e32 v4, 60
	v_lshlrev_b32_e32 v3, 20, v3
	v_and_b32_e32 v2, 0x80000000, v2
	v_lshl_add_u32 v1, v1, 23, v4
	v_or3_b32 v3, v2, v1, v3
.LBB6_1200:                             ;   in Loop: Header=BB6_356 Depth=4
	s_or_b64 exec, exec, s[34:35]
.LBB6_1201:                             ;   in Loop: Header=BB6_356 Depth=4
	s_or_b64 exec, exec, s[30:31]
.LBB6_1202:                             ;   in Loop: Header=BB6_356 Depth=4
	s_or_b64 exec, exec, s[28:29]
	v_lshrrev_b32_e32 v2, 16, v27
	v_cmp_ne_u16_sdwa vcc, v2, v21 src0_sel:BYTE_0 src1_sel:DWORD
	s_and_saveexec_b64 s[28:29], vcc
	s_cbranch_execz .LBB6_1208
; %bb.1203:                             ;   in Loop: Header=BB6_356 Depth=4
	v_cmp_ne_u16_sdwa vcc, v2, s80 src0_sel:BYTE_0 src1_sel:DWORD
	v_bfrev_b32_e32 v0, 1
	s_and_saveexec_b64 s[30:31], vcc
	s_cbranch_execz .LBB6_1207
; %bb.1204:                             ;   in Loop: Header=BB6_356 Depth=4
	v_bfe_u32 v1, v27, 16, 7
	v_cmp_ne_u32_e32 vcc, s81, v1
	v_mov_b32_e32 v0, 0x7f800001
	s_and_saveexec_b64 s[34:35], vcc
	s_cbranch_execz .LBB6_1206
; %bb.1205:                             ;   in Loop: Header=BB6_356 Depth=4
	v_and_b32_e32 v4, 7, v2
	v_ffbh_u32_e32 v0, v4
	v_min_u32_e32 v7, 32, v0
	v_subrev_u32_e32 v0, 28, v7
	v_lshrrev_b32_e32 v6, 3, v1
	v_cmp_gt_u32_e32 vcc, 8, v1
	v_lshlrev_b64 v[0:1], v0, v[2:3]
	v_sub_u32_e32 v1, 29, v7
	v_and_b32_e32 v0, 7, v0
	v_cndmask_b32_e32 v1, v6, v1, vcc
	v_cndmask_b32_e32 v0, v4, v0, vcc
	v_lshlrev_b32_e32 v2, 8, v27
	v_bfrev_b32_e32 v4, 60
	v_lshlrev_b32_e32 v0, 20, v0
	v_and_b32_e32 v2, 0x80000000, v2
	v_lshl_add_u32 v1, v1, 23, v4
	v_or3_b32 v0, v2, v1, v0
.LBB6_1206:                             ;   in Loop: Header=BB6_356 Depth=4
	s_or_b64 exec, exec, s[34:35]
.LBB6_1207:                             ;   in Loop: Header=BB6_356 Depth=4
	s_or_b64 exec, exec, s[30:31]
.LBB6_1208:                             ;   in Loop: Header=BB6_356 Depth=4
	s_or_b64 exec, exec, s[28:29]
	v_mul_f32_e32 v2, v3, v0
	v_and_b32_e32 v20, 0x7f800000, v2
	v_cmp_ne_u64_e32 vcc, s[62:63], v[20:21]
                                        ; implicit-def: $vgpr37
	s_and_saveexec_b64 s[28:29], vcc
	s_xor_b64 s[30:31], exec, s[28:29]
	s_cbranch_execz .LBB6_1222
; %bb.1209:                             ;   in Loop: Header=BB6_356 Depth=4
	v_and_b32_e32 v20, 0x7fffffff, v2
	v_cmp_gt_u64_e32 vcc, s[78:79], v[20:21]
	v_and_b32_sdwa v0, v2, s80 dst_sel:DWORD dst_unused:UNUSED_PAD src0_sel:BYTE_3 src1_sel:DWORD
                                        ; implicit-def: $vgpr37
	s_and_saveexec_b64 s[28:29], vcc
	s_xor_b64 s[34:35], exec, s[28:29]
	s_cbranch_execz .LBB6_1219
; %bb.1210:                             ;   in Loop: Header=BB6_356 Depth=4
	v_mov_b32_e32 v37, 0
	v_cmp_ne_u32_e32 vcc, 0, v2
	s_and_saveexec_b64 s[36:37], vcc
	s_cbranch_execz .LBB6_1218
; %bb.1211:                             ;   in Loop: Header=BB6_356 Depth=4
	v_bfe_u32 v4, v2, 23, 8
	v_and_b32_e32 v1, 0x7fffff, v2
	v_cmp_gt_u32_e64 s[28:29], s47, v4
	v_sub_u32_e32 v2, 0x79, v4
	v_cmp_eq_u32_e32 vcc, 0, v4
	v_cndmask_b32_e64 v2, 0, v2, s[28:29]
	v_mov_b32_e32 v6, 0x78
	v_or_b32_e32 v3, 0x800000, v1
	v_cndmask_b32_e32 v6, v2, v6, vcc
	v_cndmask_b32_e32 v20, v3, v1, vcc
	v_add_u32_e32 v1, 20, v6
	v_lshlrev_b64 v[1:2], v1, -1
	v_add_u32_e32 v3, 19, v6
	v_lshlrev_b64 v[22:23], v3, 1
	v_bfi_b32 v2, v2, 0, 0
	v_bfi_b32 v1, v1, 0, v20
	v_cmp_eq_u64_e64 s[28:29], v[1:2], v[22:23]
	v_lshrrev_b64 v[2:3], v6, v[20:21]
	v_mov_b32_e32 v23, v3
	v_mov_b32_e32 v22, v2
	s_and_saveexec_b64 s[38:39], s[28:29]
; %bb.1212:                             ;   in Loop: Header=BB6_356 Depth=4
	v_bfe_u32 v1, v2, 20, 1
	v_add_co_u32_e64 v1, s[28:29], v2, v1
	v_add_co_u32_e64 v22, s[28:29], -1, v1
; %bb.1213:                             ;   in Loop: Header=BB6_356 Depth=4
	s_or_b64 exec, exec, s[38:39]
	v_add_u32_e32 v1, 0xffffff81, v4
	v_mov_b32_e32 v3, 0xffffff82
	v_cndmask_b32_e32 v1, v1, v3, vcc
	v_lshrrev_b32_e32 v3, 23, v2
	v_add3_u32 v6, v6, v1, v3
	v_add_u32_e32 v4, 6, v6
	v_and_b32_e32 v1, 0xfffff, v22
	v_add_u32_e32 v20, v1, v2
	v_cmp_ne_u32_e32 vcc, 0, v4
                                        ; implicit-def: $vgpr2_vgpr3
                                        ; implicit-def: $vgpr1
	s_and_saveexec_b64 s[28:29], vcc
	s_xor_b64 s[28:29], exec, s[28:29]
; %bb.1214:                             ;   in Loop: Header=BB6_356 Depth=4
	v_cmp_lt_u64_e32 vcc, s[88:89], v[20:21]
	v_add_u32_e32 v1, 7, v6
	v_cndmask_b32_e64 v2, 0, 1, vcc
	v_lshrrev_b64 v[2:3], v2, v[20:21]
	v_cndmask_b32_e32 v1, v4, v1, vcc
; %bb.1215:                             ;   in Loop: Header=BB6_356 Depth=4
	s_andn2_saveexec_b64 s[28:29], s[28:29]
; %bb.1216:                             ;   in Loop: Header=BB6_356 Depth=4
	v_mov_b32_e32 v2, v20
	v_bfe_u32 v1, v20, 23, 1
	v_mov_b32_e32 v3, v21
; %bb.1217:                             ;   in Loop: Header=BB6_356 Depth=4
	s_or_b64 exec, exec, s[28:29]
	v_lshrrev_b64 v[2:3], 20, v[2:3]
	v_cmp_gt_i32_e32 vcc, 16, v1
	v_cndmask_b32_e32 v3, 0, v3, vcc
	v_cndmask_b32_e32 v2, 7, v2, vcc
	v_cmp_eq_u32_e32 vcc, 0, v1
	v_min_i32_e32 v1, 15, v1
	v_cmp_eq_u64_e64 s[28:29], 0, v[2:3]
	v_lshlrev_b32_e32 v1, 3, v1
	v_and_b32_e32 v1, 0xf8, v1
	v_and_or_b32 v1, v2, 7, v1
	s_and_b64 s[28:29], vcc, s[28:29]
	v_cndmask_b32_e64 v1, v1, 0, s[28:29]
	v_or_b32_e32 v37, v1, v0
.LBB6_1218:                             ;   in Loop: Header=BB6_356 Depth=4
	s_or_b64 exec, exec, s[36:37]
                                        ; implicit-def: $vgpr0
.LBB6_1219:                             ;   in Loop: Header=BB6_356 Depth=4
	s_andn2_saveexec_b64 s[28:29], s[34:35]
; %bb.1220:                             ;   in Loop: Header=BB6_356 Depth=4
	v_or_b32_e32 v37, 0x7e, v0
; %bb.1221:                             ;   in Loop: Header=BB6_356 Depth=4
	s_or_b64 exec, exec, s[28:29]
                                        ; implicit-def: $vgpr2
.LBB6_1222:                             ;   in Loop: Header=BB6_356 Depth=4
	s_andn2_saveexec_b64 s[28:29], s[30:31]
; %bb.1223:                             ;   in Loop: Header=BB6_356 Depth=4
	v_or_b32_sdwa v37, v2, s81 dst_sel:DWORD dst_unused:UNUSED_PAD src0_sel:BYTE_3 src1_sel:DWORD
; %bb.1224:                             ;   in Loop: Header=BB6_356 Depth=4
	s_or_b64 exec, exec, s[28:29]
	v_cmp_lt_u64_e32 vcc, s[56:57], v[34:35]
	v_mov_b32_e32 v0, 0
	v_mov_b32_e32 v3, 0
	s_and_saveexec_b64 s[28:29], vcc
	s_cbranch_execz .LBB6_1230
; %bb.1225:                             ;   in Loop: Header=BB6_356 Depth=4
	v_lshrrev_b32_e32 v2, 24, v35
	v_cmp_ne_u32_e32 vcc, s80, v2
	v_bfrev_b32_e32 v3, 1
	s_and_saveexec_b64 s[30:31], vcc
	s_cbranch_execz .LBB6_1229
; %bb.1226:                             ;   in Loop: Header=BB6_356 Depth=4
	v_bfe_u32 v1, v35, 24, 7
	v_cmp_ne_u32_e32 vcc, s81, v1
	v_mov_b32_e32 v3, 0x7f800001
	s_and_saveexec_b64 s[34:35], vcc
	s_cbranch_execz .LBB6_1228
; %bb.1227:                             ;   in Loop: Header=BB6_356 Depth=4
	v_and_b32_e32 v6, 7, v2
	v_lshrrev_b32_e32 v7, 3, v1
	v_cmp_gt_u32_e32 vcc, 8, v1
	v_ffbh_u32_e32 v1, v6
	v_min_u32_e32 v1, 32, v1
	v_subrev_u32_e32 v3, 28, v1
	v_lshlrev_b64 v[3:4], v3, v[2:3]
	v_sub_u32_e32 v1, 29, v1
	v_and_b32_e32 v3, 7, v3
	v_cndmask_b32_e32 v1, v7, v1, vcc
	v_cndmask_b32_e32 v3, v6, v3, vcc
	v_lshlrev_b32_e32 v2, 24, v2
	v_bfrev_b32_e32 v4, 60
	v_lshlrev_b32_e32 v3, 20, v3
	v_and_b32_e32 v2, 0x80000000, v2
	v_lshl_add_u32 v1, v1, 23, v4
	v_or3_b32 v3, v2, v1, v3
.LBB6_1228:                             ;   in Loop: Header=BB6_356 Depth=4
	s_or_b64 exec, exec, s[34:35]
.LBB6_1229:                             ;   in Loop: Header=BB6_356 Depth=4
	s_or_b64 exec, exec, s[30:31]
.LBB6_1230:                             ;   in Loop: Header=BB6_356 Depth=4
	s_or_b64 exec, exec, s[28:29]
	v_cmp_lt_u64_e32 vcc, s[56:57], v[26:27]
	s_and_saveexec_b64 s[28:29], vcc
	s_cbranch_execz .LBB6_1236
; %bb.1231:                             ;   in Loop: Header=BB6_356 Depth=4
	v_lshrrev_b32_e32 v2, 24, v27
	v_cmp_ne_u32_e32 vcc, s80, v2
	v_bfrev_b32_e32 v0, 1
	s_and_saveexec_b64 s[30:31], vcc
	s_cbranch_execz .LBB6_1235
; %bb.1232:                             ;   in Loop: Header=BB6_356 Depth=4
	v_bfe_u32 v1, v27, 24, 7
	v_cmp_ne_u32_e32 vcc, s81, v1
	v_mov_b32_e32 v0, 0x7f800001
	s_and_saveexec_b64 s[34:35], vcc
	s_cbranch_execz .LBB6_1234
; %bb.1233:                             ;   in Loop: Header=BB6_356 Depth=4
	v_and_b32_e32 v4, 7, v2
	v_ffbh_u32_e32 v0, v4
	v_min_u32_e32 v7, 32, v0
	v_subrev_u32_e32 v0, 28, v7
	v_lshrrev_b32_e32 v6, 3, v1
	v_cmp_gt_u32_e32 vcc, 8, v1
	v_lshlrev_b64 v[0:1], v0, v[2:3]
	v_sub_u32_e32 v1, 29, v7
	v_and_b32_e32 v0, 7, v0
	v_cndmask_b32_e32 v1, v6, v1, vcc
	v_cndmask_b32_e32 v0, v4, v0, vcc
	v_lshlrev_b32_e32 v2, 24, v2
	v_bfrev_b32_e32 v4, 60
	v_lshlrev_b32_e32 v0, 20, v0
	v_and_b32_e32 v2, 0x80000000, v2
	v_lshl_add_u32 v1, v1, 23, v4
	v_or3_b32 v0, v2, v1, v0
.LBB6_1234:                             ;   in Loop: Header=BB6_356 Depth=4
	s_or_b64 exec, exec, s[34:35]
.LBB6_1235:                             ;   in Loop: Header=BB6_356 Depth=4
	s_or_b64 exec, exec, s[30:31]
.LBB6_1236:                             ;   in Loop: Header=BB6_356 Depth=4
	s_or_b64 exec, exec, s[28:29]
	v_mul_f32_e32 v2, v3, v0
	v_and_b32_e32 v20, 0x7f800000, v2
	v_cmp_ne_u64_e32 vcc, s[62:63], v[20:21]
                                        ; implicit-def: $vgpr26
	s_and_saveexec_b64 s[28:29], vcc
	s_xor_b64 s[30:31], exec, s[28:29]
	s_cbranch_execz .LBB6_1250
; %bb.1237:                             ;   in Loop: Header=BB6_356 Depth=4
	v_and_b32_e32 v20, 0x7fffffff, v2
	v_cmp_gt_u64_e32 vcc, s[78:79], v[20:21]
	v_and_b32_sdwa v0, v2, s80 dst_sel:DWORD dst_unused:UNUSED_PAD src0_sel:BYTE_3 src1_sel:DWORD
                                        ; implicit-def: $vgpr26
	s_and_saveexec_b64 s[28:29], vcc
	s_xor_b64 s[34:35], exec, s[28:29]
	s_cbranch_execz .LBB6_1247
; %bb.1238:                             ;   in Loop: Header=BB6_356 Depth=4
	v_mov_b32_e32 v26, 0
	v_cmp_ne_u32_e32 vcc, 0, v2
	s_and_saveexec_b64 s[36:37], vcc
	s_cbranch_execz .LBB6_1246
; %bb.1239:                             ;   in Loop: Header=BB6_356 Depth=4
	v_bfe_u32 v4, v2, 23, 8
	v_and_b32_e32 v1, 0x7fffff, v2
	v_cmp_gt_u32_e64 s[28:29], s47, v4
	v_sub_u32_e32 v2, 0x79, v4
	v_cmp_eq_u32_e32 vcc, 0, v4
	v_cndmask_b32_e64 v2, 0, v2, s[28:29]
	v_mov_b32_e32 v6, 0x78
	v_or_b32_e32 v3, 0x800000, v1
	v_cndmask_b32_e32 v6, v2, v6, vcc
	v_cndmask_b32_e32 v20, v3, v1, vcc
	v_add_u32_e32 v1, 20, v6
	v_lshlrev_b64 v[1:2], v1, -1
	v_add_u32_e32 v3, 19, v6
	v_lshlrev_b64 v[22:23], v3, 1
	v_bfi_b32 v2, v2, 0, 0
	v_bfi_b32 v1, v1, 0, v20
	v_cmp_eq_u64_e64 s[28:29], v[1:2], v[22:23]
	v_lshrrev_b64 v[2:3], v6, v[20:21]
	v_mov_b32_e32 v23, v3
	v_mov_b32_e32 v22, v2
	s_and_saveexec_b64 s[38:39], s[28:29]
; %bb.1240:                             ;   in Loop: Header=BB6_356 Depth=4
	v_bfe_u32 v1, v2, 20, 1
	v_add_co_u32_e64 v1, s[28:29], v2, v1
	v_add_co_u32_e64 v22, s[28:29], -1, v1
; %bb.1241:                             ;   in Loop: Header=BB6_356 Depth=4
	s_or_b64 exec, exec, s[38:39]
	v_add_u32_e32 v1, 0xffffff81, v4
	v_mov_b32_e32 v3, 0xffffff82
	v_cndmask_b32_e32 v1, v1, v3, vcc
	v_lshrrev_b32_e32 v3, 23, v2
	v_add3_u32 v6, v6, v1, v3
	v_add_u32_e32 v4, 6, v6
	v_and_b32_e32 v1, 0xfffff, v22
	v_add_u32_e32 v20, v1, v2
	v_cmp_ne_u32_e32 vcc, 0, v4
                                        ; implicit-def: $vgpr2_vgpr3
                                        ; implicit-def: $vgpr1
	s_and_saveexec_b64 s[28:29], vcc
	s_xor_b64 s[28:29], exec, s[28:29]
; %bb.1242:                             ;   in Loop: Header=BB6_356 Depth=4
	v_cmp_lt_u64_e32 vcc, s[88:89], v[20:21]
	v_add_u32_e32 v1, 7, v6
	v_cndmask_b32_e64 v2, 0, 1, vcc
	v_lshrrev_b64 v[2:3], v2, v[20:21]
	v_cndmask_b32_e32 v1, v4, v1, vcc
; %bb.1243:                             ;   in Loop: Header=BB6_356 Depth=4
	s_andn2_saveexec_b64 s[28:29], s[28:29]
; %bb.1244:                             ;   in Loop: Header=BB6_356 Depth=4
	v_mov_b32_e32 v2, v20
	v_bfe_u32 v1, v20, 23, 1
	v_mov_b32_e32 v3, v21
; %bb.1245:                             ;   in Loop: Header=BB6_356 Depth=4
	s_or_b64 exec, exec, s[28:29]
	v_lshrrev_b64 v[2:3], 20, v[2:3]
	v_cmp_gt_i32_e32 vcc, 16, v1
	v_cndmask_b32_e32 v3, 0, v3, vcc
	v_cndmask_b32_e32 v2, 7, v2, vcc
	v_cmp_eq_u32_e32 vcc, 0, v1
	v_min_i32_e32 v1, 15, v1
	v_cmp_eq_u64_e64 s[28:29], 0, v[2:3]
	v_lshlrev_b32_e32 v1, 3, v1
	v_and_b32_e32 v1, 0xf8, v1
	v_and_or_b32 v1, v2, 7, v1
	s_and_b64 s[28:29], vcc, s[28:29]
	v_cndmask_b32_e64 v1, v1, 0, s[28:29]
	v_or_b32_e32 v26, v1, v0
.LBB6_1246:                             ;   in Loop: Header=BB6_356 Depth=4
	s_or_b64 exec, exec, s[36:37]
                                        ; implicit-def: $vgpr0
.LBB6_1247:                             ;   in Loop: Header=BB6_356 Depth=4
	s_andn2_saveexec_b64 s[28:29], s[34:35]
; %bb.1248:                             ;   in Loop: Header=BB6_356 Depth=4
	v_or_b32_e32 v26, 0x7e, v0
; %bb.1249:                             ;   in Loop: Header=BB6_356 Depth=4
	s_or_b64 exec, exec, s[28:29]
                                        ; implicit-def: $vgpr2
.LBB6_1250:                             ;   in Loop: Header=BB6_356 Depth=4
	s_andn2_saveexec_b64 s[28:29], s[30:31]
; %bb.1251:                             ;   in Loop: Header=BB6_356 Depth=4
	v_or_b32_sdwa v26, v2, s81 dst_sel:DWORD dst_unused:UNUSED_PAD src0_sel:BYTE_3 src1_sel:DWORD
; %bb.1252:                             ;   in Loop: Header=BB6_356 Depth=4
	s_or_b64 exec, exec, s[28:29]
	v_cmp_ne_u16_sdwa vcc, v58, v21 src0_sel:BYTE_0 src1_sel:DWORD
	v_mov_b32_e32 v0, 0
	v_mov_b32_e32 v2, 0
	s_and_saveexec_b64 s[28:29], vcc
	s_cbranch_execz .LBB6_1258
; %bb.1253:                             ;   in Loop: Header=BB6_356 Depth=4
	v_cmp_ne_u16_sdwa vcc, v58, s80 src0_sel:BYTE_0 src1_sel:DWORD
	v_bfrev_b32_e32 v2, 1
	s_and_saveexec_b64 s[30:31], vcc
	s_cbranch_execz .LBB6_1257
; %bb.1254:                             ;   in Loop: Header=BB6_356 Depth=4
	v_and_b32_e32 v1, 0x7f, v58
	v_cmp_ne_u32_e32 vcc, s81, v1
	v_mov_b32_e32 v2, 0x7f800001
	s_and_saveexec_b64 s[34:35], vcc
	s_cbranch_execz .LBB6_1256
; %bb.1255:                             ;   in Loop: Header=BB6_356 Depth=4
	v_and_b32_e32 v2, 7, v58
	v_lshrrev_b32_e32 v3, 3, v1
	v_cmp_gt_u32_e32 vcc, 8, v1
	v_ffbh_u32_e32 v1, v2
	v_min_u32_e32 v1, 32, v1
	v_subrev_u32_e32 v2, 28, v1
	v_sub_u32_e32 v1, 29, v1
	v_cndmask_b32_e32 v3, v3, v1, vcc
	v_cndmask_b32_e32 v1, 0, v2, vcc
	v_lshlrev_b64 v[1:2], v1, v[58:59]
	v_lshlrev_b32_e32 v2, 24, v58
	v_lshlrev_b32_e32 v1, 20, v1
	v_bfrev_b32_e32 v4, 60
	v_and_b32_e32 v1, 0x700000, v1
	v_and_b32_e32 v2, 0x80000000, v2
	v_lshl_add_u32 v3, v3, 23, v4
	v_or3_b32 v2, v2, v3, v1
.LBB6_1256:                             ;   in Loop: Header=BB6_356 Depth=4
	s_or_b64 exec, exec, s[34:35]
.LBB6_1257:                             ;   in Loop: Header=BB6_356 Depth=4
	s_or_b64 exec, exec, s[30:31]
.LBB6_1258:                             ;   in Loop: Header=BB6_356 Depth=4
	s_or_b64 exec, exec, s[28:29]
	s_waitcnt vmcnt(1)
	v_cmp_ne_u16_sdwa vcc, v16, v21 src0_sel:BYTE_0 src1_sel:DWORD
	s_and_saveexec_b64 s[28:29], vcc
	s_cbranch_execz .LBB6_1264
; %bb.1259:                             ;   in Loop: Header=BB6_356 Depth=4
	v_cmp_ne_u16_sdwa vcc, v16, s80 src0_sel:BYTE_0 src1_sel:DWORD
	v_bfrev_b32_e32 v0, 1
	s_and_saveexec_b64 s[30:31], vcc
	s_cbranch_execz .LBB6_1263
; %bb.1260:                             ;   in Loop: Header=BB6_356 Depth=4
	v_and_b32_e32 v1, 0x7f, v16
	v_cmp_ne_u32_e32 vcc, s81, v1
	v_mov_b32_e32 v0, 0x7f800001
	s_and_saveexec_b64 s[34:35], vcc
	s_cbranch_execz .LBB6_1262
; %bb.1261:                             ;   in Loop: Header=BB6_356 Depth=4
	v_and_b32_e32 v0, 7, v16
	v_ffbh_u32_e32 v0, v0
	v_min_u32_e32 v0, 32, v0
	v_lshrrev_b32_e32 v3, 3, v1
	v_cmp_gt_u32_e32 vcc, 8, v1
	v_subrev_u32_e32 v1, 28, v0
	v_sub_u32_e32 v0, 29, v0
	v_cndmask_b32_e32 v3, v3, v0, vcc
	v_cndmask_b32_e32 v0, 0, v1, vcc
	v_lshlrev_b64 v[0:1], v0, v[16:17]
	v_lshlrev_b32_e32 v1, 24, v16
	v_lshlrev_b32_e32 v0, 20, v0
	v_bfrev_b32_e32 v4, 60
	v_and_b32_e32 v0, 0x700000, v0
	v_and_b32_e32 v1, 0x80000000, v1
	v_lshl_add_u32 v3, v3, 23, v4
	v_or3_b32 v0, v1, v3, v0
.LBB6_1262:                             ;   in Loop: Header=BB6_356 Depth=4
	s_or_b64 exec, exec, s[34:35]
.LBB6_1263:                             ;   in Loop: Header=BB6_356 Depth=4
	s_or_b64 exec, exec, s[30:31]
.LBB6_1264:                             ;   in Loop: Header=BB6_356 Depth=4
	s_or_b64 exec, exec, s[28:29]
	v_mul_f32_e32 v2, v2, v0
	v_and_b32_e32 v20, 0x7f800000, v2
	v_cmp_ne_u64_e32 vcc, s[62:63], v[20:21]
                                        ; implicit-def: $vgpr27
	s_and_saveexec_b64 s[28:29], vcc
	s_xor_b64 s[30:31], exec, s[28:29]
	s_cbranch_execz .LBB6_1278
; %bb.1265:                             ;   in Loop: Header=BB6_356 Depth=4
	v_and_b32_e32 v20, 0x7fffffff, v2
	v_cmp_gt_u64_e32 vcc, s[78:79], v[20:21]
	v_and_b32_sdwa v0, v2, s80 dst_sel:DWORD dst_unused:UNUSED_PAD src0_sel:BYTE_3 src1_sel:DWORD
                                        ; implicit-def: $vgpr27
	s_and_saveexec_b64 s[28:29], vcc
	s_xor_b64 s[34:35], exec, s[28:29]
	s_cbranch_execz .LBB6_1275
; %bb.1266:                             ;   in Loop: Header=BB6_356 Depth=4
	v_mov_b32_e32 v27, 0
	v_cmp_ne_u32_e32 vcc, 0, v2
	s_and_saveexec_b64 s[36:37], vcc
	s_cbranch_execz .LBB6_1274
; %bb.1267:                             ;   in Loop: Header=BB6_356 Depth=4
	v_bfe_u32 v4, v2, 23, 8
	v_and_b32_e32 v1, 0x7fffff, v2
	v_cmp_gt_u32_e64 s[28:29], s47, v4
	v_sub_u32_e32 v2, 0x79, v4
	v_cmp_eq_u32_e32 vcc, 0, v4
	v_cndmask_b32_e64 v2, 0, v2, s[28:29]
	v_mov_b32_e32 v6, 0x78
	v_or_b32_e32 v3, 0x800000, v1
	v_cndmask_b32_e32 v6, v2, v6, vcc
	v_cndmask_b32_e32 v20, v3, v1, vcc
	v_add_u32_e32 v1, 20, v6
	v_lshlrev_b64 v[1:2], v1, -1
	v_add_u32_e32 v3, 19, v6
	v_lshlrev_b64 v[22:23], v3, 1
	v_bfi_b32 v2, v2, 0, 0
	v_bfi_b32 v1, v1, 0, v20
	v_cmp_eq_u64_e64 s[28:29], v[1:2], v[22:23]
	v_lshrrev_b64 v[2:3], v6, v[20:21]
	v_mov_b32_e32 v23, v3
	v_mov_b32_e32 v22, v2
	s_and_saveexec_b64 s[38:39], s[28:29]
; %bb.1268:                             ;   in Loop: Header=BB6_356 Depth=4
	v_bfe_u32 v1, v2, 20, 1
	v_add_co_u32_e64 v1, s[28:29], v2, v1
	v_add_co_u32_e64 v22, s[28:29], -1, v1
; %bb.1269:                             ;   in Loop: Header=BB6_356 Depth=4
	s_or_b64 exec, exec, s[38:39]
	v_add_u32_e32 v1, 0xffffff81, v4
	v_mov_b32_e32 v3, 0xffffff82
	v_cndmask_b32_e32 v1, v1, v3, vcc
	v_lshrrev_b32_e32 v3, 23, v2
	v_add3_u32 v6, v6, v1, v3
	v_add_u32_e32 v4, 6, v6
	v_and_b32_e32 v1, 0xfffff, v22
	v_add_u32_e32 v20, v1, v2
	v_cmp_ne_u32_e32 vcc, 0, v4
                                        ; implicit-def: $vgpr2_vgpr3
                                        ; implicit-def: $vgpr1
	s_and_saveexec_b64 s[28:29], vcc
	s_xor_b64 s[28:29], exec, s[28:29]
; %bb.1270:                             ;   in Loop: Header=BB6_356 Depth=4
	v_cmp_lt_u64_e32 vcc, s[88:89], v[20:21]
	v_add_u32_e32 v1, 7, v6
	v_cndmask_b32_e64 v2, 0, 1, vcc
	v_lshrrev_b64 v[2:3], v2, v[20:21]
	v_cndmask_b32_e32 v1, v4, v1, vcc
; %bb.1271:                             ;   in Loop: Header=BB6_356 Depth=4
	s_andn2_saveexec_b64 s[28:29], s[28:29]
; %bb.1272:                             ;   in Loop: Header=BB6_356 Depth=4
	v_mov_b32_e32 v2, v20
	v_bfe_u32 v1, v20, 23, 1
	v_mov_b32_e32 v3, v21
; %bb.1273:                             ;   in Loop: Header=BB6_356 Depth=4
	s_or_b64 exec, exec, s[28:29]
	v_lshrrev_b64 v[2:3], 20, v[2:3]
	v_cmp_gt_i32_e32 vcc, 16, v1
	v_cndmask_b32_e32 v3, 0, v3, vcc
	v_cndmask_b32_e32 v2, 7, v2, vcc
	v_cmp_eq_u32_e32 vcc, 0, v1
	v_min_i32_e32 v1, 15, v1
	v_cmp_eq_u64_e64 s[28:29], 0, v[2:3]
	v_lshlrev_b32_e32 v1, 3, v1
	v_and_b32_e32 v1, 0xf8, v1
	v_and_or_b32 v1, v2, 7, v1
	s_and_b64 s[28:29], vcc, s[28:29]
	v_cndmask_b32_e64 v1, v1, 0, s[28:29]
	v_or_b32_e32 v27, v1, v0
.LBB6_1274:                             ;   in Loop: Header=BB6_356 Depth=4
	s_or_b64 exec, exec, s[36:37]
                                        ; implicit-def: $vgpr0
.LBB6_1275:                             ;   in Loop: Header=BB6_356 Depth=4
	s_andn2_saveexec_b64 s[28:29], s[34:35]
; %bb.1276:                             ;   in Loop: Header=BB6_356 Depth=4
	v_or_b32_e32 v27, 0x7e, v0
; %bb.1277:                             ;   in Loop: Header=BB6_356 Depth=4
	s_or_b64 exec, exec, s[28:29]
                                        ; implicit-def: $vgpr2
.LBB6_1278:                             ;   in Loop: Header=BB6_356 Depth=4
	s_andn2_saveexec_b64 s[28:29], s[30:31]
; %bb.1279:                             ;   in Loop: Header=BB6_356 Depth=4
	v_or_b32_sdwa v27, v2, s81 dst_sel:DWORD dst_unused:UNUSED_PAD src0_sel:BYTE_3 src1_sel:DWORD
; %bb.1280:                             ;   in Loop: Header=BB6_356 Depth=4
	s_or_b64 exec, exec, s[28:29]
	v_lshrrev_b16_e32 v2, 8, v58
	v_cmp_ne_u16_e32 vcc, 0, v2
	v_mov_b32_e32 v0, 0
	v_mov_b32_e32 v3, 0
	s_and_saveexec_b64 s[28:29], vcc
	s_cbranch_execz .LBB6_1286
; %bb.1281:                             ;   in Loop: Header=BB6_356 Depth=4
	v_cmp_ne_u16_e32 vcc, s80, v2
	v_bfrev_b32_e32 v3, 1
	s_and_saveexec_b64 s[30:31], vcc
	s_cbranch_execz .LBB6_1285
; %bb.1282:                             ;   in Loop: Header=BB6_356 Depth=4
	v_and_b32_e32 v1, 0x7f, v2
	v_cmp_ne_u32_e32 vcc, s81, v1
	v_mov_b32_e32 v3, 0x7f800001
	s_and_saveexec_b64 s[34:35], vcc
	s_cbranch_execz .LBB6_1284
; %bb.1283:                             ;   in Loop: Header=BB6_356 Depth=4
	v_and_b32_e32 v3, 7, v2
	v_lshrrev_b32_e32 v4, 3, v1
	v_cmp_gt_u32_e32 vcc, 8, v1
	v_ffbh_u32_e32 v1, v3
	v_min_u32_e32 v6, 32, v1
	v_subrev_u32_e32 v1, 28, v6
	v_lshlrev_b64 v[1:2], v1, v[2:3]
	v_sub_u32_e32 v2, 29, v6
	v_and_b32_e32 v1, 7, v1
	v_cndmask_b32_e32 v2, v4, v2, vcc
	v_cndmask_b32_e32 v1, v3, v1, vcc
	v_lshlrev_b32_e32 v3, 16, v58
	v_bfrev_b32_e32 v4, 60
	v_lshlrev_b32_e32 v1, 20, v1
	v_and_b32_e32 v3, 0x80000000, v3
	v_lshl_add_u32 v2, v2, 23, v4
	v_or3_b32 v3, v3, v2, v1
.LBB6_1284:                             ;   in Loop: Header=BB6_356 Depth=4
	s_or_b64 exec, exec, s[34:35]
.LBB6_1285:                             ;   in Loop: Header=BB6_356 Depth=4
	s_or_b64 exec, exec, s[30:31]
.LBB6_1286:                             ;   in Loop: Header=BB6_356 Depth=4
	s_or_b64 exec, exec, s[28:29]
	v_lshrrev_b16_e32 v2, 8, v16
	v_cmp_ne_u16_e32 vcc, 0, v2
	s_and_saveexec_b64 s[28:29], vcc
	s_cbranch_execz .LBB6_1292
; %bb.1287:                             ;   in Loop: Header=BB6_356 Depth=4
	v_cmp_ne_u16_e32 vcc, s80, v2
	v_bfrev_b32_e32 v0, 1
	s_and_saveexec_b64 s[30:31], vcc
	s_cbranch_execz .LBB6_1291
; %bb.1288:                             ;   in Loop: Header=BB6_356 Depth=4
	v_and_b32_e32 v1, 0x7f, v2
	v_cmp_ne_u32_e32 vcc, s81, v1
	v_mov_b32_e32 v0, 0x7f800001
	s_and_saveexec_b64 s[34:35], vcc
	s_cbranch_execz .LBB6_1290
; %bb.1289:                             ;   in Loop: Header=BB6_356 Depth=4
	v_and_b32_e32 v4, 7, v2
	v_ffbh_u32_e32 v0, v4
	v_min_u32_e32 v7, 32, v0
	v_subrev_u32_e32 v0, 28, v7
	v_lshrrev_b32_e32 v6, 3, v1
	v_cmp_gt_u32_e32 vcc, 8, v1
	v_lshlrev_b64 v[0:1], v0, v[2:3]
	v_sub_u32_e32 v1, 29, v7
	v_and_b32_e32 v0, 7, v0
	v_cndmask_b32_e32 v1, v6, v1, vcc
	v_cndmask_b32_e32 v0, v4, v0, vcc
	v_lshlrev_b32_e32 v2, 16, v16
	v_bfrev_b32_e32 v4, 60
	v_lshlrev_b32_e32 v0, 20, v0
	v_and_b32_e32 v2, 0x80000000, v2
	v_lshl_add_u32 v1, v1, 23, v4
	v_or3_b32 v0, v2, v1, v0
.LBB6_1290:                             ;   in Loop: Header=BB6_356 Depth=4
	s_or_b64 exec, exec, s[34:35]
.LBB6_1291:                             ;   in Loop: Header=BB6_356 Depth=4
	s_or_b64 exec, exec, s[30:31]
.LBB6_1292:                             ;   in Loop: Header=BB6_356 Depth=4
	s_or_b64 exec, exec, s[28:29]
	v_mul_f32_e32 v2, v3, v0
	v_and_b32_e32 v20, 0x7f800000, v2
	v_cmp_ne_u64_e32 vcc, s[62:63], v[20:21]
                                        ; implicit-def: $vgpr34
	s_and_saveexec_b64 s[28:29], vcc
	s_xor_b64 s[30:31], exec, s[28:29]
	s_cbranch_execz .LBB6_1306
; %bb.1293:                             ;   in Loop: Header=BB6_356 Depth=4
	v_and_b32_e32 v20, 0x7fffffff, v2
	v_cmp_gt_u64_e32 vcc, s[78:79], v[20:21]
	v_and_b32_sdwa v0, v2, s80 dst_sel:DWORD dst_unused:UNUSED_PAD src0_sel:BYTE_3 src1_sel:DWORD
                                        ; implicit-def: $vgpr34
	s_and_saveexec_b64 s[28:29], vcc
	s_xor_b64 s[34:35], exec, s[28:29]
	s_cbranch_execz .LBB6_1303
; %bb.1294:                             ;   in Loop: Header=BB6_356 Depth=4
	v_mov_b32_e32 v34, 0
	v_cmp_ne_u32_e32 vcc, 0, v2
	s_and_saveexec_b64 s[36:37], vcc
	s_cbranch_execz .LBB6_1302
; %bb.1295:                             ;   in Loop: Header=BB6_356 Depth=4
	v_bfe_u32 v4, v2, 23, 8
	v_and_b32_e32 v1, 0x7fffff, v2
	v_cmp_gt_u32_e64 s[28:29], s47, v4
	v_sub_u32_e32 v2, 0x79, v4
	v_cmp_eq_u32_e32 vcc, 0, v4
	v_cndmask_b32_e64 v2, 0, v2, s[28:29]
	v_mov_b32_e32 v6, 0x78
	v_or_b32_e32 v3, 0x800000, v1
	v_cndmask_b32_e32 v6, v2, v6, vcc
	v_cndmask_b32_e32 v20, v3, v1, vcc
	v_add_u32_e32 v1, 20, v6
	v_lshlrev_b64 v[1:2], v1, -1
	v_add_u32_e32 v3, 19, v6
	v_lshlrev_b64 v[22:23], v3, 1
	v_bfi_b32 v2, v2, 0, 0
	v_bfi_b32 v1, v1, 0, v20
	v_cmp_eq_u64_e64 s[28:29], v[1:2], v[22:23]
	v_lshrrev_b64 v[2:3], v6, v[20:21]
	v_mov_b32_e32 v23, v3
	v_mov_b32_e32 v22, v2
	s_and_saveexec_b64 s[38:39], s[28:29]
; %bb.1296:                             ;   in Loop: Header=BB6_356 Depth=4
	v_bfe_u32 v1, v2, 20, 1
	v_add_co_u32_e64 v1, s[28:29], v2, v1
	v_add_co_u32_e64 v22, s[28:29], -1, v1
; %bb.1297:                             ;   in Loop: Header=BB6_356 Depth=4
	s_or_b64 exec, exec, s[38:39]
	v_add_u32_e32 v1, 0xffffff81, v4
	v_mov_b32_e32 v3, 0xffffff82
	v_cndmask_b32_e32 v1, v1, v3, vcc
	v_lshrrev_b32_e32 v3, 23, v2
	v_add3_u32 v6, v6, v1, v3
	v_add_u32_e32 v4, 6, v6
	v_and_b32_e32 v1, 0xfffff, v22
	v_add_u32_e32 v20, v1, v2
	v_cmp_ne_u32_e32 vcc, 0, v4
                                        ; implicit-def: $vgpr2_vgpr3
                                        ; implicit-def: $vgpr1
	s_and_saveexec_b64 s[28:29], vcc
	s_xor_b64 s[28:29], exec, s[28:29]
; %bb.1298:                             ;   in Loop: Header=BB6_356 Depth=4
	v_cmp_lt_u64_e32 vcc, s[88:89], v[20:21]
	v_add_u32_e32 v1, 7, v6
	v_cndmask_b32_e64 v2, 0, 1, vcc
	v_lshrrev_b64 v[2:3], v2, v[20:21]
	v_cndmask_b32_e32 v1, v4, v1, vcc
; %bb.1299:                             ;   in Loop: Header=BB6_356 Depth=4
	s_andn2_saveexec_b64 s[28:29], s[28:29]
; %bb.1300:                             ;   in Loop: Header=BB6_356 Depth=4
	v_mov_b32_e32 v2, v20
	v_bfe_u32 v1, v20, 23, 1
	v_mov_b32_e32 v3, v21
; %bb.1301:                             ;   in Loop: Header=BB6_356 Depth=4
	s_or_b64 exec, exec, s[28:29]
	v_lshrrev_b64 v[2:3], 20, v[2:3]
	v_cmp_gt_i32_e32 vcc, 16, v1
	v_cndmask_b32_e32 v3, 0, v3, vcc
	v_cndmask_b32_e32 v2, 7, v2, vcc
	v_cmp_eq_u32_e32 vcc, 0, v1
	v_min_i32_e32 v1, 15, v1
	v_cmp_eq_u64_e64 s[28:29], 0, v[2:3]
	v_lshlrev_b32_e32 v1, 3, v1
	v_and_b32_e32 v1, 0xf8, v1
	v_and_or_b32 v1, v2, 7, v1
	s_and_b64 s[28:29], vcc, s[28:29]
	v_cndmask_b32_e64 v1, v1, 0, s[28:29]
	v_or_b32_e32 v34, v1, v0
.LBB6_1302:                             ;   in Loop: Header=BB6_356 Depth=4
	s_or_b64 exec, exec, s[36:37]
                                        ; implicit-def: $vgpr0
.LBB6_1303:                             ;   in Loop: Header=BB6_356 Depth=4
	s_andn2_saveexec_b64 s[28:29], s[34:35]
; %bb.1304:                             ;   in Loop: Header=BB6_356 Depth=4
	v_or_b32_e32 v34, 0x7e, v0
; %bb.1305:                             ;   in Loop: Header=BB6_356 Depth=4
	s_or_b64 exec, exec, s[28:29]
                                        ; implicit-def: $vgpr2
.LBB6_1306:                             ;   in Loop: Header=BB6_356 Depth=4
	s_andn2_saveexec_b64 s[28:29], s[30:31]
; %bb.1307:                             ;   in Loop: Header=BB6_356 Depth=4
	v_or_b32_sdwa v34, v2, s81 dst_sel:DWORD dst_unused:UNUSED_PAD src0_sel:BYTE_3 src1_sel:DWORD
; %bb.1308:                             ;   in Loop: Header=BB6_356 Depth=4
	s_or_b64 exec, exec, s[28:29]
	v_lshrrev_b32_e32 v2, 16, v58
	v_cmp_ne_u16_sdwa vcc, v2, v21 src0_sel:BYTE_0 src1_sel:DWORD
	v_mov_b32_e32 v0, 0
	v_mov_b32_e32 v3, 0
	s_and_saveexec_b64 s[28:29], vcc
	s_cbranch_execz .LBB6_1314
; %bb.1309:                             ;   in Loop: Header=BB6_356 Depth=4
	v_cmp_ne_u16_sdwa vcc, v2, s80 src0_sel:BYTE_0 src1_sel:DWORD
	v_bfrev_b32_e32 v3, 1
	s_and_saveexec_b64 s[30:31], vcc
	s_cbranch_execz .LBB6_1313
; %bb.1310:                             ;   in Loop: Header=BB6_356 Depth=4
	v_bfe_u32 v1, v58, 16, 7
	v_cmp_ne_u32_e32 vcc, s81, v1
	v_mov_b32_e32 v3, 0x7f800001
	s_and_saveexec_b64 s[34:35], vcc
	s_cbranch_execz .LBB6_1312
; %bb.1311:                             ;   in Loop: Header=BB6_356 Depth=4
	v_and_b32_e32 v6, 7, v2
	v_lshrrev_b32_e32 v7, 3, v1
	v_cmp_gt_u32_e32 vcc, 8, v1
	v_ffbh_u32_e32 v1, v6
	v_min_u32_e32 v1, 32, v1
	v_subrev_u32_e32 v3, 28, v1
	v_lshlrev_b64 v[3:4], v3, v[2:3]
	v_sub_u32_e32 v1, 29, v1
	v_and_b32_e32 v3, 7, v3
	v_cndmask_b32_e32 v1, v7, v1, vcc
	v_cndmask_b32_e32 v3, v6, v3, vcc
	v_lshlrev_b32_e32 v2, 24, v2
	v_bfrev_b32_e32 v4, 60
	v_lshlrev_b32_e32 v3, 20, v3
	v_and_b32_e32 v2, 0x80000000, v2
	v_lshl_add_u32 v1, v1, 23, v4
	v_or3_b32 v3, v2, v1, v3
.LBB6_1312:                             ;   in Loop: Header=BB6_356 Depth=4
	s_or_b64 exec, exec, s[34:35]
.LBB6_1313:                             ;   in Loop: Header=BB6_356 Depth=4
	s_or_b64 exec, exec, s[30:31]
.LBB6_1314:                             ;   in Loop: Header=BB6_356 Depth=4
	s_or_b64 exec, exec, s[28:29]
	v_lshrrev_b32_e32 v2, 16, v16
	v_cmp_ne_u16_sdwa vcc, v2, v21 src0_sel:BYTE_0 src1_sel:DWORD
	s_and_saveexec_b64 s[28:29], vcc
	s_cbranch_execz .LBB6_1320
; %bb.1315:                             ;   in Loop: Header=BB6_356 Depth=4
	v_cmp_ne_u16_sdwa vcc, v2, s80 src0_sel:BYTE_0 src1_sel:DWORD
	v_bfrev_b32_e32 v0, 1
	s_and_saveexec_b64 s[30:31], vcc
	s_cbranch_execz .LBB6_1319
; %bb.1316:                             ;   in Loop: Header=BB6_356 Depth=4
	v_bfe_u32 v1, v16, 16, 7
	v_cmp_ne_u32_e32 vcc, s81, v1
	v_mov_b32_e32 v0, 0x7f800001
	s_and_saveexec_b64 s[34:35], vcc
	s_cbranch_execz .LBB6_1318
; %bb.1317:                             ;   in Loop: Header=BB6_356 Depth=4
	v_and_b32_e32 v4, 7, v2
	v_ffbh_u32_e32 v0, v4
	v_min_u32_e32 v7, 32, v0
	v_subrev_u32_e32 v0, 28, v7
	v_lshrrev_b32_e32 v6, 3, v1
	v_cmp_gt_u32_e32 vcc, 8, v1
	v_lshlrev_b64 v[0:1], v0, v[2:3]
	v_sub_u32_e32 v1, 29, v7
	v_and_b32_e32 v0, 7, v0
	v_cndmask_b32_e32 v1, v6, v1, vcc
	v_cndmask_b32_e32 v0, v4, v0, vcc
	v_lshlrev_b32_e32 v2, 8, v16
	v_bfrev_b32_e32 v4, 60
	v_lshlrev_b32_e32 v0, 20, v0
	v_and_b32_e32 v2, 0x80000000, v2
	v_lshl_add_u32 v1, v1, 23, v4
	v_or3_b32 v0, v2, v1, v0
.LBB6_1318:                             ;   in Loop: Header=BB6_356 Depth=4
	s_or_b64 exec, exec, s[34:35]
.LBB6_1319:                             ;   in Loop: Header=BB6_356 Depth=4
	s_or_b64 exec, exec, s[30:31]
.LBB6_1320:                             ;   in Loop: Header=BB6_356 Depth=4
	s_or_b64 exec, exec, s[28:29]
	v_mul_f32_e32 v2, v3, v0
	v_and_b32_e32 v20, 0x7f800000, v2
	v_cmp_ne_u64_e32 vcc, s[62:63], v[20:21]
                                        ; implicit-def: $vgpr35
	s_and_saveexec_b64 s[28:29], vcc
	s_xor_b64 s[30:31], exec, s[28:29]
	s_cbranch_execz .LBB6_1334
; %bb.1321:                             ;   in Loop: Header=BB6_356 Depth=4
	v_and_b32_e32 v20, 0x7fffffff, v2
	v_cmp_gt_u64_e32 vcc, s[78:79], v[20:21]
	v_and_b32_sdwa v0, v2, s80 dst_sel:DWORD dst_unused:UNUSED_PAD src0_sel:BYTE_3 src1_sel:DWORD
                                        ; implicit-def: $vgpr35
	s_and_saveexec_b64 s[28:29], vcc
	s_xor_b64 s[34:35], exec, s[28:29]
	s_cbranch_execz .LBB6_1331
; %bb.1322:                             ;   in Loop: Header=BB6_356 Depth=4
	v_mov_b32_e32 v35, 0
	v_cmp_ne_u32_e32 vcc, 0, v2
	s_and_saveexec_b64 s[36:37], vcc
	s_cbranch_execz .LBB6_1330
; %bb.1323:                             ;   in Loop: Header=BB6_356 Depth=4
	v_bfe_u32 v4, v2, 23, 8
	v_and_b32_e32 v1, 0x7fffff, v2
	v_cmp_gt_u32_e64 s[28:29], s47, v4
	v_sub_u32_e32 v2, 0x79, v4
	v_cmp_eq_u32_e32 vcc, 0, v4
	v_cndmask_b32_e64 v2, 0, v2, s[28:29]
	v_mov_b32_e32 v6, 0x78
	v_or_b32_e32 v3, 0x800000, v1
	v_cndmask_b32_e32 v6, v2, v6, vcc
	v_cndmask_b32_e32 v20, v3, v1, vcc
	v_add_u32_e32 v1, 20, v6
	v_lshlrev_b64 v[1:2], v1, -1
	v_add_u32_e32 v3, 19, v6
	v_lshlrev_b64 v[22:23], v3, 1
	v_bfi_b32 v2, v2, 0, 0
	v_bfi_b32 v1, v1, 0, v20
	v_cmp_eq_u64_e64 s[28:29], v[1:2], v[22:23]
	v_lshrrev_b64 v[2:3], v6, v[20:21]
	v_mov_b32_e32 v23, v3
	v_mov_b32_e32 v22, v2
	s_and_saveexec_b64 s[38:39], s[28:29]
; %bb.1324:                             ;   in Loop: Header=BB6_356 Depth=4
	v_bfe_u32 v1, v2, 20, 1
	v_add_co_u32_e64 v1, s[28:29], v2, v1
	v_add_co_u32_e64 v22, s[28:29], -1, v1
; %bb.1325:                             ;   in Loop: Header=BB6_356 Depth=4
	s_or_b64 exec, exec, s[38:39]
	v_add_u32_e32 v1, 0xffffff81, v4
	v_mov_b32_e32 v3, 0xffffff82
	v_cndmask_b32_e32 v1, v1, v3, vcc
	v_lshrrev_b32_e32 v3, 23, v2
	v_add3_u32 v6, v6, v1, v3
	v_add_u32_e32 v4, 6, v6
	v_and_b32_e32 v1, 0xfffff, v22
	v_add_u32_e32 v20, v1, v2
	v_cmp_ne_u32_e32 vcc, 0, v4
                                        ; implicit-def: $vgpr2_vgpr3
                                        ; implicit-def: $vgpr1
	s_and_saveexec_b64 s[28:29], vcc
	s_xor_b64 s[28:29], exec, s[28:29]
; %bb.1326:                             ;   in Loop: Header=BB6_356 Depth=4
	v_cmp_lt_u64_e32 vcc, s[88:89], v[20:21]
	v_add_u32_e32 v1, 7, v6
	v_cndmask_b32_e64 v2, 0, 1, vcc
	v_lshrrev_b64 v[2:3], v2, v[20:21]
	v_cndmask_b32_e32 v1, v4, v1, vcc
; %bb.1327:                             ;   in Loop: Header=BB6_356 Depth=4
	s_andn2_saveexec_b64 s[28:29], s[28:29]
; %bb.1328:                             ;   in Loop: Header=BB6_356 Depth=4
	v_mov_b32_e32 v2, v20
	v_bfe_u32 v1, v20, 23, 1
	v_mov_b32_e32 v3, v21
; %bb.1329:                             ;   in Loop: Header=BB6_356 Depth=4
	s_or_b64 exec, exec, s[28:29]
	v_lshrrev_b64 v[2:3], 20, v[2:3]
	v_cmp_gt_i32_e32 vcc, 16, v1
	v_cndmask_b32_e32 v3, 0, v3, vcc
	v_cndmask_b32_e32 v2, 7, v2, vcc
	v_cmp_eq_u32_e32 vcc, 0, v1
	v_min_i32_e32 v1, 15, v1
	v_cmp_eq_u64_e64 s[28:29], 0, v[2:3]
	v_lshlrev_b32_e32 v1, 3, v1
	v_and_b32_e32 v1, 0xf8, v1
	v_and_or_b32 v1, v2, 7, v1
	s_and_b64 s[28:29], vcc, s[28:29]
	v_cndmask_b32_e64 v1, v1, 0, s[28:29]
	v_or_b32_e32 v35, v1, v0
.LBB6_1330:                             ;   in Loop: Header=BB6_356 Depth=4
	s_or_b64 exec, exec, s[36:37]
                                        ; implicit-def: $vgpr0
.LBB6_1331:                             ;   in Loop: Header=BB6_356 Depth=4
	s_andn2_saveexec_b64 s[28:29], s[34:35]
; %bb.1332:                             ;   in Loop: Header=BB6_356 Depth=4
	v_or_b32_e32 v35, 0x7e, v0
; %bb.1333:                             ;   in Loop: Header=BB6_356 Depth=4
	s_or_b64 exec, exec, s[28:29]
                                        ; implicit-def: $vgpr2
.LBB6_1334:                             ;   in Loop: Header=BB6_356 Depth=4
	s_andn2_saveexec_b64 s[28:29], s[30:31]
; %bb.1335:                             ;   in Loop: Header=BB6_356 Depth=4
	v_or_b32_sdwa v35, v2, s81 dst_sel:DWORD dst_unused:UNUSED_PAD src0_sel:BYTE_3 src1_sel:DWORD
; %bb.1336:                             ;   in Loop: Header=BB6_356 Depth=4
	s_or_b64 exec, exec, s[28:29]
	v_cmp_lt_u32_e32 vcc, s57, v58
	v_mov_b32_e32 v0, 0
	v_mov_b32_e32 v3, 0
	s_and_saveexec_b64 s[28:29], vcc
	s_cbranch_execz .LBB6_1342
; %bb.1337:                             ;   in Loop: Header=BB6_356 Depth=4
	v_lshrrev_b32_e32 v2, 24, v58
	v_cmp_ne_u32_e32 vcc, s80, v2
	v_bfrev_b32_e32 v3, 1
	s_and_saveexec_b64 s[30:31], vcc
	s_cbranch_execz .LBB6_1341
; %bb.1338:                             ;   in Loop: Header=BB6_356 Depth=4
	v_bfe_u32 v1, v58, 24, 7
	v_cmp_ne_u32_e32 vcc, s81, v1
	v_mov_b32_e32 v3, 0x7f800001
	s_and_saveexec_b64 s[34:35], vcc
	s_cbranch_execz .LBB6_1340
; %bb.1339:                             ;   in Loop: Header=BB6_356 Depth=4
	v_and_b32_e32 v6, 7, v2
	v_lshrrev_b32_e32 v7, 3, v1
	v_cmp_gt_u32_e32 vcc, 8, v1
	v_ffbh_u32_e32 v1, v6
	v_min_u32_e32 v1, 32, v1
	v_subrev_u32_e32 v3, 28, v1
	v_lshlrev_b64 v[3:4], v3, v[2:3]
	v_sub_u32_e32 v1, 29, v1
	v_and_b32_e32 v3, 7, v3
	v_cndmask_b32_e32 v1, v7, v1, vcc
	v_cndmask_b32_e32 v3, v6, v3, vcc
	v_lshlrev_b32_e32 v2, 24, v2
	v_bfrev_b32_e32 v4, 60
	v_lshlrev_b32_e32 v3, 20, v3
	v_and_b32_e32 v2, 0x80000000, v2
	v_lshl_add_u32 v1, v1, 23, v4
	v_or3_b32 v3, v2, v1, v3
.LBB6_1340:                             ;   in Loop: Header=BB6_356 Depth=4
	s_or_b64 exec, exec, s[34:35]
.LBB6_1341:                             ;   in Loop: Header=BB6_356 Depth=4
	s_or_b64 exec, exec, s[30:31]
.LBB6_1342:                             ;   in Loop: Header=BB6_356 Depth=4
	s_or_b64 exec, exec, s[28:29]
	v_cmp_lt_u32_e32 vcc, s57, v16
	s_and_saveexec_b64 s[28:29], vcc
	s_cbranch_execz .LBB6_1348
; %bb.1343:                             ;   in Loop: Header=BB6_356 Depth=4
	v_lshrrev_b32_e32 v2, 24, v16
	v_cmp_ne_u32_e32 vcc, s80, v2
	v_bfrev_b32_e32 v0, 1
	s_and_saveexec_b64 s[30:31], vcc
	s_cbranch_execz .LBB6_1347
; %bb.1344:                             ;   in Loop: Header=BB6_356 Depth=4
	v_bfe_u32 v1, v16, 24, 7
	v_cmp_ne_u32_e32 vcc, s81, v1
	v_mov_b32_e32 v0, 0x7f800001
	s_and_saveexec_b64 s[34:35], vcc
	s_cbranch_execz .LBB6_1346
; %bb.1345:                             ;   in Loop: Header=BB6_356 Depth=4
	v_and_b32_e32 v4, 7, v2
	v_ffbh_u32_e32 v0, v4
	v_min_u32_e32 v7, 32, v0
	v_subrev_u32_e32 v0, 28, v7
	v_lshrrev_b32_e32 v6, 3, v1
	v_cmp_gt_u32_e32 vcc, 8, v1
	v_lshlrev_b64 v[0:1], v0, v[2:3]
	v_sub_u32_e32 v1, 29, v7
	v_and_b32_e32 v0, 7, v0
	v_cndmask_b32_e32 v1, v6, v1, vcc
	v_cndmask_b32_e32 v0, v4, v0, vcc
	v_lshlrev_b32_e32 v2, 24, v2
	v_bfrev_b32_e32 v4, 60
	v_lshlrev_b32_e32 v0, 20, v0
	v_and_b32_e32 v2, 0x80000000, v2
	v_lshl_add_u32 v1, v1, 23, v4
	v_or3_b32 v0, v2, v1, v0
.LBB6_1346:                             ;   in Loop: Header=BB6_356 Depth=4
	s_or_b64 exec, exec, s[34:35]
.LBB6_1347:                             ;   in Loop: Header=BB6_356 Depth=4
	s_or_b64 exec, exec, s[30:31]
.LBB6_1348:                             ;   in Loop: Header=BB6_356 Depth=4
	s_or_b64 exec, exec, s[28:29]
	v_mul_f32_e32 v2, v3, v0
	v_and_b32_e32 v20, 0x7f800000, v2
	v_cmp_ne_u64_e32 vcc, s[62:63], v[20:21]
                                        ; implicit-def: $vgpr48
	s_and_saveexec_b64 s[28:29], vcc
	s_xor_b64 s[30:31], exec, s[28:29]
	s_cbranch_execz .LBB6_1362
; %bb.1349:                             ;   in Loop: Header=BB6_356 Depth=4
	v_and_b32_e32 v20, 0x7fffffff, v2
	v_cmp_gt_u64_e32 vcc, s[78:79], v[20:21]
	v_and_b32_sdwa v0, v2, s80 dst_sel:DWORD dst_unused:UNUSED_PAD src0_sel:BYTE_3 src1_sel:DWORD
                                        ; implicit-def: $vgpr48
	s_and_saveexec_b64 s[28:29], vcc
	s_xor_b64 s[34:35], exec, s[28:29]
	s_cbranch_execz .LBB6_1359
; %bb.1350:                             ;   in Loop: Header=BB6_356 Depth=4
	v_mov_b32_e32 v48, 0
	v_cmp_ne_u32_e32 vcc, 0, v2
	s_and_saveexec_b64 s[36:37], vcc
	s_cbranch_execz .LBB6_1358
; %bb.1351:                             ;   in Loop: Header=BB6_356 Depth=4
	v_bfe_u32 v4, v2, 23, 8
	v_and_b32_e32 v1, 0x7fffff, v2
	v_cmp_gt_u32_e64 s[28:29], s47, v4
	v_sub_u32_e32 v2, 0x79, v4
	v_cmp_eq_u32_e32 vcc, 0, v4
	v_cndmask_b32_e64 v2, 0, v2, s[28:29]
	v_mov_b32_e32 v6, 0x78
	v_or_b32_e32 v3, 0x800000, v1
	v_cndmask_b32_e32 v6, v2, v6, vcc
	v_cndmask_b32_e32 v20, v3, v1, vcc
	v_add_u32_e32 v1, 20, v6
	v_lshlrev_b64 v[1:2], v1, -1
	v_add_u32_e32 v3, 19, v6
	v_lshlrev_b64 v[22:23], v3, 1
	v_bfi_b32 v2, v2, 0, 0
	v_bfi_b32 v1, v1, 0, v20
	v_cmp_eq_u64_e64 s[28:29], v[1:2], v[22:23]
	v_lshrrev_b64 v[2:3], v6, v[20:21]
	v_mov_b32_e32 v23, v3
	v_mov_b32_e32 v22, v2
	s_and_saveexec_b64 s[38:39], s[28:29]
; %bb.1352:                             ;   in Loop: Header=BB6_356 Depth=4
	v_bfe_u32 v1, v2, 20, 1
	v_add_co_u32_e64 v1, s[28:29], v2, v1
	v_add_co_u32_e64 v22, s[28:29], -1, v1
; %bb.1353:                             ;   in Loop: Header=BB6_356 Depth=4
	s_or_b64 exec, exec, s[38:39]
	v_add_u32_e32 v1, 0xffffff81, v4
	v_mov_b32_e32 v3, 0xffffff82
	v_cndmask_b32_e32 v1, v1, v3, vcc
	v_lshrrev_b32_e32 v3, 23, v2
	v_add3_u32 v6, v6, v1, v3
	v_add_u32_e32 v4, 6, v6
	v_and_b32_e32 v1, 0xfffff, v22
	v_add_u32_e32 v20, v1, v2
	v_cmp_ne_u32_e32 vcc, 0, v4
                                        ; implicit-def: $vgpr2_vgpr3
                                        ; implicit-def: $vgpr1
	s_and_saveexec_b64 s[28:29], vcc
	s_xor_b64 s[28:29], exec, s[28:29]
; %bb.1354:                             ;   in Loop: Header=BB6_356 Depth=4
	v_cmp_lt_u64_e32 vcc, s[88:89], v[20:21]
	v_add_u32_e32 v1, 7, v6
	v_cndmask_b32_e64 v2, 0, 1, vcc
	v_lshrrev_b64 v[2:3], v2, v[20:21]
	v_cndmask_b32_e32 v1, v4, v1, vcc
; %bb.1355:                             ;   in Loop: Header=BB6_356 Depth=4
	s_andn2_saveexec_b64 s[28:29], s[28:29]
; %bb.1356:                             ;   in Loop: Header=BB6_356 Depth=4
	v_mov_b32_e32 v2, v20
	v_bfe_u32 v1, v20, 23, 1
	v_mov_b32_e32 v3, v21
; %bb.1357:                             ;   in Loop: Header=BB6_356 Depth=4
	s_or_b64 exec, exec, s[28:29]
	v_lshrrev_b64 v[2:3], 20, v[2:3]
	v_cmp_gt_i32_e32 vcc, 16, v1
	v_cndmask_b32_e32 v3, 0, v3, vcc
	v_cndmask_b32_e32 v2, 7, v2, vcc
	v_cmp_eq_u32_e32 vcc, 0, v1
	v_min_i32_e32 v1, 15, v1
	v_cmp_eq_u64_e64 s[28:29], 0, v[2:3]
	v_lshlrev_b32_e32 v1, 3, v1
	v_and_b32_e32 v1, 0xf8, v1
	v_and_or_b32 v1, v2, 7, v1
	s_and_b64 s[28:29], vcc, s[28:29]
	v_cndmask_b32_e64 v1, v1, 0, s[28:29]
	v_or_b32_e32 v48, v1, v0
.LBB6_1358:                             ;   in Loop: Header=BB6_356 Depth=4
	s_or_b64 exec, exec, s[36:37]
                                        ; implicit-def: $vgpr0
.LBB6_1359:                             ;   in Loop: Header=BB6_356 Depth=4
	s_andn2_saveexec_b64 s[28:29], s[34:35]
; %bb.1360:                             ;   in Loop: Header=BB6_356 Depth=4
	v_or_b32_e32 v48, 0x7e, v0
; %bb.1361:                             ;   in Loop: Header=BB6_356 Depth=4
	s_or_b64 exec, exec, s[28:29]
                                        ; implicit-def: $vgpr2
.LBB6_1362:                             ;   in Loop: Header=BB6_356 Depth=4
	s_andn2_saveexec_b64 s[28:29], s[30:31]
; %bb.1363:                             ;   in Loop: Header=BB6_356 Depth=4
	v_or_b32_sdwa v48, v2, s81 dst_sel:DWORD dst_unused:UNUSED_PAD src0_sel:BYTE_3 src1_sel:DWORD
; %bb.1364:                             ;   in Loop: Header=BB6_356 Depth=4
	s_or_b64 exec, exec, s[28:29]
	v_mov_b32_e32 v20, v59
	v_cmp_ne_u16_sdwa vcc, v59, v21 src0_sel:BYTE_0 src1_sel:DWORD
	v_mov_b32_e32 v2, 0
	v_mov_b32_e32 v0, 0
	s_and_saveexec_b64 s[28:29], vcc
	s_cbranch_execz .LBB6_1370
; %bb.1365:                             ;   in Loop: Header=BB6_356 Depth=4
	v_cmp_ne_u16_sdwa vcc, v59, s80 src0_sel:BYTE_0 src1_sel:DWORD
	v_bfrev_b32_e32 v0, 1
	s_and_saveexec_b64 s[30:31], vcc
	s_cbranch_execz .LBB6_1369
; %bb.1366:                             ;   in Loop: Header=BB6_356 Depth=4
	v_and_b32_e32 v1, 0x7f, v59
	v_cmp_ne_u32_e32 vcc, s81, v1
	v_mov_b32_e32 v0, 0x7f800001
	s_and_saveexec_b64 s[34:35], vcc
	s_cbranch_execz .LBB6_1368
; %bb.1367:                             ;   in Loop: Header=BB6_356 Depth=4
	v_and_b32_e32 v0, 7, v59
	v_ffbh_u32_e32 v0, v0
	v_min_u32_e32 v0, 32, v0
	v_lshrrev_b32_e32 v3, 3, v1
	v_cmp_gt_u32_e32 vcc, 8, v1
	v_subrev_u32_e32 v1, 28, v0
	v_sub_u32_e32 v0, 29, v0
	v_cndmask_b32_e32 v3, v3, v0, vcc
	v_cndmask_b32_e32 v0, 0, v1, vcc
	v_lshlrev_b64 v[0:1], v0, v[20:21]
	v_lshlrev_b32_e32 v1, 24, v20
	v_lshlrev_b32_e32 v0, 20, v0
	v_bfrev_b32_e32 v4, 60
	v_and_b32_e32 v0, 0x700000, v0
	v_and_b32_e32 v1, 0x80000000, v1
	v_lshl_add_u32 v3, v3, 23, v4
	v_or3_b32 v0, v1, v3, v0
.LBB6_1368:                             ;   in Loop: Header=BB6_356 Depth=4
	s_or_b64 exec, exec, s[34:35]
.LBB6_1369:                             ;   in Loop: Header=BB6_356 Depth=4
	s_or_b64 exec, exec, s[30:31]
.LBB6_1370:                             ;   in Loop: Header=BB6_356 Depth=4
	s_or_b64 exec, exec, s[28:29]
	v_cmp_ne_u16_sdwa vcc, v17, v21 src0_sel:BYTE_0 src1_sel:DWORD
	s_and_saveexec_b64 s[28:29], vcc
	s_cbranch_execz .LBB6_1376
; %bb.1371:                             ;   in Loop: Header=BB6_356 Depth=4
	v_cmp_ne_u16_sdwa vcc, v17, s80 src0_sel:BYTE_0 src1_sel:DWORD
	v_bfrev_b32_e32 v2, 1
	s_and_saveexec_b64 s[30:31], vcc
	s_cbranch_execz .LBB6_1375
; %bb.1372:                             ;   in Loop: Header=BB6_356 Depth=4
	v_and_b32_e32 v1, 0x7f, v17
	v_cmp_ne_u32_e32 vcc, s81, v1
	v_mov_b32_e32 v2, 0x7f800001
	s_and_saveexec_b64 s[34:35], vcc
	s_cbranch_execz .LBB6_1374
; %bb.1373:                             ;   in Loop: Header=BB6_356 Depth=4
	v_and_b32_e32 v4, 7, v17
	v_lshrrev_b32_e32 v6, 3, v1
	v_cmp_gt_u32_e32 vcc, 8, v1
	v_ffbh_u32_e32 v1, v4
	v_min_u32_e32 v1, 32, v1
	v_subrev_u32_e32 v4, 28, v1
	v_mov_b32_e32 v2, v17
	v_mov_b32_e32 v3, v21
	v_cndmask_b32_e32 v4, 0, v4, vcc
	v_lshlrev_b64 v[3:4], v4, v[2:3]
	v_sub_u32_e32 v1, 29, v1
	v_cndmask_b32_e32 v1, v6, v1, vcc
	v_lshlrev_b32_e32 v3, 20, v3
	v_lshlrev_b32_e32 v2, 24, v2
	v_bfrev_b32_e32 v4, 60
	v_and_b32_e32 v3, 0x700000, v3
	v_and_b32_e32 v2, 0x80000000, v2
	v_lshl_add_u32 v1, v1, 23, v4
	v_or3_b32 v2, v2, v1, v3
.LBB6_1374:                             ;   in Loop: Header=BB6_356 Depth=4
	s_or_b64 exec, exec, s[34:35]
.LBB6_1375:                             ;   in Loop: Header=BB6_356 Depth=4
	s_or_b64 exec, exec, s[30:31]
.LBB6_1376:                             ;   in Loop: Header=BB6_356 Depth=4
	s_or_b64 exec, exec, s[28:29]
	v_mul_f32_e32 v2, v0, v2
	v_and_b32_e32 v0, 0x7f800000, v2
	v_mov_b32_e32 v1, v21
	v_cmp_ne_u64_e32 vcc, s[62:63], v[0:1]
                                        ; implicit-def: $vgpr40
	s_and_saveexec_b64 s[28:29], vcc
	s_xor_b64 s[30:31], exec, s[28:29]
	s_cbranch_execz .LBB6_1390
; %bb.1377:                             ;   in Loop: Header=BB6_356 Depth=4
	v_and_b32_e32 v0, 0x7fffffff, v2
	v_mov_b32_e32 v1, v21
	v_cmp_gt_u64_e32 vcc, s[78:79], v[0:1]
	v_and_b32_sdwa v0, v2, s80 dst_sel:DWORD dst_unused:UNUSED_PAD src0_sel:BYTE_3 src1_sel:DWORD
                                        ; implicit-def: $vgpr40
	s_and_saveexec_b64 s[28:29], vcc
	s_xor_b64 s[34:35], exec, s[28:29]
	s_cbranch_execz .LBB6_1387
; %bb.1378:                             ;   in Loop: Header=BB6_356 Depth=4
	v_mov_b32_e32 v40, 0
	v_cmp_ne_u32_e32 vcc, 0, v2
	s_and_saveexec_b64 s[36:37], vcc
	s_cbranch_execz .LBB6_1386
; %bb.1379:                             ;   in Loop: Header=BB6_356 Depth=4
	v_bfe_u32 v4, v2, 23, 8
	v_and_b32_e32 v1, 0x7fffff, v2
	v_cmp_gt_u32_e64 s[28:29], s47, v4
	v_sub_u32_e32 v2, 0x79, v4
	v_cmp_eq_u32_e32 vcc, 0, v4
	v_cndmask_b32_e64 v2, 0, v2, s[28:29]
	v_mov_b32_e32 v6, 0x78
	v_or_b32_e32 v3, 0x800000, v1
	v_cndmask_b32_e32 v6, v2, v6, vcc
	v_cndmask_b32_e32 v1, v3, v1, vcc
	v_add_u32_e32 v3, 20, v6
	v_mov_b32_e32 v2, v21
	v_lshlrev_b64 v[22:23], v3, -1
	v_add_u32_e32 v3, 19, v6
	v_lshlrev_b64 v[24:25], v3, 1
	v_lshrrev_b64 v[2:3], v6, v[1:2]
	v_bfi_b32 v23, v23, 0, 0
	v_bfi_b32 v22, v22, 0, v1
	v_cmp_eq_u64_e64 s[28:29], v[22:23], v[24:25]
	v_mov_b32_e32 v23, v3
	v_mov_b32_e32 v22, v2
	s_and_saveexec_b64 s[38:39], s[28:29]
; %bb.1380:                             ;   in Loop: Header=BB6_356 Depth=4
	v_bfe_u32 v1, v2, 20, 1
	v_add_co_u32_e64 v1, s[28:29], v2, v1
	v_add_co_u32_e64 v22, s[28:29], -1, v1
; %bb.1381:                             ;   in Loop: Header=BB6_356 Depth=4
	s_or_b64 exec, exec, s[38:39]
	v_add_u32_e32 v1, 0xffffff81, v4
	v_mov_b32_e32 v3, 0xffffff82
	v_cndmask_b32_e32 v1, v1, v3, vcc
	v_lshrrev_b32_e32 v3, 23, v2
	v_add3_u32 v6, v6, v1, v3
	v_add_u32_e32 v4, 6, v6
	v_and_b32_e32 v1, 0xfffff, v22
	v_add_u32_e32 v2, v1, v2
	v_mov_b32_e32 v3, v21
	v_cmp_ne_u32_e32 vcc, 0, v4
                                        ; implicit-def: $vgpr1
	s_and_saveexec_b64 s[28:29], vcc
	s_xor_b64 s[28:29], exec, s[28:29]
; %bb.1382:                             ;   in Loop: Header=BB6_356 Depth=4
	v_cmp_lt_u64_e32 vcc, s[88:89], v[2:3]
	v_add_u32_e32 v1, 7, v6
	v_cndmask_b32_e32 v1, v4, v1, vcc
	v_cndmask_b32_e64 v4, 0, 1, vcc
	v_lshrrev_b64 v[2:3], v4, v[2:3]
; %bb.1383:                             ;   in Loop: Header=BB6_356 Depth=4
	s_andn2_saveexec_b64 s[28:29], s[28:29]
; %bb.1384:                             ;   in Loop: Header=BB6_356 Depth=4
	v_bfe_u32 v1, v2, 23, 1
; %bb.1385:                             ;   in Loop: Header=BB6_356 Depth=4
	s_or_b64 exec, exec, s[28:29]
	v_lshrrev_b64 v[2:3], 20, v[2:3]
	v_cmp_gt_i32_e32 vcc, 16, v1
	v_cndmask_b32_e32 v3, 0, v3, vcc
	v_cndmask_b32_e32 v2, 7, v2, vcc
	v_cmp_eq_u32_e32 vcc, 0, v1
	v_min_i32_e32 v1, 15, v1
	v_cmp_eq_u64_e64 s[28:29], 0, v[2:3]
	v_lshlrev_b32_e32 v1, 3, v1
	v_and_b32_e32 v1, 0xf8, v1
	v_and_or_b32 v1, v2, 7, v1
	s_and_b64 s[28:29], vcc, s[28:29]
	v_cndmask_b32_e64 v1, v1, 0, s[28:29]
	v_or_b32_e32 v40, v1, v0
.LBB6_1386:                             ;   in Loop: Header=BB6_356 Depth=4
	s_or_b64 exec, exec, s[36:37]
                                        ; implicit-def: $vgpr0
.LBB6_1387:                             ;   in Loop: Header=BB6_356 Depth=4
	s_andn2_saveexec_b64 s[28:29], s[34:35]
; %bb.1388:                             ;   in Loop: Header=BB6_356 Depth=4
	v_or_b32_e32 v40, 0x7e, v0
; %bb.1389:                             ;   in Loop: Header=BB6_356 Depth=4
	s_or_b64 exec, exec, s[28:29]
                                        ; implicit-def: $vgpr2
.LBB6_1390:                             ;   in Loop: Header=BB6_356 Depth=4
	s_andn2_saveexec_b64 s[28:29], s[30:31]
; %bb.1391:                             ;   in Loop: Header=BB6_356 Depth=4
	v_or_b32_sdwa v40, v2, s81 dst_sel:DWORD dst_unused:UNUSED_PAD src0_sel:BYTE_3 src1_sel:DWORD
; %bb.1392:                             ;   in Loop: Header=BB6_356 Depth=4
	s_or_b64 exec, exec, s[28:29]
	v_lshrrev_b16_e32 v2, 8, v20
	v_cmp_ne_u16_e32 vcc, 0, v2
	v_mov_b32_e32 v0, 0
	v_mov_b32_e32 v3, 0
	s_and_saveexec_b64 s[28:29], vcc
	s_cbranch_execz .LBB6_1398
; %bb.1393:                             ;   in Loop: Header=BB6_356 Depth=4
	v_cmp_ne_u16_e32 vcc, s80, v2
	v_bfrev_b32_e32 v3, 1
	s_and_saveexec_b64 s[30:31], vcc
	s_cbranch_execz .LBB6_1397
; %bb.1394:                             ;   in Loop: Header=BB6_356 Depth=4
	v_and_b32_e32 v1, 0x7f, v2
	v_cmp_ne_u32_e32 vcc, s81, v1
	v_mov_b32_e32 v3, 0x7f800001
	s_and_saveexec_b64 s[34:35], vcc
	s_cbranch_execz .LBB6_1396
; %bb.1395:                             ;   in Loop: Header=BB6_356 Depth=4
	v_and_b32_e32 v3, 7, v2
	v_lshrrev_b32_e32 v4, 3, v1
	v_cmp_gt_u32_e32 vcc, 8, v1
	v_ffbh_u32_e32 v1, v3
	v_min_u32_e32 v6, 32, v1
	v_subrev_u32_e32 v1, 28, v6
	v_lshlrev_b64 v[1:2], v1, v[2:3]
	v_sub_u32_e32 v2, 29, v6
	v_and_b32_e32 v1, 7, v1
	v_cndmask_b32_e32 v2, v4, v2, vcc
	v_cndmask_b32_e32 v1, v3, v1, vcc
	v_lshlrev_b32_e32 v3, 16, v20
	v_bfrev_b32_e32 v4, 60
	v_lshlrev_b32_e32 v1, 20, v1
	v_and_b32_e32 v3, 0x80000000, v3
	v_lshl_add_u32 v2, v2, 23, v4
	v_or3_b32 v3, v3, v2, v1
.LBB6_1396:                             ;   in Loop: Header=BB6_356 Depth=4
	s_or_b64 exec, exec, s[34:35]
.LBB6_1397:                             ;   in Loop: Header=BB6_356 Depth=4
	s_or_b64 exec, exec, s[30:31]
.LBB6_1398:                             ;   in Loop: Header=BB6_356 Depth=4
	s_or_b64 exec, exec, s[28:29]
	v_lshrrev_b16_e32 v2, 8, v17
	v_cmp_ne_u16_e32 vcc, 0, v2
	s_and_saveexec_b64 s[28:29], vcc
	s_cbranch_execz .LBB6_1404
; %bb.1399:                             ;   in Loop: Header=BB6_356 Depth=4
	v_cmp_ne_u16_e32 vcc, s80, v2
	v_bfrev_b32_e32 v0, 1
	s_and_saveexec_b64 s[30:31], vcc
	s_cbranch_execz .LBB6_1403
; %bb.1400:                             ;   in Loop: Header=BB6_356 Depth=4
	v_and_b32_e32 v1, 0x7f, v2
	v_cmp_ne_u32_e32 vcc, s81, v1
	v_mov_b32_e32 v0, 0x7f800001
	s_and_saveexec_b64 s[34:35], vcc
	s_cbranch_execz .LBB6_1402
; %bb.1401:                             ;   in Loop: Header=BB6_356 Depth=4
	v_and_b32_e32 v4, 7, v2
	v_ffbh_u32_e32 v0, v4
	v_min_u32_e32 v7, 32, v0
	v_subrev_u32_e32 v0, 28, v7
	v_lshrrev_b32_e32 v6, 3, v1
	v_cmp_gt_u32_e32 vcc, 8, v1
	v_lshlrev_b64 v[0:1], v0, v[2:3]
	v_sub_u32_e32 v1, 29, v7
	v_and_b32_e32 v0, 7, v0
	v_cndmask_b32_e32 v1, v6, v1, vcc
	v_cndmask_b32_e32 v0, v4, v0, vcc
	v_lshlrev_b32_e32 v2, 16, v17
	v_bfrev_b32_e32 v4, 60
	v_lshlrev_b32_e32 v0, 20, v0
	v_and_b32_e32 v2, 0x80000000, v2
	v_lshl_add_u32 v1, v1, 23, v4
	v_or3_b32 v0, v2, v1, v0
.LBB6_1402:                             ;   in Loop: Header=BB6_356 Depth=4
	s_or_b64 exec, exec, s[34:35]
.LBB6_1403:                             ;   in Loop: Header=BB6_356 Depth=4
	s_or_b64 exec, exec, s[30:31]
.LBB6_1404:                             ;   in Loop: Header=BB6_356 Depth=4
	s_or_b64 exec, exec, s[28:29]
	v_mul_f32_e32 v2, v3, v0
	v_and_b32_e32 v20, 0x7f800000, v2
	v_cmp_ne_u64_e32 vcc, s[62:63], v[20:21]
                                        ; implicit-def: $vgpr41
	s_and_saveexec_b64 s[28:29], vcc
	s_xor_b64 s[30:31], exec, s[28:29]
	s_cbranch_execz .LBB6_1418
; %bb.1405:                             ;   in Loop: Header=BB6_356 Depth=4
	v_and_b32_e32 v20, 0x7fffffff, v2
	v_cmp_gt_u64_e32 vcc, s[78:79], v[20:21]
	v_and_b32_sdwa v0, v2, s80 dst_sel:DWORD dst_unused:UNUSED_PAD src0_sel:BYTE_3 src1_sel:DWORD
                                        ; implicit-def: $vgpr41
	s_and_saveexec_b64 s[28:29], vcc
	s_xor_b64 s[34:35], exec, s[28:29]
	s_cbranch_execz .LBB6_1415
; %bb.1406:                             ;   in Loop: Header=BB6_356 Depth=4
	v_mov_b32_e32 v41, 0
	v_cmp_ne_u32_e32 vcc, 0, v2
	s_and_saveexec_b64 s[36:37], vcc
	s_cbranch_execz .LBB6_1414
; %bb.1407:                             ;   in Loop: Header=BB6_356 Depth=4
	v_bfe_u32 v4, v2, 23, 8
	v_and_b32_e32 v1, 0x7fffff, v2
	v_cmp_gt_u32_e64 s[28:29], s47, v4
	v_sub_u32_e32 v2, 0x79, v4
	v_cmp_eq_u32_e32 vcc, 0, v4
	v_cndmask_b32_e64 v2, 0, v2, s[28:29]
	v_mov_b32_e32 v6, 0x78
	v_or_b32_e32 v3, 0x800000, v1
	v_cndmask_b32_e32 v6, v2, v6, vcc
	v_cndmask_b32_e32 v20, v3, v1, vcc
	v_add_u32_e32 v1, 20, v6
	v_lshlrev_b64 v[1:2], v1, -1
	v_add_u32_e32 v3, 19, v6
	v_lshlrev_b64 v[22:23], v3, 1
	v_bfi_b32 v2, v2, 0, 0
	v_bfi_b32 v1, v1, 0, v20
	v_cmp_eq_u64_e64 s[28:29], v[1:2], v[22:23]
	v_lshrrev_b64 v[2:3], v6, v[20:21]
	v_mov_b32_e32 v23, v3
	v_mov_b32_e32 v22, v2
	s_and_saveexec_b64 s[38:39], s[28:29]
; %bb.1408:                             ;   in Loop: Header=BB6_356 Depth=4
	v_bfe_u32 v1, v2, 20, 1
	v_add_co_u32_e64 v1, s[28:29], v2, v1
	v_add_co_u32_e64 v22, s[28:29], -1, v1
; %bb.1409:                             ;   in Loop: Header=BB6_356 Depth=4
	s_or_b64 exec, exec, s[38:39]
	v_add_u32_e32 v1, 0xffffff81, v4
	v_mov_b32_e32 v3, 0xffffff82
	v_cndmask_b32_e32 v1, v1, v3, vcc
	v_lshrrev_b32_e32 v3, 23, v2
	v_add3_u32 v6, v6, v1, v3
	v_add_u32_e32 v4, 6, v6
	v_and_b32_e32 v1, 0xfffff, v22
	v_add_u32_e32 v20, v1, v2
	v_cmp_ne_u32_e32 vcc, 0, v4
                                        ; implicit-def: $vgpr2_vgpr3
                                        ; implicit-def: $vgpr1
	s_and_saveexec_b64 s[28:29], vcc
	s_xor_b64 s[28:29], exec, s[28:29]
; %bb.1410:                             ;   in Loop: Header=BB6_356 Depth=4
	v_cmp_lt_u64_e32 vcc, s[88:89], v[20:21]
	v_add_u32_e32 v1, 7, v6
	v_cndmask_b32_e64 v2, 0, 1, vcc
	v_lshrrev_b64 v[2:3], v2, v[20:21]
	v_cndmask_b32_e32 v1, v4, v1, vcc
; %bb.1411:                             ;   in Loop: Header=BB6_356 Depth=4
	s_andn2_saveexec_b64 s[28:29], s[28:29]
; %bb.1412:                             ;   in Loop: Header=BB6_356 Depth=4
	v_mov_b32_e32 v2, v20
	v_bfe_u32 v1, v20, 23, 1
	v_mov_b32_e32 v3, v21
; %bb.1413:                             ;   in Loop: Header=BB6_356 Depth=4
	s_or_b64 exec, exec, s[28:29]
	v_lshrrev_b64 v[2:3], 20, v[2:3]
	v_cmp_gt_i32_e32 vcc, 16, v1
	v_cndmask_b32_e32 v3, 0, v3, vcc
	v_cndmask_b32_e32 v2, 7, v2, vcc
	v_cmp_eq_u32_e32 vcc, 0, v1
	v_min_i32_e32 v1, 15, v1
	v_cmp_eq_u64_e64 s[28:29], 0, v[2:3]
	v_lshlrev_b32_e32 v1, 3, v1
	v_and_b32_e32 v1, 0xf8, v1
	v_and_or_b32 v1, v2, 7, v1
	s_and_b64 s[28:29], vcc, s[28:29]
	v_cndmask_b32_e64 v1, v1, 0, s[28:29]
	v_or_b32_e32 v41, v1, v0
.LBB6_1414:                             ;   in Loop: Header=BB6_356 Depth=4
	s_or_b64 exec, exec, s[36:37]
                                        ; implicit-def: $vgpr0
.LBB6_1415:                             ;   in Loop: Header=BB6_356 Depth=4
	s_andn2_saveexec_b64 s[28:29], s[34:35]
; %bb.1416:                             ;   in Loop: Header=BB6_356 Depth=4
	v_or_b32_e32 v41, 0x7e, v0
; %bb.1417:                             ;   in Loop: Header=BB6_356 Depth=4
	s_or_b64 exec, exec, s[28:29]
                                        ; implicit-def: $vgpr2
.LBB6_1418:                             ;   in Loop: Header=BB6_356 Depth=4
	s_andn2_saveexec_b64 s[28:29], s[30:31]
; %bb.1419:                             ;   in Loop: Header=BB6_356 Depth=4
	v_or_b32_sdwa v41, v2, s81 dst_sel:DWORD dst_unused:UNUSED_PAD src0_sel:BYTE_3 src1_sel:DWORD
; %bb.1420:                             ;   in Loop: Header=BB6_356 Depth=4
	s_or_b64 exec, exec, s[28:29]
	v_lshrrev_b32_e32 v2, 16, v59
	v_cmp_ne_u16_sdwa vcc, v2, v21 src0_sel:BYTE_0 src1_sel:DWORD
	v_mov_b32_e32 v0, 0
	v_mov_b32_e32 v3, 0
	s_and_saveexec_b64 s[28:29], vcc
	s_cbranch_execz .LBB6_1426
; %bb.1421:                             ;   in Loop: Header=BB6_356 Depth=4
	v_cmp_ne_u16_sdwa vcc, v2, s80 src0_sel:BYTE_0 src1_sel:DWORD
	v_bfrev_b32_e32 v3, 1
	s_and_saveexec_b64 s[30:31], vcc
	s_cbranch_execz .LBB6_1425
; %bb.1422:                             ;   in Loop: Header=BB6_356 Depth=4
	v_bfe_u32 v1, v59, 16, 7
	v_cmp_ne_u32_e32 vcc, s81, v1
	v_mov_b32_e32 v3, 0x7f800001
	s_and_saveexec_b64 s[34:35], vcc
	s_cbranch_execz .LBB6_1424
; %bb.1423:                             ;   in Loop: Header=BB6_356 Depth=4
	v_and_b32_e32 v6, 7, v2
	v_lshrrev_b32_e32 v7, 3, v1
	v_cmp_gt_u32_e32 vcc, 8, v1
	v_ffbh_u32_e32 v1, v6
	v_min_u32_e32 v1, 32, v1
	v_subrev_u32_e32 v3, 28, v1
	v_lshlrev_b64 v[3:4], v3, v[2:3]
	v_sub_u32_e32 v1, 29, v1
	v_and_b32_e32 v3, 7, v3
	v_cndmask_b32_e32 v1, v7, v1, vcc
	v_cndmask_b32_e32 v3, v6, v3, vcc
	v_lshlrev_b32_e32 v2, 24, v2
	v_bfrev_b32_e32 v4, 60
	v_lshlrev_b32_e32 v3, 20, v3
	v_and_b32_e32 v2, 0x80000000, v2
	v_lshl_add_u32 v1, v1, 23, v4
	v_or3_b32 v3, v2, v1, v3
.LBB6_1424:                             ;   in Loop: Header=BB6_356 Depth=4
	s_or_b64 exec, exec, s[34:35]
.LBB6_1425:                             ;   in Loop: Header=BB6_356 Depth=4
	s_or_b64 exec, exec, s[30:31]
.LBB6_1426:                             ;   in Loop: Header=BB6_356 Depth=4
	s_or_b64 exec, exec, s[28:29]
	v_lshrrev_b32_e32 v2, 16, v17
	v_cmp_ne_u16_sdwa vcc, v2, v21 src0_sel:BYTE_0 src1_sel:DWORD
	s_and_saveexec_b64 s[28:29], vcc
	s_cbranch_execz .LBB6_1432
; %bb.1427:                             ;   in Loop: Header=BB6_356 Depth=4
	v_cmp_ne_u16_sdwa vcc, v2, s80 src0_sel:BYTE_0 src1_sel:DWORD
	v_bfrev_b32_e32 v0, 1
	s_and_saveexec_b64 s[30:31], vcc
	s_cbranch_execz .LBB6_1431
; %bb.1428:                             ;   in Loop: Header=BB6_356 Depth=4
	v_bfe_u32 v1, v17, 16, 7
	v_cmp_ne_u32_e32 vcc, s81, v1
	v_mov_b32_e32 v0, 0x7f800001
	s_and_saveexec_b64 s[34:35], vcc
	s_cbranch_execz .LBB6_1430
; %bb.1429:                             ;   in Loop: Header=BB6_356 Depth=4
	v_and_b32_e32 v4, 7, v2
	v_ffbh_u32_e32 v0, v4
	v_min_u32_e32 v7, 32, v0
	v_subrev_u32_e32 v0, 28, v7
	v_lshrrev_b32_e32 v6, 3, v1
	v_cmp_gt_u32_e32 vcc, 8, v1
	v_lshlrev_b64 v[0:1], v0, v[2:3]
	v_sub_u32_e32 v1, 29, v7
	v_and_b32_e32 v0, 7, v0
	v_cndmask_b32_e32 v1, v6, v1, vcc
	v_cndmask_b32_e32 v0, v4, v0, vcc
	v_lshlrev_b32_e32 v2, 8, v17
	v_bfrev_b32_e32 v4, 60
	v_lshlrev_b32_e32 v0, 20, v0
	v_and_b32_e32 v2, 0x80000000, v2
	v_lshl_add_u32 v1, v1, 23, v4
	v_or3_b32 v0, v2, v1, v0
.LBB6_1430:                             ;   in Loop: Header=BB6_356 Depth=4
	s_or_b64 exec, exec, s[34:35]
.LBB6_1431:                             ;   in Loop: Header=BB6_356 Depth=4
	s_or_b64 exec, exec, s[30:31]
.LBB6_1432:                             ;   in Loop: Header=BB6_356 Depth=4
	s_or_b64 exec, exec, s[28:29]
	v_mul_f32_e32 v2, v3, v0
	v_and_b32_e32 v20, 0x7f800000, v2
	v_cmp_ne_u64_e32 vcc, s[62:63], v[20:21]
                                        ; implicit-def: $vgpr22
	s_and_saveexec_b64 s[28:29], vcc
	s_xor_b64 s[30:31], exec, s[28:29]
	s_cbranch_execz .LBB6_1446
; %bb.1433:                             ;   in Loop: Header=BB6_356 Depth=4
	v_and_b32_e32 v20, 0x7fffffff, v2
	v_cmp_gt_u64_e32 vcc, s[78:79], v[20:21]
	v_and_b32_sdwa v0, v2, s80 dst_sel:DWORD dst_unused:UNUSED_PAD src0_sel:BYTE_3 src1_sel:DWORD
                                        ; implicit-def: $vgpr22
	s_and_saveexec_b64 s[28:29], vcc
	s_xor_b64 s[34:35], exec, s[28:29]
	s_cbranch_execz .LBB6_1443
; %bb.1434:                             ;   in Loop: Header=BB6_356 Depth=4
	v_mov_b32_e32 v22, 0
	v_cmp_ne_u32_e32 vcc, 0, v2
	s_and_saveexec_b64 s[36:37], vcc
	s_cbranch_execz .LBB6_1442
; %bb.1435:                             ;   in Loop: Header=BB6_356 Depth=4
	v_bfe_u32 v4, v2, 23, 8
	v_and_b32_e32 v1, 0x7fffff, v2
	v_cmp_gt_u32_e64 s[28:29], s47, v4
	v_sub_u32_e32 v2, 0x79, v4
	v_cmp_eq_u32_e32 vcc, 0, v4
	v_cndmask_b32_e64 v2, 0, v2, s[28:29]
	v_mov_b32_e32 v6, 0x78
	v_or_b32_e32 v3, 0x800000, v1
	v_cndmask_b32_e32 v6, v2, v6, vcc
	v_cndmask_b32_e32 v20, v3, v1, vcc
	v_add_u32_e32 v1, 20, v6
	v_lshlrev_b64 v[1:2], v1, -1
	v_add_u32_e32 v3, 19, v6
	v_lshlrev_b64 v[22:23], v3, 1
	v_bfi_b32 v2, v2, 0, 0
	v_bfi_b32 v1, v1, 0, v20
	v_cmp_eq_u64_e64 s[28:29], v[1:2], v[22:23]
	v_lshrrev_b64 v[2:3], v6, v[20:21]
	v_mov_b32_e32 v23, v3
	v_mov_b32_e32 v22, v2
	s_and_saveexec_b64 s[38:39], s[28:29]
; %bb.1436:                             ;   in Loop: Header=BB6_356 Depth=4
	v_bfe_u32 v1, v2, 20, 1
	v_add_co_u32_e64 v1, s[28:29], v2, v1
	v_add_co_u32_e64 v22, s[28:29], -1, v1
; %bb.1437:                             ;   in Loop: Header=BB6_356 Depth=4
	s_or_b64 exec, exec, s[38:39]
	v_add_u32_e32 v1, 0xffffff81, v4
	v_mov_b32_e32 v3, 0xffffff82
	v_cndmask_b32_e32 v1, v1, v3, vcc
	v_lshrrev_b32_e32 v3, 23, v2
	v_add3_u32 v6, v6, v1, v3
	v_add_u32_e32 v4, 6, v6
	v_and_b32_e32 v1, 0xfffff, v22
	v_add_u32_e32 v20, v1, v2
	v_cmp_ne_u32_e32 vcc, 0, v4
                                        ; implicit-def: $vgpr2_vgpr3
                                        ; implicit-def: $vgpr1
	s_and_saveexec_b64 s[28:29], vcc
	s_xor_b64 s[28:29], exec, s[28:29]
; %bb.1438:                             ;   in Loop: Header=BB6_356 Depth=4
	v_cmp_lt_u64_e32 vcc, s[88:89], v[20:21]
	v_add_u32_e32 v1, 7, v6
	v_cndmask_b32_e64 v2, 0, 1, vcc
	v_lshrrev_b64 v[2:3], v2, v[20:21]
	v_cndmask_b32_e32 v1, v4, v1, vcc
; %bb.1439:                             ;   in Loop: Header=BB6_356 Depth=4
	s_andn2_saveexec_b64 s[28:29], s[28:29]
; %bb.1440:                             ;   in Loop: Header=BB6_356 Depth=4
	v_mov_b32_e32 v2, v20
	v_bfe_u32 v1, v20, 23, 1
	v_mov_b32_e32 v3, v21
; %bb.1441:                             ;   in Loop: Header=BB6_356 Depth=4
	s_or_b64 exec, exec, s[28:29]
	v_lshrrev_b64 v[2:3], 20, v[2:3]
	v_cmp_gt_i32_e32 vcc, 16, v1
	v_cndmask_b32_e32 v3, 0, v3, vcc
	v_cndmask_b32_e32 v2, 7, v2, vcc
	v_cmp_eq_u32_e32 vcc, 0, v1
	v_min_i32_e32 v1, 15, v1
	v_cmp_eq_u64_e64 s[28:29], 0, v[2:3]
	v_lshlrev_b32_e32 v1, 3, v1
	v_and_b32_e32 v1, 0xf8, v1
	v_and_or_b32 v1, v2, 7, v1
	s_and_b64 s[28:29], vcc, s[28:29]
	v_cndmask_b32_e64 v1, v1, 0, s[28:29]
	v_or_b32_e32 v22, v1, v0
.LBB6_1442:                             ;   in Loop: Header=BB6_356 Depth=4
	s_or_b64 exec, exec, s[36:37]
                                        ; implicit-def: $vgpr0
.LBB6_1443:                             ;   in Loop: Header=BB6_356 Depth=4
	s_andn2_saveexec_b64 s[28:29], s[34:35]
; %bb.1444:                             ;   in Loop: Header=BB6_356 Depth=4
	v_or_b32_e32 v22, 0x7e, v0
; %bb.1445:                             ;   in Loop: Header=BB6_356 Depth=4
	s_or_b64 exec, exec, s[28:29]
                                        ; implicit-def: $vgpr2
.LBB6_1446:                             ;   in Loop: Header=BB6_356 Depth=4
	s_andn2_saveexec_b64 s[28:29], s[30:31]
; %bb.1447:                             ;   in Loop: Header=BB6_356 Depth=4
	v_or_b32_sdwa v22, v2, s81 dst_sel:DWORD dst_unused:UNUSED_PAD src0_sel:BYTE_3 src1_sel:DWORD
; %bb.1448:                             ;   in Loop: Header=BB6_356 Depth=4
	s_or_b64 exec, exec, s[28:29]
	v_cmp_lt_u64_e32 vcc, s[56:57], v[58:59]
	v_mov_b32_e32 v0, 0
	v_mov_b32_e32 v3, 0
	s_and_saveexec_b64 s[28:29], vcc
	s_cbranch_execz .LBB6_1454
; %bb.1449:                             ;   in Loop: Header=BB6_356 Depth=4
	v_lshrrev_b32_e32 v2, 24, v59
	v_cmp_ne_u32_e32 vcc, s80, v2
	v_bfrev_b32_e32 v3, 1
	s_and_saveexec_b64 s[30:31], vcc
	s_cbranch_execz .LBB6_1453
; %bb.1450:                             ;   in Loop: Header=BB6_356 Depth=4
	v_bfe_u32 v1, v59, 24, 7
	v_cmp_ne_u32_e32 vcc, s81, v1
	v_mov_b32_e32 v3, 0x7f800001
	s_and_saveexec_b64 s[34:35], vcc
	s_cbranch_execz .LBB6_1452
; %bb.1451:                             ;   in Loop: Header=BB6_356 Depth=4
	v_and_b32_e32 v6, 7, v2
	v_lshrrev_b32_e32 v7, 3, v1
	v_cmp_gt_u32_e32 vcc, 8, v1
	v_ffbh_u32_e32 v1, v6
	v_min_u32_e32 v1, 32, v1
	v_subrev_u32_e32 v3, 28, v1
	v_lshlrev_b64 v[3:4], v3, v[2:3]
	v_sub_u32_e32 v1, 29, v1
	v_and_b32_e32 v3, 7, v3
	v_cndmask_b32_e32 v1, v7, v1, vcc
	v_cndmask_b32_e32 v3, v6, v3, vcc
	v_lshlrev_b32_e32 v2, 24, v2
	v_bfrev_b32_e32 v4, 60
	v_lshlrev_b32_e32 v3, 20, v3
	v_and_b32_e32 v2, 0x80000000, v2
	v_lshl_add_u32 v1, v1, 23, v4
	v_or3_b32 v3, v2, v1, v3
.LBB6_1452:                             ;   in Loop: Header=BB6_356 Depth=4
	s_or_b64 exec, exec, s[34:35]
.LBB6_1453:                             ;   in Loop: Header=BB6_356 Depth=4
	s_or_b64 exec, exec, s[30:31]
.LBB6_1454:                             ;   in Loop: Header=BB6_356 Depth=4
	s_or_b64 exec, exec, s[28:29]
	v_cmp_lt_u64_e32 vcc, s[56:57], v[16:17]
	s_and_saveexec_b64 s[28:29], vcc
	s_cbranch_execz .LBB6_1460
; %bb.1455:                             ;   in Loop: Header=BB6_356 Depth=4
	v_lshrrev_b32_e32 v2, 24, v17
	v_cmp_ne_u32_e32 vcc, s80, v2
	v_bfrev_b32_e32 v0, 1
	s_and_saveexec_b64 s[30:31], vcc
	s_cbranch_execz .LBB6_1459
; %bb.1456:                             ;   in Loop: Header=BB6_356 Depth=4
	v_bfe_u32 v1, v17, 24, 7
	v_cmp_ne_u32_e32 vcc, s81, v1
	v_mov_b32_e32 v0, 0x7f800001
	s_and_saveexec_b64 s[34:35], vcc
	s_cbranch_execz .LBB6_1458
; %bb.1457:                             ;   in Loop: Header=BB6_356 Depth=4
	v_and_b32_e32 v4, 7, v2
	v_ffbh_u32_e32 v0, v4
	v_min_u32_e32 v7, 32, v0
	v_subrev_u32_e32 v0, 28, v7
	v_lshrrev_b32_e32 v6, 3, v1
	v_cmp_gt_u32_e32 vcc, 8, v1
	v_lshlrev_b64 v[0:1], v0, v[2:3]
	v_sub_u32_e32 v1, 29, v7
	v_and_b32_e32 v0, 7, v0
	v_cndmask_b32_e32 v1, v6, v1, vcc
	v_cndmask_b32_e32 v0, v4, v0, vcc
	v_lshlrev_b32_e32 v2, 24, v2
	v_bfrev_b32_e32 v4, 60
	v_lshlrev_b32_e32 v0, 20, v0
	v_and_b32_e32 v2, 0x80000000, v2
	v_lshl_add_u32 v1, v1, 23, v4
	v_or3_b32 v0, v2, v1, v0
.LBB6_1458:                             ;   in Loop: Header=BB6_356 Depth=4
	s_or_b64 exec, exec, s[34:35]
.LBB6_1459:                             ;   in Loop: Header=BB6_356 Depth=4
	s_or_b64 exec, exec, s[30:31]
.LBB6_1460:                             ;   in Loop: Header=BB6_356 Depth=4
	s_or_b64 exec, exec, s[28:29]
	v_mul_f32_e32 v2, v3, v0
	v_and_b32_e32 v20, 0x7f800000, v2
	v_cmp_ne_u64_e32 vcc, s[62:63], v[20:21]
                                        ; implicit-def: $vgpr23
	s_and_saveexec_b64 s[28:29], vcc
	s_xor_b64 s[30:31], exec, s[28:29]
	s_cbranch_execz .LBB6_1474
; %bb.1461:                             ;   in Loop: Header=BB6_356 Depth=4
	v_and_b32_e32 v20, 0x7fffffff, v2
	v_cmp_gt_u64_e32 vcc, s[78:79], v[20:21]
	v_and_b32_sdwa v0, v2, s80 dst_sel:DWORD dst_unused:UNUSED_PAD src0_sel:BYTE_3 src1_sel:DWORD
                                        ; implicit-def: $vgpr23
	s_and_saveexec_b64 s[28:29], vcc
	s_xor_b64 s[34:35], exec, s[28:29]
	s_cbranch_execz .LBB6_1471
; %bb.1462:                             ;   in Loop: Header=BB6_356 Depth=4
	v_mov_b32_e32 v23, 0
	v_cmp_ne_u32_e32 vcc, 0, v2
	s_and_saveexec_b64 s[36:37], vcc
	s_cbranch_execz .LBB6_1470
; %bb.1463:                             ;   in Loop: Header=BB6_356 Depth=4
	v_bfe_u32 v4, v2, 23, 8
	v_and_b32_e32 v1, 0x7fffff, v2
	v_cmp_gt_u32_e64 s[28:29], s47, v4
	v_sub_u32_e32 v2, 0x79, v4
	v_cmp_eq_u32_e32 vcc, 0, v4
	v_cndmask_b32_e64 v2, 0, v2, s[28:29]
	v_mov_b32_e32 v6, 0x78
	v_or_b32_e32 v3, 0x800000, v1
	v_cndmask_b32_e32 v6, v2, v6, vcc
	v_cndmask_b32_e32 v20, v3, v1, vcc
	v_add_u32_e32 v1, 20, v6
	v_lshlrev_b64 v[1:2], v1, -1
	v_add_u32_e32 v3, 19, v6
	v_lshlrev_b64 v[16:17], v3, 1
	v_bfi_b32 v2, v2, 0, 0
	v_bfi_b32 v1, v1, 0, v20
	v_cmp_eq_u64_e64 s[28:29], v[1:2], v[16:17]
	v_lshrrev_b64 v[2:3], v6, v[20:21]
	v_mov_b32_e32 v17, v3
	v_mov_b32_e32 v16, v2
	s_and_saveexec_b64 s[38:39], s[28:29]
; %bb.1464:                             ;   in Loop: Header=BB6_356 Depth=4
	v_bfe_u32 v1, v2, 20, 1
	v_add_co_u32_e64 v1, s[28:29], v2, v1
	v_add_co_u32_e64 v16, s[28:29], -1, v1
; %bb.1465:                             ;   in Loop: Header=BB6_356 Depth=4
	s_or_b64 exec, exec, s[38:39]
	v_add_u32_e32 v1, 0xffffff81, v4
	v_mov_b32_e32 v3, 0xffffff82
	v_cndmask_b32_e32 v1, v1, v3, vcc
	v_lshrrev_b32_e32 v3, 23, v2
	v_add3_u32 v6, v6, v1, v3
	v_add_u32_e32 v4, 6, v6
	v_and_b32_e32 v1, 0xfffff, v16
	v_add_u32_e32 v20, v1, v2
	v_cmp_ne_u32_e32 vcc, 0, v4
                                        ; implicit-def: $vgpr2_vgpr3
                                        ; implicit-def: $vgpr1
	s_and_saveexec_b64 s[28:29], vcc
	s_xor_b64 s[28:29], exec, s[28:29]
; %bb.1466:                             ;   in Loop: Header=BB6_356 Depth=4
	v_cmp_lt_u64_e32 vcc, s[88:89], v[20:21]
	v_add_u32_e32 v1, 7, v6
	v_cndmask_b32_e64 v2, 0, 1, vcc
	v_lshrrev_b64 v[2:3], v2, v[20:21]
	v_cndmask_b32_e32 v1, v4, v1, vcc
; %bb.1467:                             ;   in Loop: Header=BB6_356 Depth=4
	s_andn2_saveexec_b64 s[28:29], s[28:29]
; %bb.1468:                             ;   in Loop: Header=BB6_356 Depth=4
	v_mov_b32_e32 v2, v20
	v_bfe_u32 v1, v20, 23, 1
	v_mov_b32_e32 v3, v21
; %bb.1469:                             ;   in Loop: Header=BB6_356 Depth=4
	s_or_b64 exec, exec, s[28:29]
	v_lshrrev_b64 v[2:3], 20, v[2:3]
	v_cmp_gt_i32_e32 vcc, 16, v1
	v_cndmask_b32_e32 v3, 0, v3, vcc
	v_cndmask_b32_e32 v2, 7, v2, vcc
	v_cmp_eq_u32_e32 vcc, 0, v1
	v_min_i32_e32 v1, 15, v1
	v_cmp_eq_u64_e64 s[28:29], 0, v[2:3]
	v_lshlrev_b32_e32 v1, 3, v1
	v_and_b32_e32 v1, 0xf8, v1
	v_and_or_b32 v1, v2, 7, v1
	s_and_b64 s[28:29], vcc, s[28:29]
	v_cndmask_b32_e64 v1, v1, 0, s[28:29]
	v_or_b32_e32 v23, v1, v0
.LBB6_1470:                             ;   in Loop: Header=BB6_356 Depth=4
	s_or_b64 exec, exec, s[36:37]
                                        ; implicit-def: $vgpr0
.LBB6_1471:                             ;   in Loop: Header=BB6_356 Depth=4
	s_andn2_saveexec_b64 s[28:29], s[34:35]
; %bb.1472:                             ;   in Loop: Header=BB6_356 Depth=4
	v_or_b32_e32 v23, 0x7e, v0
; %bb.1473:                             ;   in Loop: Header=BB6_356 Depth=4
	s_or_b64 exec, exec, s[28:29]
                                        ; implicit-def: $vgpr2
.LBB6_1474:                             ;   in Loop: Header=BB6_356 Depth=4
	s_andn2_saveexec_b64 s[28:29], s[30:31]
; %bb.1475:                             ;   in Loop: Header=BB6_356 Depth=4
	v_or_b32_sdwa v23, v2, s81 dst_sel:DWORD dst_unused:UNUSED_PAD src0_sel:BYTE_3 src1_sel:DWORD
; %bb.1476:                             ;   in Loop: Header=BB6_356 Depth=4
	s_or_b64 exec, exec, s[28:29]
	v_cmp_ne_u16_sdwa vcc, v60, v21 src0_sel:BYTE_0 src1_sel:DWORD
	v_mov_b32_e32 v0, 0
	v_mov_b32_e32 v2, 0
	s_and_saveexec_b64 s[28:29], vcc
	s_cbranch_execz .LBB6_1482
; %bb.1477:                             ;   in Loop: Header=BB6_356 Depth=4
	v_cmp_ne_u16_sdwa vcc, v60, s80 src0_sel:BYTE_0 src1_sel:DWORD
	v_bfrev_b32_e32 v2, 1
	s_and_saveexec_b64 s[30:31], vcc
	s_cbranch_execz .LBB6_1481
; %bb.1478:                             ;   in Loop: Header=BB6_356 Depth=4
	v_and_b32_e32 v1, 0x7f, v60
	v_cmp_ne_u32_e32 vcc, s81, v1
	v_mov_b32_e32 v2, 0x7f800001
	s_and_saveexec_b64 s[34:35], vcc
	s_cbranch_execz .LBB6_1480
; %bb.1479:                             ;   in Loop: Header=BB6_356 Depth=4
	v_and_b32_e32 v2, 7, v60
	v_lshrrev_b32_e32 v3, 3, v1
	v_cmp_gt_u32_e32 vcc, 8, v1
	v_ffbh_u32_e32 v1, v2
	v_min_u32_e32 v1, 32, v1
	v_subrev_u32_e32 v2, 28, v1
	v_sub_u32_e32 v1, 29, v1
	v_cndmask_b32_e32 v3, v3, v1, vcc
	v_cndmask_b32_e32 v1, 0, v2, vcc
	v_lshlrev_b64 v[1:2], v1, v[60:61]
	v_lshlrev_b32_e32 v2, 24, v60
	v_lshlrev_b32_e32 v1, 20, v1
	v_bfrev_b32_e32 v4, 60
	v_and_b32_e32 v1, 0x700000, v1
	v_and_b32_e32 v2, 0x80000000, v2
	v_lshl_add_u32 v3, v3, 23, v4
	v_or3_b32 v2, v2, v3, v1
.LBB6_1480:                             ;   in Loop: Header=BB6_356 Depth=4
	s_or_b64 exec, exec, s[34:35]
.LBB6_1481:                             ;   in Loop: Header=BB6_356 Depth=4
	s_or_b64 exec, exec, s[30:31]
.LBB6_1482:                             ;   in Loop: Header=BB6_356 Depth=4
	s_or_b64 exec, exec, s[28:29]
	v_cmp_ne_u16_sdwa vcc, v18, v21 src0_sel:BYTE_0 src1_sel:DWORD
	s_and_saveexec_b64 s[28:29], vcc
	s_cbranch_execz .LBB6_1488
; %bb.1483:                             ;   in Loop: Header=BB6_356 Depth=4
	v_cmp_ne_u16_sdwa vcc, v18, s80 src0_sel:BYTE_0 src1_sel:DWORD
	v_bfrev_b32_e32 v0, 1
	s_and_saveexec_b64 s[30:31], vcc
	s_cbranch_execz .LBB6_1487
; %bb.1484:                             ;   in Loop: Header=BB6_356 Depth=4
	v_and_b32_e32 v1, 0x7f, v18
	v_cmp_ne_u32_e32 vcc, s81, v1
	v_mov_b32_e32 v0, 0x7f800001
	s_and_saveexec_b64 s[34:35], vcc
	s_cbranch_execz .LBB6_1486
; %bb.1485:                             ;   in Loop: Header=BB6_356 Depth=4
	v_and_b32_e32 v0, 7, v18
	v_ffbh_u32_e32 v0, v0
	v_min_u32_e32 v0, 32, v0
	v_lshrrev_b32_e32 v3, 3, v1
	v_cmp_gt_u32_e32 vcc, 8, v1
	v_subrev_u32_e32 v1, 28, v0
	v_sub_u32_e32 v0, 29, v0
	v_cndmask_b32_e32 v3, v3, v0, vcc
	v_cndmask_b32_e32 v0, 0, v1, vcc
	v_lshlrev_b64 v[0:1], v0, v[18:19]
	v_lshlrev_b32_e32 v1, 24, v18
	v_lshlrev_b32_e32 v0, 20, v0
	v_bfrev_b32_e32 v4, 60
	v_and_b32_e32 v0, 0x700000, v0
	v_and_b32_e32 v1, 0x80000000, v1
	v_lshl_add_u32 v3, v3, 23, v4
	v_or3_b32 v0, v1, v3, v0
.LBB6_1486:                             ;   in Loop: Header=BB6_356 Depth=4
	s_or_b64 exec, exec, s[34:35]
.LBB6_1487:                             ;   in Loop: Header=BB6_356 Depth=4
	s_or_b64 exec, exec, s[30:31]
.LBB6_1488:                             ;   in Loop: Header=BB6_356 Depth=4
	s_or_b64 exec, exec, s[28:29]
	v_mul_f32_e32 v2, v2, v0
	v_and_b32_e32 v20, 0x7f800000, v2
	v_cmp_ne_u64_e32 vcc, s[62:63], v[20:21]
                                        ; implicit-def: $vgpr58
	s_and_saveexec_b64 s[28:29], vcc
	s_xor_b64 s[30:31], exec, s[28:29]
	s_cbranch_execz .LBB6_1502
; %bb.1489:                             ;   in Loop: Header=BB6_356 Depth=4
	v_and_b32_e32 v20, 0x7fffffff, v2
	v_cmp_gt_u64_e32 vcc, s[78:79], v[20:21]
	v_and_b32_sdwa v0, v2, s80 dst_sel:DWORD dst_unused:UNUSED_PAD src0_sel:BYTE_3 src1_sel:DWORD
                                        ; implicit-def: $vgpr58
	s_and_saveexec_b64 s[28:29], vcc
	s_xor_b64 s[34:35], exec, s[28:29]
	s_cbranch_execz .LBB6_1499
; %bb.1490:                             ;   in Loop: Header=BB6_356 Depth=4
	v_mov_b32_e32 v58, 0
	v_cmp_ne_u32_e32 vcc, 0, v2
	s_and_saveexec_b64 s[36:37], vcc
	s_cbranch_execz .LBB6_1498
; %bb.1491:                             ;   in Loop: Header=BB6_356 Depth=4
	v_bfe_u32 v4, v2, 23, 8
	v_and_b32_e32 v1, 0x7fffff, v2
	v_cmp_gt_u32_e64 s[28:29], s47, v4
	v_sub_u32_e32 v2, 0x79, v4
	v_cmp_eq_u32_e32 vcc, 0, v4
	v_cndmask_b32_e64 v2, 0, v2, s[28:29]
	v_mov_b32_e32 v6, 0x78
	v_or_b32_e32 v3, 0x800000, v1
	v_cndmask_b32_e32 v6, v2, v6, vcc
	v_cndmask_b32_e32 v20, v3, v1, vcc
	v_add_u32_e32 v1, 20, v6
	v_lshlrev_b64 v[1:2], v1, -1
	v_add_u32_e32 v3, 19, v6
	v_lshlrev_b64 v[16:17], v3, 1
	v_bfi_b32 v2, v2, 0, 0
	v_bfi_b32 v1, v1, 0, v20
	v_cmp_eq_u64_e64 s[28:29], v[1:2], v[16:17]
	v_lshrrev_b64 v[2:3], v6, v[20:21]
	v_mov_b32_e32 v17, v3
	v_mov_b32_e32 v16, v2
	s_and_saveexec_b64 s[38:39], s[28:29]
; %bb.1492:                             ;   in Loop: Header=BB6_356 Depth=4
	v_bfe_u32 v1, v2, 20, 1
	v_add_co_u32_e64 v1, s[28:29], v2, v1
	v_add_co_u32_e64 v16, s[28:29], -1, v1
; %bb.1493:                             ;   in Loop: Header=BB6_356 Depth=4
	s_or_b64 exec, exec, s[38:39]
	v_add_u32_e32 v1, 0xffffff81, v4
	v_mov_b32_e32 v3, 0xffffff82
	v_cndmask_b32_e32 v1, v1, v3, vcc
	v_lshrrev_b32_e32 v3, 23, v2
	v_add3_u32 v6, v6, v1, v3
	v_add_u32_e32 v4, 6, v6
	v_and_b32_e32 v1, 0xfffff, v16
	v_add_u32_e32 v20, v1, v2
	v_cmp_ne_u32_e32 vcc, 0, v4
                                        ; implicit-def: $vgpr2_vgpr3
                                        ; implicit-def: $vgpr1
	s_and_saveexec_b64 s[28:29], vcc
	s_xor_b64 s[28:29], exec, s[28:29]
; %bb.1494:                             ;   in Loop: Header=BB6_356 Depth=4
	v_cmp_lt_u64_e32 vcc, s[88:89], v[20:21]
	v_add_u32_e32 v1, 7, v6
	v_cndmask_b32_e64 v2, 0, 1, vcc
	v_lshrrev_b64 v[2:3], v2, v[20:21]
	v_cndmask_b32_e32 v1, v4, v1, vcc
; %bb.1495:                             ;   in Loop: Header=BB6_356 Depth=4
	s_andn2_saveexec_b64 s[28:29], s[28:29]
; %bb.1496:                             ;   in Loop: Header=BB6_356 Depth=4
	v_mov_b32_e32 v2, v20
	v_bfe_u32 v1, v20, 23, 1
	v_mov_b32_e32 v3, v21
; %bb.1497:                             ;   in Loop: Header=BB6_356 Depth=4
	s_or_b64 exec, exec, s[28:29]
	v_lshrrev_b64 v[2:3], 20, v[2:3]
	v_cmp_gt_i32_e32 vcc, 16, v1
	v_cndmask_b32_e32 v3, 0, v3, vcc
	v_cndmask_b32_e32 v2, 7, v2, vcc
	v_cmp_eq_u32_e32 vcc, 0, v1
	v_min_i32_e32 v1, 15, v1
	v_cmp_eq_u64_e64 s[28:29], 0, v[2:3]
	v_lshlrev_b32_e32 v1, 3, v1
	v_and_b32_e32 v1, 0xf8, v1
	v_and_or_b32 v1, v2, 7, v1
	s_and_b64 s[28:29], vcc, s[28:29]
	v_cndmask_b32_e64 v1, v1, 0, s[28:29]
	v_or_b32_e32 v58, v1, v0
.LBB6_1498:                             ;   in Loop: Header=BB6_356 Depth=4
	s_or_b64 exec, exec, s[36:37]
                                        ; implicit-def: $vgpr0
.LBB6_1499:                             ;   in Loop: Header=BB6_356 Depth=4
	s_andn2_saveexec_b64 s[28:29], s[34:35]
; %bb.1500:                             ;   in Loop: Header=BB6_356 Depth=4
	v_or_b32_e32 v58, 0x7e, v0
; %bb.1501:                             ;   in Loop: Header=BB6_356 Depth=4
	s_or_b64 exec, exec, s[28:29]
                                        ; implicit-def: $vgpr2
.LBB6_1502:                             ;   in Loop: Header=BB6_356 Depth=4
	s_andn2_saveexec_b64 s[28:29], s[30:31]
; %bb.1503:                             ;   in Loop: Header=BB6_356 Depth=4
	v_or_b32_sdwa v58, v2, s81 dst_sel:DWORD dst_unused:UNUSED_PAD src0_sel:BYTE_3 src1_sel:DWORD
; %bb.1504:                             ;   in Loop: Header=BB6_356 Depth=4
	s_or_b64 exec, exec, s[28:29]
	v_lshrrev_b16_e32 v2, 8, v60
	v_cmp_ne_u16_e32 vcc, 0, v2
	v_mov_b32_e32 v0, 0
	v_mov_b32_e32 v3, 0
	s_and_saveexec_b64 s[28:29], vcc
	s_cbranch_execz .LBB6_1510
; %bb.1505:                             ;   in Loop: Header=BB6_356 Depth=4
	v_cmp_ne_u16_e32 vcc, s80, v2
	v_bfrev_b32_e32 v3, 1
	s_and_saveexec_b64 s[30:31], vcc
	s_cbranch_execz .LBB6_1509
; %bb.1506:                             ;   in Loop: Header=BB6_356 Depth=4
	v_and_b32_e32 v1, 0x7f, v2
	v_cmp_ne_u32_e32 vcc, s81, v1
	v_mov_b32_e32 v3, 0x7f800001
	s_and_saveexec_b64 s[34:35], vcc
	s_cbranch_execz .LBB6_1508
; %bb.1507:                             ;   in Loop: Header=BB6_356 Depth=4
	v_and_b32_e32 v3, 7, v2
	v_lshrrev_b32_e32 v4, 3, v1
	v_cmp_gt_u32_e32 vcc, 8, v1
	v_ffbh_u32_e32 v1, v3
	v_min_u32_e32 v6, 32, v1
	v_subrev_u32_e32 v1, 28, v6
	v_lshlrev_b64 v[1:2], v1, v[2:3]
	v_sub_u32_e32 v2, 29, v6
	v_and_b32_e32 v1, 7, v1
	v_cndmask_b32_e32 v2, v4, v2, vcc
	v_cndmask_b32_e32 v1, v3, v1, vcc
	v_lshlrev_b32_e32 v3, 16, v60
	v_bfrev_b32_e32 v4, 60
	v_lshlrev_b32_e32 v1, 20, v1
	v_and_b32_e32 v3, 0x80000000, v3
	v_lshl_add_u32 v2, v2, 23, v4
	v_or3_b32 v3, v3, v2, v1
.LBB6_1508:                             ;   in Loop: Header=BB6_356 Depth=4
	s_or_b64 exec, exec, s[34:35]
.LBB6_1509:                             ;   in Loop: Header=BB6_356 Depth=4
	s_or_b64 exec, exec, s[30:31]
.LBB6_1510:                             ;   in Loop: Header=BB6_356 Depth=4
	s_or_b64 exec, exec, s[28:29]
	v_lshrrev_b16_e32 v2, 8, v18
	v_cmp_ne_u16_e32 vcc, 0, v2
	s_and_saveexec_b64 s[28:29], vcc
	s_cbranch_execz .LBB6_1516
; %bb.1511:                             ;   in Loop: Header=BB6_356 Depth=4
	v_cmp_ne_u16_e32 vcc, s80, v2
	v_bfrev_b32_e32 v0, 1
	s_and_saveexec_b64 s[30:31], vcc
	s_cbranch_execz .LBB6_1515
; %bb.1512:                             ;   in Loop: Header=BB6_356 Depth=4
	v_and_b32_e32 v1, 0x7f, v2
	v_cmp_ne_u32_e32 vcc, s81, v1
	v_mov_b32_e32 v0, 0x7f800001
	s_and_saveexec_b64 s[34:35], vcc
	s_cbranch_execz .LBB6_1514
; %bb.1513:                             ;   in Loop: Header=BB6_356 Depth=4
	v_and_b32_e32 v4, 7, v2
	v_ffbh_u32_e32 v0, v4
	v_min_u32_e32 v7, 32, v0
	v_subrev_u32_e32 v0, 28, v7
	v_lshrrev_b32_e32 v6, 3, v1
	v_cmp_gt_u32_e32 vcc, 8, v1
	v_lshlrev_b64 v[0:1], v0, v[2:3]
	v_sub_u32_e32 v1, 29, v7
	v_and_b32_e32 v0, 7, v0
	v_cndmask_b32_e32 v1, v6, v1, vcc
	v_cndmask_b32_e32 v0, v4, v0, vcc
	v_lshlrev_b32_e32 v2, 16, v18
	v_bfrev_b32_e32 v4, 60
	v_lshlrev_b32_e32 v0, 20, v0
	v_and_b32_e32 v2, 0x80000000, v2
	v_lshl_add_u32 v1, v1, 23, v4
	v_or3_b32 v0, v2, v1, v0
.LBB6_1514:                             ;   in Loop: Header=BB6_356 Depth=4
	s_or_b64 exec, exec, s[34:35]
.LBB6_1515:                             ;   in Loop: Header=BB6_356 Depth=4
	s_or_b64 exec, exec, s[30:31]
.LBB6_1516:                             ;   in Loop: Header=BB6_356 Depth=4
	s_or_b64 exec, exec, s[28:29]
	v_mul_f32_e32 v2, v3, v0
	v_and_b32_e32 v20, 0x7f800000, v2
	v_cmp_ne_u64_e32 vcc, s[62:63], v[20:21]
                                        ; implicit-def: $vgpr59
	s_and_saveexec_b64 s[28:29], vcc
	s_xor_b64 s[30:31], exec, s[28:29]
	s_cbranch_execz .LBB6_1530
; %bb.1517:                             ;   in Loop: Header=BB6_356 Depth=4
	v_and_b32_e32 v20, 0x7fffffff, v2
	v_cmp_gt_u64_e32 vcc, s[78:79], v[20:21]
	v_and_b32_sdwa v0, v2, s80 dst_sel:DWORD dst_unused:UNUSED_PAD src0_sel:BYTE_3 src1_sel:DWORD
                                        ; implicit-def: $vgpr59
	s_and_saveexec_b64 s[28:29], vcc
	s_xor_b64 s[34:35], exec, s[28:29]
	s_cbranch_execz .LBB6_1527
; %bb.1518:                             ;   in Loop: Header=BB6_356 Depth=4
	v_mov_b32_e32 v59, 0
	v_cmp_ne_u32_e32 vcc, 0, v2
	s_and_saveexec_b64 s[36:37], vcc
	s_cbranch_execz .LBB6_1526
; %bb.1519:                             ;   in Loop: Header=BB6_356 Depth=4
	v_bfe_u32 v4, v2, 23, 8
	v_and_b32_e32 v1, 0x7fffff, v2
	v_cmp_gt_u32_e64 s[28:29], s47, v4
	v_sub_u32_e32 v2, 0x79, v4
	v_cmp_eq_u32_e32 vcc, 0, v4
	v_cndmask_b32_e64 v2, 0, v2, s[28:29]
	v_mov_b32_e32 v6, 0x78
	v_or_b32_e32 v3, 0x800000, v1
	v_cndmask_b32_e32 v6, v2, v6, vcc
	v_cndmask_b32_e32 v20, v3, v1, vcc
	v_add_u32_e32 v1, 20, v6
	v_lshlrev_b64 v[1:2], v1, -1
	v_add_u32_e32 v3, 19, v6
	v_lshlrev_b64 v[16:17], v3, 1
	v_bfi_b32 v2, v2, 0, 0
	v_bfi_b32 v1, v1, 0, v20
	v_cmp_eq_u64_e64 s[28:29], v[1:2], v[16:17]
	v_lshrrev_b64 v[2:3], v6, v[20:21]
	v_mov_b32_e32 v17, v3
	v_mov_b32_e32 v16, v2
	s_and_saveexec_b64 s[38:39], s[28:29]
; %bb.1520:                             ;   in Loop: Header=BB6_356 Depth=4
	v_bfe_u32 v1, v2, 20, 1
	v_add_co_u32_e64 v1, s[28:29], v2, v1
	v_add_co_u32_e64 v16, s[28:29], -1, v1
; %bb.1521:                             ;   in Loop: Header=BB6_356 Depth=4
	s_or_b64 exec, exec, s[38:39]
	v_add_u32_e32 v1, 0xffffff81, v4
	v_mov_b32_e32 v3, 0xffffff82
	v_cndmask_b32_e32 v1, v1, v3, vcc
	v_lshrrev_b32_e32 v3, 23, v2
	v_add3_u32 v6, v6, v1, v3
	v_add_u32_e32 v4, 6, v6
	v_and_b32_e32 v1, 0xfffff, v16
	v_add_u32_e32 v20, v1, v2
	v_cmp_ne_u32_e32 vcc, 0, v4
                                        ; implicit-def: $vgpr2_vgpr3
                                        ; implicit-def: $vgpr1
	s_and_saveexec_b64 s[28:29], vcc
	s_xor_b64 s[28:29], exec, s[28:29]
; %bb.1522:                             ;   in Loop: Header=BB6_356 Depth=4
	v_cmp_lt_u64_e32 vcc, s[88:89], v[20:21]
	v_add_u32_e32 v1, 7, v6
	v_cndmask_b32_e64 v2, 0, 1, vcc
	v_lshrrev_b64 v[2:3], v2, v[20:21]
	v_cndmask_b32_e32 v1, v4, v1, vcc
; %bb.1523:                             ;   in Loop: Header=BB6_356 Depth=4
	s_andn2_saveexec_b64 s[28:29], s[28:29]
; %bb.1524:                             ;   in Loop: Header=BB6_356 Depth=4
	v_mov_b32_e32 v2, v20
	v_bfe_u32 v1, v20, 23, 1
	v_mov_b32_e32 v3, v21
; %bb.1525:                             ;   in Loop: Header=BB6_356 Depth=4
	s_or_b64 exec, exec, s[28:29]
	v_lshrrev_b64 v[2:3], 20, v[2:3]
	v_cmp_gt_i32_e32 vcc, 16, v1
	v_cndmask_b32_e32 v3, 0, v3, vcc
	v_cndmask_b32_e32 v2, 7, v2, vcc
	v_cmp_eq_u32_e32 vcc, 0, v1
	v_min_i32_e32 v1, 15, v1
	v_cmp_eq_u64_e64 s[28:29], 0, v[2:3]
	v_lshlrev_b32_e32 v1, 3, v1
	v_and_b32_e32 v1, 0xf8, v1
	v_and_or_b32 v1, v2, 7, v1
	s_and_b64 s[28:29], vcc, s[28:29]
	v_cndmask_b32_e64 v1, v1, 0, s[28:29]
	v_or_b32_e32 v59, v1, v0
.LBB6_1526:                             ;   in Loop: Header=BB6_356 Depth=4
	s_or_b64 exec, exec, s[36:37]
                                        ; implicit-def: $vgpr0
.LBB6_1527:                             ;   in Loop: Header=BB6_356 Depth=4
	s_andn2_saveexec_b64 s[28:29], s[34:35]
; %bb.1528:                             ;   in Loop: Header=BB6_356 Depth=4
	v_or_b32_e32 v59, 0x7e, v0
; %bb.1529:                             ;   in Loop: Header=BB6_356 Depth=4
	s_or_b64 exec, exec, s[28:29]
                                        ; implicit-def: $vgpr2
.LBB6_1530:                             ;   in Loop: Header=BB6_356 Depth=4
	s_andn2_saveexec_b64 s[28:29], s[30:31]
; %bb.1531:                             ;   in Loop: Header=BB6_356 Depth=4
	v_or_b32_sdwa v59, v2, s81 dst_sel:DWORD dst_unused:UNUSED_PAD src0_sel:BYTE_3 src1_sel:DWORD
; %bb.1532:                             ;   in Loop: Header=BB6_356 Depth=4
	s_or_b64 exec, exec, s[28:29]
	v_lshrrev_b32_e32 v2, 16, v60
	v_cmp_ne_u16_sdwa vcc, v2, v21 src0_sel:BYTE_0 src1_sel:DWORD
	v_mov_b32_e32 v0, 0
	v_mov_b32_e32 v3, 0
	s_and_saveexec_b64 s[28:29], vcc
	s_cbranch_execz .LBB6_1538
; %bb.1533:                             ;   in Loop: Header=BB6_356 Depth=4
	v_cmp_ne_u16_sdwa vcc, v2, s80 src0_sel:BYTE_0 src1_sel:DWORD
	v_bfrev_b32_e32 v3, 1
	s_and_saveexec_b64 s[30:31], vcc
	s_cbranch_execz .LBB6_1537
; %bb.1534:                             ;   in Loop: Header=BB6_356 Depth=4
	v_bfe_u32 v1, v60, 16, 7
	v_cmp_ne_u32_e32 vcc, s81, v1
	v_mov_b32_e32 v3, 0x7f800001
	s_and_saveexec_b64 s[34:35], vcc
	s_cbranch_execz .LBB6_1536
; %bb.1535:                             ;   in Loop: Header=BB6_356 Depth=4
	v_and_b32_e32 v6, 7, v2
	v_lshrrev_b32_e32 v7, 3, v1
	v_cmp_gt_u32_e32 vcc, 8, v1
	v_ffbh_u32_e32 v1, v6
	v_min_u32_e32 v1, 32, v1
	v_subrev_u32_e32 v3, 28, v1
	v_lshlrev_b64 v[3:4], v3, v[2:3]
	v_sub_u32_e32 v1, 29, v1
	v_and_b32_e32 v3, 7, v3
	v_cndmask_b32_e32 v1, v7, v1, vcc
	v_cndmask_b32_e32 v3, v6, v3, vcc
	v_lshlrev_b32_e32 v2, 24, v2
	v_bfrev_b32_e32 v4, 60
	v_lshlrev_b32_e32 v3, 20, v3
	v_and_b32_e32 v2, 0x80000000, v2
	v_lshl_add_u32 v1, v1, 23, v4
	v_or3_b32 v3, v2, v1, v3
.LBB6_1536:                             ;   in Loop: Header=BB6_356 Depth=4
	s_or_b64 exec, exec, s[34:35]
.LBB6_1537:                             ;   in Loop: Header=BB6_356 Depth=4
	s_or_b64 exec, exec, s[30:31]
.LBB6_1538:                             ;   in Loop: Header=BB6_356 Depth=4
	s_or_b64 exec, exec, s[28:29]
	v_lshrrev_b32_e32 v2, 16, v18
	v_cmp_ne_u16_sdwa vcc, v2, v21 src0_sel:BYTE_0 src1_sel:DWORD
	s_and_saveexec_b64 s[28:29], vcc
	s_cbranch_execz .LBB6_1544
; %bb.1539:                             ;   in Loop: Header=BB6_356 Depth=4
	v_cmp_ne_u16_sdwa vcc, v2, s80 src0_sel:BYTE_0 src1_sel:DWORD
	v_bfrev_b32_e32 v0, 1
	s_and_saveexec_b64 s[30:31], vcc
	s_cbranch_execz .LBB6_1543
; %bb.1540:                             ;   in Loop: Header=BB6_356 Depth=4
	v_bfe_u32 v1, v18, 16, 7
	v_cmp_ne_u32_e32 vcc, s81, v1
	v_mov_b32_e32 v0, 0x7f800001
	s_and_saveexec_b64 s[34:35], vcc
	s_cbranch_execz .LBB6_1542
; %bb.1541:                             ;   in Loop: Header=BB6_356 Depth=4
	v_and_b32_e32 v4, 7, v2
	v_ffbh_u32_e32 v0, v4
	v_min_u32_e32 v7, 32, v0
	v_subrev_u32_e32 v0, 28, v7
	v_lshrrev_b32_e32 v6, 3, v1
	v_cmp_gt_u32_e32 vcc, 8, v1
	v_lshlrev_b64 v[0:1], v0, v[2:3]
	v_sub_u32_e32 v1, 29, v7
	v_and_b32_e32 v0, 7, v0
	v_cndmask_b32_e32 v1, v6, v1, vcc
	v_cndmask_b32_e32 v0, v4, v0, vcc
	v_lshlrev_b32_e32 v2, 8, v18
	v_bfrev_b32_e32 v4, 60
	v_lshlrev_b32_e32 v0, 20, v0
	v_and_b32_e32 v2, 0x80000000, v2
	v_lshl_add_u32 v1, v1, 23, v4
	v_or3_b32 v0, v2, v1, v0
.LBB6_1542:                             ;   in Loop: Header=BB6_356 Depth=4
	s_or_b64 exec, exec, s[34:35]
.LBB6_1543:                             ;   in Loop: Header=BB6_356 Depth=4
	s_or_b64 exec, exec, s[30:31]
.LBB6_1544:                             ;   in Loop: Header=BB6_356 Depth=4
	s_or_b64 exec, exec, s[28:29]
	v_mul_f32_e32 v2, v3, v0
	v_and_b32_e32 v20, 0x7f800000, v2
	v_cmp_ne_u64_e32 vcc, s[62:63], v[20:21]
                                        ; implicit-def: $vgpr49
	s_and_saveexec_b64 s[28:29], vcc
	s_xor_b64 s[30:31], exec, s[28:29]
	s_cbranch_execz .LBB6_1558
; %bb.1545:                             ;   in Loop: Header=BB6_356 Depth=4
	v_and_b32_e32 v20, 0x7fffffff, v2
	v_cmp_gt_u64_e32 vcc, s[78:79], v[20:21]
	v_and_b32_sdwa v0, v2, s80 dst_sel:DWORD dst_unused:UNUSED_PAD src0_sel:BYTE_3 src1_sel:DWORD
                                        ; implicit-def: $vgpr49
	s_and_saveexec_b64 s[28:29], vcc
	s_xor_b64 s[34:35], exec, s[28:29]
	s_cbranch_execz .LBB6_1555
; %bb.1546:                             ;   in Loop: Header=BB6_356 Depth=4
	v_mov_b32_e32 v49, 0
	v_cmp_ne_u32_e32 vcc, 0, v2
	s_and_saveexec_b64 s[36:37], vcc
	s_cbranch_execz .LBB6_1554
; %bb.1547:                             ;   in Loop: Header=BB6_356 Depth=4
	v_bfe_u32 v4, v2, 23, 8
	v_and_b32_e32 v1, 0x7fffff, v2
	v_cmp_gt_u32_e64 s[28:29], s47, v4
	v_sub_u32_e32 v2, 0x79, v4
	v_cmp_eq_u32_e32 vcc, 0, v4
	v_cndmask_b32_e64 v2, 0, v2, s[28:29]
	v_mov_b32_e32 v6, 0x78
	v_or_b32_e32 v3, 0x800000, v1
	v_cndmask_b32_e32 v6, v2, v6, vcc
	v_cndmask_b32_e32 v20, v3, v1, vcc
	v_add_u32_e32 v1, 20, v6
	v_lshlrev_b64 v[1:2], v1, -1
	v_add_u32_e32 v3, 19, v6
	v_lshlrev_b64 v[16:17], v3, 1
	v_bfi_b32 v2, v2, 0, 0
	v_bfi_b32 v1, v1, 0, v20
	v_cmp_eq_u64_e64 s[28:29], v[1:2], v[16:17]
	v_lshrrev_b64 v[2:3], v6, v[20:21]
	v_mov_b32_e32 v17, v3
	v_mov_b32_e32 v16, v2
	s_and_saveexec_b64 s[38:39], s[28:29]
; %bb.1548:                             ;   in Loop: Header=BB6_356 Depth=4
	v_bfe_u32 v1, v2, 20, 1
	v_add_co_u32_e64 v1, s[28:29], v2, v1
	v_add_co_u32_e64 v16, s[28:29], -1, v1
; %bb.1549:                             ;   in Loop: Header=BB6_356 Depth=4
	s_or_b64 exec, exec, s[38:39]
	v_add_u32_e32 v1, 0xffffff81, v4
	v_mov_b32_e32 v3, 0xffffff82
	v_cndmask_b32_e32 v1, v1, v3, vcc
	v_lshrrev_b32_e32 v3, 23, v2
	v_add3_u32 v6, v6, v1, v3
	v_add_u32_e32 v4, 6, v6
	v_and_b32_e32 v1, 0xfffff, v16
	v_add_u32_e32 v20, v1, v2
	v_cmp_ne_u32_e32 vcc, 0, v4
                                        ; implicit-def: $vgpr2_vgpr3
                                        ; implicit-def: $vgpr1
	s_and_saveexec_b64 s[28:29], vcc
	s_xor_b64 s[28:29], exec, s[28:29]
; %bb.1550:                             ;   in Loop: Header=BB6_356 Depth=4
	v_cmp_lt_u64_e32 vcc, s[88:89], v[20:21]
	v_add_u32_e32 v1, 7, v6
	v_cndmask_b32_e64 v2, 0, 1, vcc
	v_lshrrev_b64 v[2:3], v2, v[20:21]
	v_cndmask_b32_e32 v1, v4, v1, vcc
; %bb.1551:                             ;   in Loop: Header=BB6_356 Depth=4
	s_andn2_saveexec_b64 s[28:29], s[28:29]
; %bb.1552:                             ;   in Loop: Header=BB6_356 Depth=4
	v_mov_b32_e32 v2, v20
	v_bfe_u32 v1, v20, 23, 1
	v_mov_b32_e32 v3, v21
; %bb.1553:                             ;   in Loop: Header=BB6_356 Depth=4
	s_or_b64 exec, exec, s[28:29]
	v_lshrrev_b64 v[2:3], 20, v[2:3]
	v_cmp_gt_i32_e32 vcc, 16, v1
	v_cndmask_b32_e32 v3, 0, v3, vcc
	v_cndmask_b32_e32 v2, 7, v2, vcc
	v_cmp_eq_u32_e32 vcc, 0, v1
	v_min_i32_e32 v1, 15, v1
	v_cmp_eq_u64_e64 s[28:29], 0, v[2:3]
	v_lshlrev_b32_e32 v1, 3, v1
	v_and_b32_e32 v1, 0xf8, v1
	v_and_or_b32 v1, v2, 7, v1
	s_and_b64 s[28:29], vcc, s[28:29]
	v_cndmask_b32_e64 v1, v1, 0, s[28:29]
	v_or_b32_e32 v49, v1, v0
.LBB6_1554:                             ;   in Loop: Header=BB6_356 Depth=4
	s_or_b64 exec, exec, s[36:37]
                                        ; implicit-def: $vgpr0
.LBB6_1555:                             ;   in Loop: Header=BB6_356 Depth=4
	s_andn2_saveexec_b64 s[28:29], s[34:35]
; %bb.1556:                             ;   in Loop: Header=BB6_356 Depth=4
	v_or_b32_e32 v49, 0x7e, v0
; %bb.1557:                             ;   in Loop: Header=BB6_356 Depth=4
	s_or_b64 exec, exec, s[28:29]
                                        ; implicit-def: $vgpr2
.LBB6_1558:                             ;   in Loop: Header=BB6_356 Depth=4
	s_andn2_saveexec_b64 s[28:29], s[30:31]
; %bb.1559:                             ;   in Loop: Header=BB6_356 Depth=4
	v_or_b32_sdwa v49, v2, s81 dst_sel:DWORD dst_unused:UNUSED_PAD src0_sel:BYTE_3 src1_sel:DWORD
; %bb.1560:                             ;   in Loop: Header=BB6_356 Depth=4
	s_or_b64 exec, exec, s[28:29]
	v_cmp_lt_u32_e32 vcc, s57, v60
	v_mov_b32_e32 v0, 0
	v_mov_b32_e32 v3, 0
	s_and_saveexec_b64 s[28:29], vcc
	s_cbranch_execz .LBB6_1566
; %bb.1561:                             ;   in Loop: Header=BB6_356 Depth=4
	v_lshrrev_b32_e32 v2, 24, v60
	v_cmp_ne_u32_e32 vcc, s80, v2
	v_bfrev_b32_e32 v3, 1
	s_and_saveexec_b64 s[30:31], vcc
	s_cbranch_execz .LBB6_1565
; %bb.1562:                             ;   in Loop: Header=BB6_356 Depth=4
	v_bfe_u32 v1, v60, 24, 7
	v_cmp_ne_u32_e32 vcc, s81, v1
	v_mov_b32_e32 v3, 0x7f800001
	s_and_saveexec_b64 s[34:35], vcc
	s_cbranch_execz .LBB6_1564
; %bb.1563:                             ;   in Loop: Header=BB6_356 Depth=4
	v_and_b32_e32 v6, 7, v2
	v_lshrrev_b32_e32 v7, 3, v1
	v_cmp_gt_u32_e32 vcc, 8, v1
	v_ffbh_u32_e32 v1, v6
	v_min_u32_e32 v1, 32, v1
	v_subrev_u32_e32 v3, 28, v1
	v_lshlrev_b64 v[3:4], v3, v[2:3]
	v_sub_u32_e32 v1, 29, v1
	v_and_b32_e32 v3, 7, v3
	v_cndmask_b32_e32 v1, v7, v1, vcc
	v_cndmask_b32_e32 v3, v6, v3, vcc
	v_lshlrev_b32_e32 v2, 24, v2
	v_bfrev_b32_e32 v4, 60
	v_lshlrev_b32_e32 v3, 20, v3
	v_and_b32_e32 v2, 0x80000000, v2
	v_lshl_add_u32 v1, v1, 23, v4
	v_or3_b32 v3, v2, v1, v3
.LBB6_1564:                             ;   in Loop: Header=BB6_356 Depth=4
	s_or_b64 exec, exec, s[34:35]
.LBB6_1565:                             ;   in Loop: Header=BB6_356 Depth=4
	s_or_b64 exec, exec, s[30:31]
.LBB6_1566:                             ;   in Loop: Header=BB6_356 Depth=4
	s_or_b64 exec, exec, s[28:29]
	v_cmp_lt_u32_e32 vcc, s57, v18
	s_and_saveexec_b64 s[28:29], vcc
	s_cbranch_execz .LBB6_1572
; %bb.1567:                             ;   in Loop: Header=BB6_356 Depth=4
	v_lshrrev_b32_e32 v2, 24, v18
	v_cmp_ne_u32_e32 vcc, s80, v2
	v_bfrev_b32_e32 v0, 1
	s_and_saveexec_b64 s[30:31], vcc
	s_cbranch_execz .LBB6_1571
; %bb.1568:                             ;   in Loop: Header=BB6_356 Depth=4
	v_bfe_u32 v1, v18, 24, 7
	v_cmp_ne_u32_e32 vcc, s81, v1
	v_mov_b32_e32 v0, 0x7f800001
	s_and_saveexec_b64 s[34:35], vcc
	s_cbranch_execz .LBB6_1570
; %bb.1569:                             ;   in Loop: Header=BB6_356 Depth=4
	v_and_b32_e32 v4, 7, v2
	v_ffbh_u32_e32 v0, v4
	v_min_u32_e32 v7, 32, v0
	v_subrev_u32_e32 v0, 28, v7
	v_lshrrev_b32_e32 v6, 3, v1
	v_cmp_gt_u32_e32 vcc, 8, v1
	v_lshlrev_b64 v[0:1], v0, v[2:3]
	v_sub_u32_e32 v1, 29, v7
	v_and_b32_e32 v0, 7, v0
	v_cndmask_b32_e32 v1, v6, v1, vcc
	v_cndmask_b32_e32 v0, v4, v0, vcc
	v_lshlrev_b32_e32 v2, 24, v2
	v_bfrev_b32_e32 v4, 60
	v_lshlrev_b32_e32 v0, 20, v0
	v_and_b32_e32 v2, 0x80000000, v2
	v_lshl_add_u32 v1, v1, 23, v4
	v_or3_b32 v0, v2, v1, v0
.LBB6_1570:                             ;   in Loop: Header=BB6_356 Depth=4
	s_or_b64 exec, exec, s[34:35]
.LBB6_1571:                             ;   in Loop: Header=BB6_356 Depth=4
	s_or_b64 exec, exec, s[30:31]
.LBB6_1572:                             ;   in Loop: Header=BB6_356 Depth=4
	s_or_b64 exec, exec, s[28:29]
	v_mul_f32_e32 v2, v3, v0
	v_and_b32_e32 v20, 0x7f800000, v2
	v_cmp_ne_u64_e32 vcc, s[62:63], v[20:21]
                                        ; implicit-def: $vgpr57
	s_and_saveexec_b64 s[28:29], vcc
	s_xor_b64 s[30:31], exec, s[28:29]
	s_cbranch_execz .LBB6_1586
; %bb.1573:                             ;   in Loop: Header=BB6_356 Depth=4
	v_and_b32_e32 v20, 0x7fffffff, v2
	v_cmp_gt_u64_e32 vcc, s[78:79], v[20:21]
	v_and_b32_sdwa v0, v2, s80 dst_sel:DWORD dst_unused:UNUSED_PAD src0_sel:BYTE_3 src1_sel:DWORD
                                        ; implicit-def: $vgpr57
	s_and_saveexec_b64 s[28:29], vcc
	s_xor_b64 s[34:35], exec, s[28:29]
	s_cbranch_execz .LBB6_1583
; %bb.1574:                             ;   in Loop: Header=BB6_356 Depth=4
	v_mov_b32_e32 v57, 0
	v_cmp_ne_u32_e32 vcc, 0, v2
	s_and_saveexec_b64 s[36:37], vcc
	s_cbranch_execz .LBB6_1582
; %bb.1575:                             ;   in Loop: Header=BB6_356 Depth=4
	v_bfe_u32 v4, v2, 23, 8
	v_and_b32_e32 v1, 0x7fffff, v2
	v_cmp_gt_u32_e64 s[28:29], s47, v4
	v_sub_u32_e32 v2, 0x79, v4
	v_cmp_eq_u32_e32 vcc, 0, v4
	v_cndmask_b32_e64 v2, 0, v2, s[28:29]
	v_mov_b32_e32 v6, 0x78
	v_or_b32_e32 v3, 0x800000, v1
	v_cndmask_b32_e32 v6, v2, v6, vcc
	v_cndmask_b32_e32 v20, v3, v1, vcc
	v_add_u32_e32 v1, 20, v6
	v_lshlrev_b64 v[1:2], v1, -1
	v_add_u32_e32 v3, 19, v6
	v_lshlrev_b64 v[16:17], v3, 1
	v_bfi_b32 v2, v2, 0, 0
	v_bfi_b32 v1, v1, 0, v20
	v_cmp_eq_u64_e64 s[28:29], v[1:2], v[16:17]
	v_lshrrev_b64 v[2:3], v6, v[20:21]
	v_mov_b32_e32 v17, v3
	v_mov_b32_e32 v16, v2
	s_and_saveexec_b64 s[38:39], s[28:29]
; %bb.1576:                             ;   in Loop: Header=BB6_356 Depth=4
	v_bfe_u32 v1, v2, 20, 1
	v_add_co_u32_e64 v1, s[28:29], v2, v1
	v_add_co_u32_e64 v16, s[28:29], -1, v1
; %bb.1577:                             ;   in Loop: Header=BB6_356 Depth=4
	s_or_b64 exec, exec, s[38:39]
	v_add_u32_e32 v1, 0xffffff81, v4
	v_mov_b32_e32 v3, 0xffffff82
	v_cndmask_b32_e32 v1, v1, v3, vcc
	v_lshrrev_b32_e32 v3, 23, v2
	v_add3_u32 v6, v6, v1, v3
	v_add_u32_e32 v4, 6, v6
	v_and_b32_e32 v1, 0xfffff, v16
	v_add_u32_e32 v20, v1, v2
	v_cmp_ne_u32_e32 vcc, 0, v4
                                        ; implicit-def: $vgpr2_vgpr3
                                        ; implicit-def: $vgpr1
	s_and_saveexec_b64 s[28:29], vcc
	s_xor_b64 s[28:29], exec, s[28:29]
; %bb.1578:                             ;   in Loop: Header=BB6_356 Depth=4
	v_cmp_lt_u64_e32 vcc, s[88:89], v[20:21]
	v_add_u32_e32 v1, 7, v6
	v_cndmask_b32_e64 v2, 0, 1, vcc
	v_lshrrev_b64 v[2:3], v2, v[20:21]
	v_cndmask_b32_e32 v1, v4, v1, vcc
; %bb.1579:                             ;   in Loop: Header=BB6_356 Depth=4
	s_andn2_saveexec_b64 s[28:29], s[28:29]
; %bb.1580:                             ;   in Loop: Header=BB6_356 Depth=4
	v_mov_b32_e32 v2, v20
	v_bfe_u32 v1, v20, 23, 1
	v_mov_b32_e32 v3, v21
; %bb.1581:                             ;   in Loop: Header=BB6_356 Depth=4
	s_or_b64 exec, exec, s[28:29]
	v_lshrrev_b64 v[2:3], 20, v[2:3]
	v_cmp_gt_i32_e32 vcc, 16, v1
	v_cndmask_b32_e32 v3, 0, v3, vcc
	v_cndmask_b32_e32 v2, 7, v2, vcc
	v_cmp_eq_u32_e32 vcc, 0, v1
	v_min_i32_e32 v1, 15, v1
	v_cmp_eq_u64_e64 s[28:29], 0, v[2:3]
	v_lshlrev_b32_e32 v1, 3, v1
	v_and_b32_e32 v1, 0xf8, v1
	v_and_or_b32 v1, v2, 7, v1
	s_and_b64 s[28:29], vcc, s[28:29]
	v_cndmask_b32_e64 v1, v1, 0, s[28:29]
	v_or_b32_e32 v57, v1, v0
.LBB6_1582:                             ;   in Loop: Header=BB6_356 Depth=4
	s_or_b64 exec, exec, s[36:37]
                                        ; implicit-def: $vgpr0
.LBB6_1583:                             ;   in Loop: Header=BB6_356 Depth=4
	s_andn2_saveexec_b64 s[28:29], s[34:35]
; %bb.1584:                             ;   in Loop: Header=BB6_356 Depth=4
	v_or_b32_e32 v57, 0x7e, v0
; %bb.1585:                             ;   in Loop: Header=BB6_356 Depth=4
	s_or_b64 exec, exec, s[28:29]
                                        ; implicit-def: $vgpr2
.LBB6_1586:                             ;   in Loop: Header=BB6_356 Depth=4
	s_andn2_saveexec_b64 s[28:29], s[30:31]
; %bb.1587:                             ;   in Loop: Header=BB6_356 Depth=4
	v_or_b32_sdwa v57, v2, s81 dst_sel:DWORD dst_unused:UNUSED_PAD src0_sel:BYTE_3 src1_sel:DWORD
; %bb.1588:                             ;   in Loop: Header=BB6_356 Depth=4
	s_or_b64 exec, exec, s[28:29]
	v_mov_b32_e32 v20, v61
	v_cmp_ne_u16_sdwa vcc, v61, v21 src0_sel:BYTE_0 src1_sel:DWORD
	v_mov_b32_e32 v2, 0
	v_mov_b32_e32 v0, 0
	s_and_saveexec_b64 s[28:29], vcc
	s_cbranch_execz .LBB6_1594
; %bb.1589:                             ;   in Loop: Header=BB6_356 Depth=4
	v_cmp_ne_u16_sdwa vcc, v61, s80 src0_sel:BYTE_0 src1_sel:DWORD
	v_bfrev_b32_e32 v0, 1
	s_and_saveexec_b64 s[30:31], vcc
	s_cbranch_execz .LBB6_1593
; %bb.1590:                             ;   in Loop: Header=BB6_356 Depth=4
	v_and_b32_e32 v1, 0x7f, v61
	v_cmp_ne_u32_e32 vcc, s81, v1
	v_mov_b32_e32 v0, 0x7f800001
	s_and_saveexec_b64 s[34:35], vcc
	s_cbranch_execz .LBB6_1592
; %bb.1591:                             ;   in Loop: Header=BB6_356 Depth=4
	v_and_b32_e32 v0, 7, v61
	v_ffbh_u32_e32 v0, v0
	v_min_u32_e32 v0, 32, v0
	v_lshrrev_b32_e32 v3, 3, v1
	v_cmp_gt_u32_e32 vcc, 8, v1
	v_subrev_u32_e32 v1, 28, v0
	v_sub_u32_e32 v0, 29, v0
	v_cndmask_b32_e32 v3, v3, v0, vcc
	v_cndmask_b32_e32 v0, 0, v1, vcc
	v_lshlrev_b64 v[0:1], v0, v[20:21]
	v_lshlrev_b32_e32 v1, 24, v20
	v_lshlrev_b32_e32 v0, 20, v0
	v_bfrev_b32_e32 v4, 60
	v_and_b32_e32 v0, 0x700000, v0
	v_and_b32_e32 v1, 0x80000000, v1
	v_lshl_add_u32 v3, v3, 23, v4
	v_or3_b32 v0, v1, v3, v0
.LBB6_1592:                             ;   in Loop: Header=BB6_356 Depth=4
	s_or_b64 exec, exec, s[34:35]
.LBB6_1593:                             ;   in Loop: Header=BB6_356 Depth=4
	s_or_b64 exec, exec, s[30:31]
.LBB6_1594:                             ;   in Loop: Header=BB6_356 Depth=4
	s_or_b64 exec, exec, s[28:29]
	v_cmp_ne_u16_sdwa vcc, v19, v21 src0_sel:BYTE_0 src1_sel:DWORD
	s_and_saveexec_b64 s[28:29], vcc
	s_cbranch_execz .LBB6_1600
; %bb.1595:                             ;   in Loop: Header=BB6_356 Depth=4
	v_cmp_ne_u16_sdwa vcc, v19, s80 src0_sel:BYTE_0 src1_sel:DWORD
	v_bfrev_b32_e32 v2, 1
	s_and_saveexec_b64 s[30:31], vcc
	s_cbranch_execz .LBB6_1599
; %bb.1596:                             ;   in Loop: Header=BB6_356 Depth=4
	v_and_b32_e32 v1, 0x7f, v19
	v_cmp_ne_u32_e32 vcc, s81, v1
	v_mov_b32_e32 v2, 0x7f800001
	s_and_saveexec_b64 s[34:35], vcc
	s_cbranch_execz .LBB6_1598
; %bb.1597:                             ;   in Loop: Header=BB6_356 Depth=4
	v_and_b32_e32 v4, 7, v19
	v_lshrrev_b32_e32 v6, 3, v1
	v_cmp_gt_u32_e32 vcc, 8, v1
	v_ffbh_u32_e32 v1, v4
	v_min_u32_e32 v1, 32, v1
	v_subrev_u32_e32 v4, 28, v1
	v_mov_b32_e32 v2, v19
	v_mov_b32_e32 v3, v21
	v_cndmask_b32_e32 v4, 0, v4, vcc
	v_lshlrev_b64 v[3:4], v4, v[2:3]
	v_sub_u32_e32 v1, 29, v1
	v_cndmask_b32_e32 v1, v6, v1, vcc
	v_lshlrev_b32_e32 v3, 20, v3
	v_lshlrev_b32_e32 v2, 24, v2
	v_bfrev_b32_e32 v4, 60
	v_and_b32_e32 v3, 0x700000, v3
	v_and_b32_e32 v2, 0x80000000, v2
	v_lshl_add_u32 v1, v1, 23, v4
	v_or3_b32 v2, v2, v1, v3
.LBB6_1598:                             ;   in Loop: Header=BB6_356 Depth=4
	s_or_b64 exec, exec, s[34:35]
.LBB6_1599:                             ;   in Loop: Header=BB6_356 Depth=4
	s_or_b64 exec, exec, s[30:31]
.LBB6_1600:                             ;   in Loop: Header=BB6_356 Depth=4
	s_or_b64 exec, exec, s[28:29]
	v_mul_f32_e32 v2, v0, v2
	v_and_b32_e32 v0, 0x7f800000, v2
	v_mov_b32_e32 v1, v21
	v_cmp_ne_u64_e32 vcc, s[62:63], v[0:1]
                                        ; implicit-def: $vgpr4
	s_and_saveexec_b64 s[28:29], vcc
	s_xor_b64 s[30:31], exec, s[28:29]
	s_cbranch_execz .LBB6_1614
; %bb.1601:                             ;   in Loop: Header=BB6_356 Depth=4
	v_and_b32_e32 v0, 0x7fffffff, v2
	v_mov_b32_e32 v1, v21
	v_cmp_gt_u64_e32 vcc, s[78:79], v[0:1]
	v_and_b32_sdwa v0, v2, s80 dst_sel:DWORD dst_unused:UNUSED_PAD src0_sel:BYTE_3 src1_sel:DWORD
                                        ; implicit-def: $vgpr4
	s_and_saveexec_b64 s[28:29], vcc
	s_xor_b64 s[34:35], exec, s[28:29]
	s_cbranch_execz .LBB6_1611
; %bb.1602:                             ;   in Loop: Header=BB6_356 Depth=4
	v_mov_b32_e32 v4, 0
	v_cmp_ne_u32_e32 vcc, 0, v2
	s_and_saveexec_b64 s[36:37], vcc
	s_cbranch_execz .LBB6_1610
; %bb.1603:                             ;   in Loop: Header=BB6_356 Depth=4
	v_bfe_u32 v4, v2, 23, 8
	v_and_b32_e32 v1, 0x7fffff, v2
	v_cmp_gt_u32_e64 s[28:29], s47, v4
	v_sub_u32_e32 v2, 0x79, v4
	v_cmp_eq_u32_e32 vcc, 0, v4
	v_cndmask_b32_e64 v2, 0, v2, s[28:29]
	v_mov_b32_e32 v6, 0x78
	v_or_b32_e32 v3, 0x800000, v1
	v_cndmask_b32_e32 v6, v2, v6, vcc
	v_cndmask_b32_e32 v1, v3, v1, vcc
	v_add_u32_e32 v3, 20, v6
	v_mov_b32_e32 v2, v21
	v_lshlrev_b64 v[16:17], v3, -1
	v_add_u32_e32 v3, 19, v6
	v_lshlrev_b64 v[24:25], v3, 1
	v_lshrrev_b64 v[2:3], v6, v[1:2]
	v_bfi_b32 v17, v17, 0, 0
	v_bfi_b32 v16, v16, 0, v1
	v_cmp_eq_u64_e64 s[28:29], v[16:17], v[24:25]
	v_mov_b32_e32 v17, v3
	v_mov_b32_e32 v16, v2
	s_and_saveexec_b64 s[38:39], s[28:29]
; %bb.1604:                             ;   in Loop: Header=BB6_356 Depth=4
	v_bfe_u32 v1, v2, 20, 1
	v_add_co_u32_e64 v1, s[28:29], v2, v1
	v_add_co_u32_e64 v16, s[28:29], -1, v1
; %bb.1605:                             ;   in Loop: Header=BB6_356 Depth=4
	s_or_b64 exec, exec, s[38:39]
	v_add_u32_e32 v1, 0xffffff81, v4
	v_mov_b32_e32 v3, 0xffffff82
	v_cndmask_b32_e32 v1, v1, v3, vcc
	v_lshrrev_b32_e32 v3, 23, v2
	v_add3_u32 v6, v6, v1, v3
	v_add_u32_e32 v4, 6, v6
	v_and_b32_e32 v1, 0xfffff, v16
	v_add_u32_e32 v2, v1, v2
	v_mov_b32_e32 v3, v21
	v_cmp_ne_u32_e32 vcc, 0, v4
                                        ; implicit-def: $vgpr1
	s_and_saveexec_b64 s[28:29], vcc
	s_xor_b64 s[28:29], exec, s[28:29]
; %bb.1606:                             ;   in Loop: Header=BB6_356 Depth=4
	v_cmp_lt_u64_e32 vcc, s[88:89], v[2:3]
	v_add_u32_e32 v1, 7, v6
	v_cndmask_b32_e32 v1, v4, v1, vcc
	v_cndmask_b32_e64 v4, 0, 1, vcc
	v_lshrrev_b64 v[2:3], v4, v[2:3]
; %bb.1607:                             ;   in Loop: Header=BB6_356 Depth=4
	s_andn2_saveexec_b64 s[28:29], s[28:29]
; %bb.1608:                             ;   in Loop: Header=BB6_356 Depth=4
	v_bfe_u32 v1, v2, 23, 1
; %bb.1609:                             ;   in Loop: Header=BB6_356 Depth=4
	s_or_b64 exec, exec, s[28:29]
	v_lshrrev_b64 v[2:3], 20, v[2:3]
	v_cmp_gt_i32_e32 vcc, 16, v1
	v_cndmask_b32_e32 v3, 0, v3, vcc
	v_cndmask_b32_e32 v2, 7, v2, vcc
	v_cmp_eq_u32_e32 vcc, 0, v1
	v_min_i32_e32 v1, 15, v1
	v_cmp_eq_u64_e64 s[28:29], 0, v[2:3]
	v_lshlrev_b32_e32 v1, 3, v1
	v_and_b32_e32 v1, 0xf8, v1
	v_and_or_b32 v1, v2, 7, v1
	s_and_b64 s[28:29], vcc, s[28:29]
	v_cndmask_b32_e64 v1, v1, 0, s[28:29]
	v_or_b32_e32 v4, v1, v0
.LBB6_1610:                             ;   in Loop: Header=BB6_356 Depth=4
	s_or_b64 exec, exec, s[36:37]
                                        ; implicit-def: $vgpr0
.LBB6_1611:                             ;   in Loop: Header=BB6_356 Depth=4
	s_andn2_saveexec_b64 s[28:29], s[34:35]
; %bb.1612:                             ;   in Loop: Header=BB6_356 Depth=4
	v_or_b32_e32 v4, 0x7e, v0
; %bb.1613:                             ;   in Loop: Header=BB6_356 Depth=4
	s_or_b64 exec, exec, s[28:29]
                                        ; implicit-def: $vgpr2
.LBB6_1614:                             ;   in Loop: Header=BB6_356 Depth=4
	s_andn2_saveexec_b64 s[28:29], s[30:31]
; %bb.1615:                             ;   in Loop: Header=BB6_356 Depth=4
	v_or_b32_sdwa v4, v2, s81 dst_sel:DWORD dst_unused:UNUSED_PAD src0_sel:BYTE_3 src1_sel:DWORD
; %bb.1616:                             ;   in Loop: Header=BB6_356 Depth=4
	s_or_b64 exec, exec, s[28:29]
	v_lshrrev_b16_e32 v2, 8, v20
	v_cmp_ne_u16_e32 vcc, 0, v2
	v_mov_b32_e32 v0, 0
	v_mov_b32_e32 v3, 0
	s_and_saveexec_b64 s[28:29], vcc
	s_cbranch_execz .LBB6_1622
; %bb.1617:                             ;   in Loop: Header=BB6_356 Depth=4
	v_cmp_ne_u16_e32 vcc, s80, v2
	v_bfrev_b32_e32 v3, 1
	s_and_saveexec_b64 s[30:31], vcc
	s_cbranch_execz .LBB6_1621
; %bb.1618:                             ;   in Loop: Header=BB6_356 Depth=4
	v_and_b32_e32 v1, 0x7f, v2
	v_cmp_ne_u32_e32 vcc, s81, v1
	v_mov_b32_e32 v3, 0x7f800001
	s_and_saveexec_b64 s[34:35], vcc
	s_cbranch_execz .LBB6_1620
; %bb.1619:                             ;   in Loop: Header=BB6_356 Depth=4
	v_and_b32_e32 v3, 7, v2
	v_lshrrev_b32_e32 v6, 3, v1
	v_cmp_gt_u32_e32 vcc, 8, v1
	v_ffbh_u32_e32 v1, v3
	v_min_u32_e32 v7, 32, v1
	v_subrev_u32_e32 v1, 28, v7
	v_lshlrev_b64 v[1:2], v1, v[2:3]
	v_sub_u32_e32 v2, 29, v7
	v_and_b32_e32 v1, 7, v1
	v_cndmask_b32_e32 v2, v6, v2, vcc
	v_cndmask_b32_e32 v1, v3, v1, vcc
	v_lshlrev_b32_e32 v3, 16, v20
	v_bfrev_b32_e32 v6, 60
	v_lshlrev_b32_e32 v1, 20, v1
	v_and_b32_e32 v3, 0x80000000, v3
	v_lshl_add_u32 v2, v2, 23, v6
	v_or3_b32 v3, v3, v2, v1
.LBB6_1620:                             ;   in Loop: Header=BB6_356 Depth=4
	s_or_b64 exec, exec, s[34:35]
.LBB6_1621:                             ;   in Loop: Header=BB6_356 Depth=4
	s_or_b64 exec, exec, s[30:31]
.LBB6_1622:                             ;   in Loop: Header=BB6_356 Depth=4
	s_or_b64 exec, exec, s[28:29]
	v_lshrrev_b16_e32 v2, 8, v19
	v_cmp_ne_u16_e32 vcc, 0, v2
	s_and_saveexec_b64 s[28:29], vcc
	s_cbranch_execz .LBB6_1628
; %bb.1623:                             ;   in Loop: Header=BB6_356 Depth=4
	v_cmp_ne_u16_e32 vcc, s80, v2
	v_bfrev_b32_e32 v0, 1
	s_and_saveexec_b64 s[30:31], vcc
	s_cbranch_execz .LBB6_1627
; %bb.1624:                             ;   in Loop: Header=BB6_356 Depth=4
	v_and_b32_e32 v1, 0x7f, v2
	v_cmp_ne_u32_e32 vcc, s81, v1
	v_mov_b32_e32 v0, 0x7f800001
	s_and_saveexec_b64 s[34:35], vcc
	s_cbranch_execz .LBB6_1626
; %bb.1625:                             ;   in Loop: Header=BB6_356 Depth=4
	v_and_b32_e32 v6, 7, v2
	v_ffbh_u32_e32 v0, v6
	v_min_u32_e32 v16, 32, v0
	v_subrev_u32_e32 v0, 28, v16
	v_lshrrev_b32_e32 v7, 3, v1
	v_cmp_gt_u32_e32 vcc, 8, v1
	v_lshlrev_b64 v[0:1], v0, v[2:3]
	v_sub_u32_e32 v1, 29, v16
	v_and_b32_e32 v0, 7, v0
	v_cndmask_b32_e32 v1, v7, v1, vcc
	v_cndmask_b32_e32 v0, v6, v0, vcc
	v_lshlrev_b32_e32 v2, 16, v19
	v_bfrev_b32_e32 v6, 60
	v_lshlrev_b32_e32 v0, 20, v0
	v_and_b32_e32 v2, 0x80000000, v2
	v_lshl_add_u32 v1, v1, 23, v6
	v_or3_b32 v0, v2, v1, v0
.LBB6_1626:                             ;   in Loop: Header=BB6_356 Depth=4
	s_or_b64 exec, exec, s[34:35]
.LBB6_1627:                             ;   in Loop: Header=BB6_356 Depth=4
	s_or_b64 exec, exec, s[30:31]
.LBB6_1628:                             ;   in Loop: Header=BB6_356 Depth=4
	s_or_b64 exec, exec, s[28:29]
	v_mul_f32_e32 v2, v3, v0
	v_and_b32_e32 v20, 0x7f800000, v2
	v_cmp_ne_u64_e32 vcc, s[62:63], v[20:21]
                                        ; implicit-def: $vgpr28
	s_and_saveexec_b64 s[28:29], vcc
	s_xor_b64 s[30:31], exec, s[28:29]
	s_cbranch_execz .LBB6_1642
; %bb.1629:                             ;   in Loop: Header=BB6_356 Depth=4
	v_and_b32_e32 v20, 0x7fffffff, v2
	v_cmp_gt_u64_e32 vcc, s[78:79], v[20:21]
	v_and_b32_sdwa v0, v2, s80 dst_sel:DWORD dst_unused:UNUSED_PAD src0_sel:BYTE_3 src1_sel:DWORD
                                        ; implicit-def: $vgpr28
	s_and_saveexec_b64 s[28:29], vcc
	s_xor_b64 s[34:35], exec, s[28:29]
	s_cbranch_execz .LBB6_1639
; %bb.1630:                             ;   in Loop: Header=BB6_356 Depth=4
	v_mov_b32_e32 v28, 0
	v_cmp_ne_u32_e32 vcc, 0, v2
	s_and_saveexec_b64 s[36:37], vcc
	s_cbranch_execz .LBB6_1638
; %bb.1631:                             ;   in Loop: Header=BB6_356 Depth=4
	v_bfe_u32 v6, v2, 23, 8
	v_and_b32_e32 v1, 0x7fffff, v2
	v_cmp_gt_u32_e64 s[28:29], s47, v6
	v_sub_u32_e32 v2, 0x79, v6
	v_cmp_eq_u32_e32 vcc, 0, v6
	v_cndmask_b32_e64 v2, 0, v2, s[28:29]
	v_mov_b32_e32 v7, 0x78
	v_or_b32_e32 v3, 0x800000, v1
	v_cndmask_b32_e32 v7, v2, v7, vcc
	v_cndmask_b32_e32 v20, v3, v1, vcc
	v_add_u32_e32 v1, 20, v7
	v_lshlrev_b64 v[1:2], v1, -1
	v_add_u32_e32 v3, 19, v7
	v_lshlrev_b64 v[16:17], v3, 1
	v_bfi_b32 v2, v2, 0, 0
	v_bfi_b32 v1, v1, 0, v20
	v_cmp_eq_u64_e64 s[28:29], v[1:2], v[16:17]
	v_lshrrev_b64 v[2:3], v7, v[20:21]
	v_mov_b32_e32 v17, v3
	v_mov_b32_e32 v16, v2
	s_and_saveexec_b64 s[38:39], s[28:29]
; %bb.1632:                             ;   in Loop: Header=BB6_356 Depth=4
	v_bfe_u32 v1, v2, 20, 1
	v_add_co_u32_e64 v1, s[28:29], v2, v1
	v_add_co_u32_e64 v16, s[28:29], -1, v1
; %bb.1633:                             ;   in Loop: Header=BB6_356 Depth=4
	s_or_b64 exec, exec, s[38:39]
	v_add_u32_e32 v1, 0xffffff81, v6
	v_mov_b32_e32 v3, 0xffffff82
	v_cndmask_b32_e32 v1, v1, v3, vcc
	v_lshrrev_b32_e32 v3, 23, v2
	v_add3_u32 v7, v7, v1, v3
	v_add_u32_e32 v6, 6, v7
	v_and_b32_e32 v1, 0xfffff, v16
	v_add_u32_e32 v20, v1, v2
	v_cmp_ne_u32_e32 vcc, 0, v6
                                        ; implicit-def: $vgpr2_vgpr3
                                        ; implicit-def: $vgpr1
	s_and_saveexec_b64 s[28:29], vcc
	s_xor_b64 s[28:29], exec, s[28:29]
; %bb.1634:                             ;   in Loop: Header=BB6_356 Depth=4
	v_cmp_lt_u64_e32 vcc, s[88:89], v[20:21]
	v_add_u32_e32 v1, 7, v7
	v_cndmask_b32_e64 v2, 0, 1, vcc
	v_lshrrev_b64 v[2:3], v2, v[20:21]
	v_cndmask_b32_e32 v1, v6, v1, vcc
; %bb.1635:                             ;   in Loop: Header=BB6_356 Depth=4
	s_andn2_saveexec_b64 s[28:29], s[28:29]
; %bb.1636:                             ;   in Loop: Header=BB6_356 Depth=4
	v_mov_b32_e32 v2, v20
	v_bfe_u32 v1, v20, 23, 1
	v_mov_b32_e32 v3, v21
; %bb.1637:                             ;   in Loop: Header=BB6_356 Depth=4
	s_or_b64 exec, exec, s[28:29]
	v_lshrrev_b64 v[2:3], 20, v[2:3]
	v_cmp_gt_i32_e32 vcc, 16, v1
	v_cndmask_b32_e32 v3, 0, v3, vcc
	v_cndmask_b32_e32 v2, 7, v2, vcc
	v_cmp_eq_u32_e32 vcc, 0, v1
	v_min_i32_e32 v1, 15, v1
	v_cmp_eq_u64_e64 s[28:29], 0, v[2:3]
	v_lshlrev_b32_e32 v1, 3, v1
	v_and_b32_e32 v1, 0xf8, v1
	v_and_or_b32 v1, v2, 7, v1
	s_and_b64 s[28:29], vcc, s[28:29]
	v_cndmask_b32_e64 v1, v1, 0, s[28:29]
	v_or_b32_e32 v28, v1, v0
.LBB6_1638:                             ;   in Loop: Header=BB6_356 Depth=4
	s_or_b64 exec, exec, s[36:37]
                                        ; implicit-def: $vgpr0
.LBB6_1639:                             ;   in Loop: Header=BB6_356 Depth=4
	s_andn2_saveexec_b64 s[28:29], s[34:35]
; %bb.1640:                             ;   in Loop: Header=BB6_356 Depth=4
	v_or_b32_e32 v28, 0x7e, v0
; %bb.1641:                             ;   in Loop: Header=BB6_356 Depth=4
	s_or_b64 exec, exec, s[28:29]
                                        ; implicit-def: $vgpr2
.LBB6_1642:                             ;   in Loop: Header=BB6_356 Depth=4
	s_andn2_saveexec_b64 s[28:29], s[30:31]
; %bb.1643:                             ;   in Loop: Header=BB6_356 Depth=4
	v_or_b32_sdwa v28, v2, s81 dst_sel:DWORD dst_unused:UNUSED_PAD src0_sel:BYTE_3 src1_sel:DWORD
; %bb.1644:                             ;   in Loop: Header=BB6_356 Depth=4
	s_or_b64 exec, exec, s[28:29]
	v_lshrrev_b32_e32 v2, 16, v61
	v_cmp_ne_u16_sdwa vcc, v2, v21 src0_sel:BYTE_0 src1_sel:DWORD
	v_mov_b32_e32 v0, 0
	v_mov_b32_e32 v3, 0
	s_and_saveexec_b64 s[28:29], vcc
	s_cbranch_execz .LBB6_1650
; %bb.1645:                             ;   in Loop: Header=BB6_356 Depth=4
	v_cmp_ne_u16_sdwa vcc, v2, s80 src0_sel:BYTE_0 src1_sel:DWORD
	v_bfrev_b32_e32 v3, 1
	s_and_saveexec_b64 s[30:31], vcc
	s_cbranch_execz .LBB6_1649
; %bb.1646:                             ;   in Loop: Header=BB6_356 Depth=4
	v_bfe_u32 v1, v61, 16, 7
	v_cmp_ne_u32_e32 vcc, s81, v1
	v_mov_b32_e32 v3, 0x7f800001
	s_and_saveexec_b64 s[34:35], vcc
	s_cbranch_execz .LBB6_1648
; %bb.1647:                             ;   in Loop: Header=BB6_356 Depth=4
	v_and_b32_e32 v3, 7, v2
	v_lshrrev_b32_e32 v16, 3, v1
	v_cmp_gt_u32_e32 vcc, 8, v1
	v_ffbh_u32_e32 v1, v3
	v_min_u32_e32 v1, 32, v1
	v_subrev_u32_e32 v6, 28, v1
	v_lshlrev_b64 v[6:7], v6, v[2:3]
	v_sub_u32_e32 v1, 29, v1
	v_and_b32_e32 v6, 7, v6
	v_cndmask_b32_e32 v1, v16, v1, vcc
	v_cndmask_b32_e32 v3, v3, v6, vcc
	v_lshlrev_b32_e32 v2, 24, v2
	v_bfrev_b32_e32 v6, 60
	v_lshlrev_b32_e32 v3, 20, v3
	v_and_b32_e32 v2, 0x80000000, v2
	v_lshl_add_u32 v1, v1, 23, v6
	v_or3_b32 v3, v2, v1, v3
.LBB6_1648:                             ;   in Loop: Header=BB6_356 Depth=4
	s_or_b64 exec, exec, s[34:35]
.LBB6_1649:                             ;   in Loop: Header=BB6_356 Depth=4
	s_or_b64 exec, exec, s[30:31]
.LBB6_1650:                             ;   in Loop: Header=BB6_356 Depth=4
	s_or_b64 exec, exec, s[28:29]
	v_lshrrev_b32_e32 v2, 16, v19
	v_cmp_ne_u16_sdwa vcc, v2, v21 src0_sel:BYTE_0 src1_sel:DWORD
	s_and_saveexec_b64 s[28:29], vcc
	s_cbranch_execz .LBB6_1656
; %bb.1651:                             ;   in Loop: Header=BB6_356 Depth=4
	v_cmp_ne_u16_sdwa vcc, v2, s80 src0_sel:BYTE_0 src1_sel:DWORD
	v_bfrev_b32_e32 v0, 1
	s_and_saveexec_b64 s[30:31], vcc
	s_cbranch_execz .LBB6_1655
; %bb.1652:                             ;   in Loop: Header=BB6_356 Depth=4
	v_bfe_u32 v1, v19, 16, 7
	v_cmp_ne_u32_e32 vcc, s81, v1
	v_mov_b32_e32 v0, 0x7f800001
	s_and_saveexec_b64 s[34:35], vcc
	s_cbranch_execz .LBB6_1654
; %bb.1653:                             ;   in Loop: Header=BB6_356 Depth=4
	v_and_b32_e32 v6, 7, v2
	v_ffbh_u32_e32 v0, v6
	v_min_u32_e32 v16, 32, v0
	v_subrev_u32_e32 v0, 28, v16
	v_lshrrev_b32_e32 v7, 3, v1
	v_cmp_gt_u32_e32 vcc, 8, v1
	v_lshlrev_b64 v[0:1], v0, v[2:3]
	v_sub_u32_e32 v1, 29, v16
	v_and_b32_e32 v0, 7, v0
	v_cndmask_b32_e32 v1, v7, v1, vcc
	v_cndmask_b32_e32 v0, v6, v0, vcc
	v_lshlrev_b32_e32 v2, 8, v19
	v_bfrev_b32_e32 v6, 60
	v_lshlrev_b32_e32 v0, 20, v0
	v_and_b32_e32 v2, 0x80000000, v2
	v_lshl_add_u32 v1, v1, 23, v6
	v_or3_b32 v0, v2, v1, v0
.LBB6_1654:                             ;   in Loop: Header=BB6_356 Depth=4
	s_or_b64 exec, exec, s[34:35]
.LBB6_1655:                             ;   in Loop: Header=BB6_356 Depth=4
	s_or_b64 exec, exec, s[30:31]
.LBB6_1656:                             ;   in Loop: Header=BB6_356 Depth=4
	s_or_b64 exec, exec, s[28:29]
	v_mul_f32_e32 v2, v3, v0
	v_and_b32_e32 v20, 0x7f800000, v2
	v_cmp_ne_u64_e32 vcc, s[62:63], v[20:21]
                                        ; implicit-def: $vgpr6
	s_and_saveexec_b64 s[28:29], vcc
	s_xor_b64 s[30:31], exec, s[28:29]
	s_cbranch_execz .LBB6_1670
; %bb.1657:                             ;   in Loop: Header=BB6_356 Depth=4
	v_and_b32_e32 v20, 0x7fffffff, v2
	v_cmp_gt_u64_e32 vcc, s[78:79], v[20:21]
	v_and_b32_sdwa v0, v2, s80 dst_sel:DWORD dst_unused:UNUSED_PAD src0_sel:BYTE_3 src1_sel:DWORD
                                        ; implicit-def: $vgpr6
	s_and_saveexec_b64 s[28:29], vcc
	s_xor_b64 s[34:35], exec, s[28:29]
	s_cbranch_execz .LBB6_1667
; %bb.1658:                             ;   in Loop: Header=BB6_356 Depth=4
	v_mov_b32_e32 v6, 0
	v_cmp_ne_u32_e32 vcc, 0, v2
	s_and_saveexec_b64 s[36:37], vcc
	s_cbranch_execz .LBB6_1666
; %bb.1659:                             ;   in Loop: Header=BB6_356 Depth=4
	v_bfe_u32 v6, v2, 23, 8
	v_and_b32_e32 v1, 0x7fffff, v2
	v_cmp_gt_u32_e64 s[28:29], s47, v6
	v_sub_u32_e32 v2, 0x79, v6
	v_cmp_eq_u32_e32 vcc, 0, v6
	v_cndmask_b32_e64 v2, 0, v2, s[28:29]
	v_mov_b32_e32 v7, 0x78
	v_or_b32_e32 v3, 0x800000, v1
	v_cndmask_b32_e32 v7, v2, v7, vcc
	v_cndmask_b32_e32 v20, v3, v1, vcc
	v_add_u32_e32 v1, 20, v7
	v_lshlrev_b64 v[1:2], v1, -1
	v_add_u32_e32 v3, 19, v7
	v_lshlrev_b64 v[16:17], v3, 1
	v_bfi_b32 v2, v2, 0, 0
	v_bfi_b32 v1, v1, 0, v20
	v_cmp_eq_u64_e64 s[28:29], v[1:2], v[16:17]
	v_lshrrev_b64 v[2:3], v7, v[20:21]
	v_mov_b32_e32 v17, v3
	v_mov_b32_e32 v16, v2
	s_and_saveexec_b64 s[38:39], s[28:29]
; %bb.1660:                             ;   in Loop: Header=BB6_356 Depth=4
	v_bfe_u32 v1, v2, 20, 1
	v_add_co_u32_e64 v1, s[28:29], v2, v1
	v_add_co_u32_e64 v16, s[28:29], -1, v1
; %bb.1661:                             ;   in Loop: Header=BB6_356 Depth=4
	s_or_b64 exec, exec, s[38:39]
	v_add_u32_e32 v1, 0xffffff81, v6
	v_mov_b32_e32 v3, 0xffffff82
	v_cndmask_b32_e32 v1, v1, v3, vcc
	v_lshrrev_b32_e32 v3, 23, v2
	v_add3_u32 v7, v7, v1, v3
	v_add_u32_e32 v6, 6, v7
	v_and_b32_e32 v1, 0xfffff, v16
	v_add_u32_e32 v20, v1, v2
	v_cmp_ne_u32_e32 vcc, 0, v6
                                        ; implicit-def: $vgpr2_vgpr3
                                        ; implicit-def: $vgpr1
	s_and_saveexec_b64 s[28:29], vcc
	s_xor_b64 s[28:29], exec, s[28:29]
; %bb.1662:                             ;   in Loop: Header=BB6_356 Depth=4
	v_cmp_lt_u64_e32 vcc, s[88:89], v[20:21]
	v_add_u32_e32 v1, 7, v7
	v_cndmask_b32_e64 v2, 0, 1, vcc
	v_lshrrev_b64 v[2:3], v2, v[20:21]
	v_cndmask_b32_e32 v1, v6, v1, vcc
; %bb.1663:                             ;   in Loop: Header=BB6_356 Depth=4
	s_andn2_saveexec_b64 s[28:29], s[28:29]
; %bb.1664:                             ;   in Loop: Header=BB6_356 Depth=4
	v_mov_b32_e32 v2, v20
	v_bfe_u32 v1, v20, 23, 1
	v_mov_b32_e32 v3, v21
; %bb.1665:                             ;   in Loop: Header=BB6_356 Depth=4
	s_or_b64 exec, exec, s[28:29]
	v_lshrrev_b64 v[2:3], 20, v[2:3]
	v_cmp_gt_i32_e32 vcc, 16, v1
	v_cndmask_b32_e32 v3, 0, v3, vcc
	v_cndmask_b32_e32 v2, 7, v2, vcc
	v_cmp_eq_u32_e32 vcc, 0, v1
	v_min_i32_e32 v1, 15, v1
	v_cmp_eq_u64_e64 s[28:29], 0, v[2:3]
	v_lshlrev_b32_e32 v1, 3, v1
	v_and_b32_e32 v1, 0xf8, v1
	v_and_or_b32 v1, v2, 7, v1
	s_and_b64 s[28:29], vcc, s[28:29]
	v_cndmask_b32_e64 v1, v1, 0, s[28:29]
	v_or_b32_e32 v6, v1, v0
.LBB6_1666:                             ;   in Loop: Header=BB6_356 Depth=4
	s_or_b64 exec, exec, s[36:37]
                                        ; implicit-def: $vgpr0
.LBB6_1667:                             ;   in Loop: Header=BB6_356 Depth=4
	s_andn2_saveexec_b64 s[28:29], s[34:35]
; %bb.1668:                             ;   in Loop: Header=BB6_356 Depth=4
	v_or_b32_e32 v6, 0x7e, v0
; %bb.1669:                             ;   in Loop: Header=BB6_356 Depth=4
	s_or_b64 exec, exec, s[28:29]
                                        ; implicit-def: $vgpr2
.LBB6_1670:                             ;   in Loop: Header=BB6_356 Depth=4
	s_andn2_saveexec_b64 s[28:29], s[30:31]
; %bb.1671:                             ;   in Loop: Header=BB6_356 Depth=4
	v_or_b32_sdwa v6, v2, s81 dst_sel:DWORD dst_unused:UNUSED_PAD src0_sel:BYTE_3 src1_sel:DWORD
; %bb.1672:                             ;   in Loop: Header=BB6_356 Depth=4
	s_or_b64 exec, exec, s[28:29]
	v_cmp_lt_u64_e32 vcc, s[56:57], v[60:61]
	v_mov_b32_e32 v0, 0
	v_mov_b32_e32 v3, 0
	s_and_saveexec_b64 s[28:29], vcc
	s_cbranch_execz .LBB6_1678
; %bb.1673:                             ;   in Loop: Header=BB6_356 Depth=4
	v_lshrrev_b32_e32 v2, 24, v61
	v_cmp_ne_u32_e32 vcc, s80, v2
	v_bfrev_b32_e32 v3, 1
	s_and_saveexec_b64 s[30:31], vcc
	s_cbranch_execz .LBB6_1677
; %bb.1674:                             ;   in Loop: Header=BB6_356 Depth=4
	v_bfe_u32 v1, v61, 24, 7
	v_cmp_ne_u32_e32 vcc, s81, v1
	v_mov_b32_e32 v3, 0x7f800001
	s_and_saveexec_b64 s[34:35], vcc
	s_cbranch_execz .LBB6_1676
; %bb.1675:                             ;   in Loop: Header=BB6_356 Depth=4
	v_and_b32_e32 v3, 7, v2
	v_lshrrev_b32_e32 v7, 3, v1
	v_cmp_gt_u32_e32 vcc, 8, v1
	v_ffbh_u32_e32 v1, v3
	v_min_u32_e32 v1, 32, v1
	v_subrev_u32_e32 v16, 28, v1
	v_lshlrev_b64 v[16:17], v16, v[2:3]
	v_sub_u32_e32 v1, 29, v1
	v_and_b32_e32 v16, 7, v16
	v_cndmask_b32_e32 v1, v7, v1, vcc
	v_cndmask_b32_e32 v3, v3, v16, vcc
	v_lshlrev_b32_e32 v2, 24, v2
	v_bfrev_b32_e32 v7, 60
	v_lshlrev_b32_e32 v3, 20, v3
	v_and_b32_e32 v2, 0x80000000, v2
	v_lshl_add_u32 v1, v1, 23, v7
	v_or3_b32 v3, v2, v1, v3
.LBB6_1676:                             ;   in Loop: Header=BB6_356 Depth=4
	s_or_b64 exec, exec, s[34:35]
.LBB6_1677:                             ;   in Loop: Header=BB6_356 Depth=4
	s_or_b64 exec, exec, s[30:31]
.LBB6_1678:                             ;   in Loop: Header=BB6_356 Depth=4
	s_or_b64 exec, exec, s[28:29]
	v_cmp_lt_u64_e32 vcc, s[56:57], v[18:19]
	s_and_saveexec_b64 s[28:29], vcc
	s_cbranch_execz .LBB6_1684
; %bb.1679:                             ;   in Loop: Header=BB6_356 Depth=4
	v_lshrrev_b32_e32 v2, 24, v19
	v_cmp_ne_u32_e32 vcc, s80, v2
	v_bfrev_b32_e32 v0, 1
	s_and_saveexec_b64 s[30:31], vcc
	s_cbranch_execz .LBB6_1683
; %bb.1680:                             ;   in Loop: Header=BB6_356 Depth=4
	v_bfe_u32 v1, v19, 24, 7
	v_cmp_ne_u32_e32 vcc, s81, v1
	v_mov_b32_e32 v0, 0x7f800001
	s_and_saveexec_b64 s[34:35], vcc
	s_cbranch_execz .LBB6_1682
; %bb.1681:                             ;   in Loop: Header=BB6_356 Depth=4
	v_and_b32_e32 v7, 7, v2
	v_ffbh_u32_e32 v0, v7
	v_min_u32_e32 v17, 32, v0
	v_subrev_u32_e32 v0, 28, v17
	v_lshrrev_b32_e32 v16, 3, v1
	v_cmp_gt_u32_e32 vcc, 8, v1
	v_lshlrev_b64 v[0:1], v0, v[2:3]
	v_sub_u32_e32 v1, 29, v17
	v_and_b32_e32 v0, 7, v0
	v_cndmask_b32_e32 v1, v16, v1, vcc
	v_cndmask_b32_e32 v0, v7, v0, vcc
	v_lshlrev_b32_e32 v2, 24, v2
	v_bfrev_b32_e32 v7, 60
	v_lshlrev_b32_e32 v0, 20, v0
	v_and_b32_e32 v2, 0x80000000, v2
	v_lshl_add_u32 v1, v1, 23, v7
	v_or3_b32 v0, v2, v1, v0
.LBB6_1682:                             ;   in Loop: Header=BB6_356 Depth=4
	s_or_b64 exec, exec, s[34:35]
.LBB6_1683:                             ;   in Loop: Header=BB6_356 Depth=4
	s_or_b64 exec, exec, s[30:31]
.LBB6_1684:                             ;   in Loop: Header=BB6_356 Depth=4
	s_or_b64 exec, exec, s[28:29]
	v_mul_f32_e32 v2, v3, v0
	v_and_b32_e32 v20, 0x7f800000, v2
	v_cmp_ne_u64_e32 vcc, s[62:63], v[20:21]
                                        ; implicit-def: $vgpr18
	s_and_saveexec_b64 s[28:29], vcc
	s_xor_b64 s[30:31], exec, s[28:29]
	s_cbranch_execz .LBB6_1698
; %bb.1685:                             ;   in Loop: Header=BB6_356 Depth=4
	v_and_b32_e32 v20, 0x7fffffff, v2
	v_cmp_gt_u64_e32 vcc, s[78:79], v[20:21]
	v_and_b32_sdwa v0, v2, s80 dst_sel:DWORD dst_unused:UNUSED_PAD src0_sel:BYTE_3 src1_sel:DWORD
                                        ; implicit-def: $vgpr18
	s_and_saveexec_b64 s[28:29], vcc
	s_xor_b64 s[34:35], exec, s[28:29]
	s_cbranch_execz .LBB6_1695
; %bb.1686:                             ;   in Loop: Header=BB6_356 Depth=4
	v_mov_b32_e32 v18, 0
	v_cmp_ne_u32_e32 vcc, 0, v2
	s_and_saveexec_b64 s[36:37], vcc
	s_cbranch_execz .LBB6_1694
; %bb.1687:                             ;   in Loop: Header=BB6_356 Depth=4
	v_bfe_u32 v7, v2, 23, 8
	v_and_b32_e32 v1, 0x7fffff, v2
	v_cmp_gt_u32_e64 s[28:29], s47, v7
	v_sub_u32_e32 v2, 0x79, v7
	v_cmp_eq_u32_e32 vcc, 0, v7
	v_cndmask_b32_e64 v2, 0, v2, s[28:29]
	v_mov_b32_e32 v16, 0x78
	v_or_b32_e32 v3, 0x800000, v1
	v_cndmask_b32_e32 v18, v2, v16, vcc
	v_cndmask_b32_e32 v20, v3, v1, vcc
	v_add_u32_e32 v1, 20, v18
	v_lshlrev_b64 v[1:2], v1, -1
	v_add_u32_e32 v3, 19, v18
	v_lshlrev_b64 v[16:17], v3, 1
	v_bfi_b32 v2, v2, 0, 0
	v_bfi_b32 v1, v1, 0, v20
	v_cmp_eq_u64_e64 s[28:29], v[1:2], v[16:17]
	v_lshrrev_b64 v[2:3], v18, v[20:21]
	v_mov_b32_e32 v17, v3
	v_mov_b32_e32 v16, v2
	s_and_saveexec_b64 s[38:39], s[28:29]
; %bb.1688:                             ;   in Loop: Header=BB6_356 Depth=4
	v_bfe_u32 v1, v2, 20, 1
	v_add_co_u32_e64 v1, s[28:29], v2, v1
	v_add_co_u32_e64 v16, s[28:29], -1, v1
; %bb.1689:                             ;   in Loop: Header=BB6_356 Depth=4
	s_or_b64 exec, exec, s[38:39]
	v_add_u32_e32 v1, 0xffffff81, v7
	v_mov_b32_e32 v3, 0xffffff82
	v_cndmask_b32_e32 v1, v1, v3, vcc
	v_lshrrev_b32_e32 v3, 23, v2
	v_add3_u32 v17, v18, v1, v3
	v_add_u32_e32 v7, 6, v17
	v_and_b32_e32 v1, 0xfffff, v16
	v_add_u32_e32 v20, v1, v2
	v_cmp_ne_u32_e32 vcc, 0, v7
                                        ; implicit-def: $vgpr2_vgpr3
                                        ; implicit-def: $vgpr1
	s_and_saveexec_b64 s[28:29], vcc
	s_xor_b64 s[28:29], exec, s[28:29]
; %bb.1690:                             ;   in Loop: Header=BB6_356 Depth=4
	v_cmp_lt_u64_e32 vcc, s[88:89], v[20:21]
	v_add_u32_e32 v1, 7, v17
	v_cndmask_b32_e64 v2, 0, 1, vcc
	v_lshrrev_b64 v[2:3], v2, v[20:21]
	v_cndmask_b32_e32 v1, v7, v1, vcc
; %bb.1691:                             ;   in Loop: Header=BB6_356 Depth=4
	s_andn2_saveexec_b64 s[28:29], s[28:29]
; %bb.1692:                             ;   in Loop: Header=BB6_356 Depth=4
	v_mov_b32_e32 v2, v20
	v_bfe_u32 v1, v20, 23, 1
	v_mov_b32_e32 v3, v21
; %bb.1693:                             ;   in Loop: Header=BB6_356 Depth=4
	s_or_b64 exec, exec, s[28:29]
	v_lshrrev_b64 v[2:3], 20, v[2:3]
	v_cmp_gt_i32_e32 vcc, 16, v1
	v_cndmask_b32_e32 v3, 0, v3, vcc
	v_cndmask_b32_e32 v2, 7, v2, vcc
	v_cmp_eq_u32_e32 vcc, 0, v1
	v_min_i32_e32 v1, 15, v1
	v_cmp_eq_u64_e64 s[28:29], 0, v[2:3]
	v_lshlrev_b32_e32 v1, 3, v1
	v_and_b32_e32 v1, 0xf8, v1
	v_and_or_b32 v1, v2, 7, v1
	s_and_b64 s[28:29], vcc, s[28:29]
	v_cndmask_b32_e64 v1, v1, 0, s[28:29]
	v_or_b32_e32 v18, v1, v0
.LBB6_1694:                             ;   in Loop: Header=BB6_356 Depth=4
	s_or_b64 exec, exec, s[36:37]
                                        ; implicit-def: $vgpr0
.LBB6_1695:                             ;   in Loop: Header=BB6_356 Depth=4
	s_andn2_saveexec_b64 s[28:29], s[34:35]
; %bb.1696:                             ;   in Loop: Header=BB6_356 Depth=4
	v_or_b32_e32 v18, 0x7e, v0
; %bb.1697:                             ;   in Loop: Header=BB6_356 Depth=4
	s_or_b64 exec, exec, s[28:29]
                                        ; implicit-def: $vgpr2
.LBB6_1698:                             ;   in Loop: Header=BB6_356 Depth=4
	s_andn2_saveexec_b64 s[28:29], s[30:31]
; %bb.1699:                             ;   in Loop: Header=BB6_356 Depth=4
	v_or_b32_sdwa v18, v2, s81 dst_sel:DWORD dst_unused:UNUSED_PAD src0_sel:BYTE_3 src1_sel:DWORD
; %bb.1700:                             ;   in Loop: Header=BB6_356 Depth=4
	s_or_b64 exec, exec, s[28:29]
	v_cmp_ne_u16_sdwa vcc, v12, v21 src0_sel:BYTE_0 src1_sel:DWORD
	v_mov_b32_e32 v0, 0
	v_mov_b32_e32 v2, 0
	s_and_saveexec_b64 s[28:29], vcc
	s_cbranch_execz .LBB6_1706
; %bb.1701:                             ;   in Loop: Header=BB6_356 Depth=4
	v_cmp_ne_u16_sdwa vcc, v12, s80 src0_sel:BYTE_0 src1_sel:DWORD
	v_bfrev_b32_e32 v2, 1
	s_and_saveexec_b64 s[30:31], vcc
	s_cbranch_execz .LBB6_1705
; %bb.1702:                             ;   in Loop: Header=BB6_356 Depth=4
	v_and_b32_e32 v1, 0x7f, v12
	v_cmp_ne_u32_e32 vcc, s81, v1
	v_mov_b32_e32 v2, 0x7f800001
	s_and_saveexec_b64 s[34:35], vcc
	s_cbranch_execz .LBB6_1704
; %bb.1703:                             ;   in Loop: Header=BB6_356 Depth=4
	v_and_b32_e32 v2, 7, v12
	v_lshrrev_b32_e32 v3, 3, v1
	v_cmp_gt_u32_e32 vcc, 8, v1
	v_ffbh_u32_e32 v1, v2
	v_min_u32_e32 v1, 32, v1
	v_subrev_u32_e32 v2, 28, v1
	v_sub_u32_e32 v1, 29, v1
	v_cndmask_b32_e32 v3, v3, v1, vcc
	v_cndmask_b32_e32 v1, 0, v2, vcc
	v_lshlrev_b64 v[1:2], v1, v[12:13]
	v_lshlrev_b32_e32 v2, 24, v12
	v_lshlrev_b32_e32 v1, 20, v1
	v_bfrev_b32_e32 v7, 60
	v_and_b32_e32 v1, 0x700000, v1
	v_and_b32_e32 v2, 0x80000000, v2
	v_lshl_add_u32 v3, v3, 23, v7
	v_or3_b32 v2, v2, v3, v1
.LBB6_1704:                             ;   in Loop: Header=BB6_356 Depth=4
	s_or_b64 exec, exec, s[34:35]
.LBB6_1705:                             ;   in Loop: Header=BB6_356 Depth=4
	s_or_b64 exec, exec, s[30:31]
.LBB6_1706:                             ;   in Loop: Header=BB6_356 Depth=4
	s_or_b64 exec, exec, s[28:29]
	s_waitcnt vmcnt(0)
	v_cmp_ne_u16_sdwa vcc, v8, v21 src0_sel:BYTE_0 src1_sel:DWORD
	s_and_saveexec_b64 s[28:29], vcc
	s_cbranch_execz .LBB6_1712
; %bb.1707:                             ;   in Loop: Header=BB6_356 Depth=4
	v_cmp_ne_u16_sdwa vcc, v8, s80 src0_sel:BYTE_0 src1_sel:DWORD
	v_bfrev_b32_e32 v0, 1
	s_and_saveexec_b64 s[30:31], vcc
	s_cbranch_execz .LBB6_1711
; %bb.1708:                             ;   in Loop: Header=BB6_356 Depth=4
	v_and_b32_e32 v1, 0x7f, v8
	v_cmp_ne_u32_e32 vcc, s81, v1
	v_mov_b32_e32 v0, 0x7f800001
	s_and_saveexec_b64 s[34:35], vcc
	s_cbranch_execz .LBB6_1710
; %bb.1709:                             ;   in Loop: Header=BB6_356 Depth=4
	v_and_b32_e32 v0, 7, v8
	v_ffbh_u32_e32 v0, v0
	v_min_u32_e32 v0, 32, v0
	v_lshrrev_b32_e32 v3, 3, v1
	v_cmp_gt_u32_e32 vcc, 8, v1
	v_subrev_u32_e32 v1, 28, v0
	v_sub_u32_e32 v0, 29, v0
	v_cndmask_b32_e32 v3, v3, v0, vcc
	v_cndmask_b32_e32 v0, 0, v1, vcc
	v_lshlrev_b64 v[0:1], v0, v[8:9]
	v_lshlrev_b32_e32 v1, 24, v8
	v_lshlrev_b32_e32 v0, 20, v0
	v_bfrev_b32_e32 v7, 60
	v_and_b32_e32 v0, 0x700000, v0
	v_and_b32_e32 v1, 0x80000000, v1
	v_lshl_add_u32 v3, v3, 23, v7
	v_or3_b32 v0, v1, v3, v0
.LBB6_1710:                             ;   in Loop: Header=BB6_356 Depth=4
	s_or_b64 exec, exec, s[34:35]
.LBB6_1711:                             ;   in Loop: Header=BB6_356 Depth=4
	s_or_b64 exec, exec, s[30:31]
.LBB6_1712:                             ;   in Loop: Header=BB6_356 Depth=4
	s_or_b64 exec, exec, s[28:29]
	v_mul_f32_e32 v2, v2, v0
	v_and_b32_e32 v20, 0x7f800000, v2
	v_cmp_ne_u64_e32 vcc, s[62:63], v[20:21]
                                        ; implicit-def: $vgpr19
	s_and_saveexec_b64 s[28:29], vcc
	s_xor_b64 s[30:31], exec, s[28:29]
	s_cbranch_execz .LBB6_1726
; %bb.1713:                             ;   in Loop: Header=BB6_356 Depth=4
	v_and_b32_e32 v20, 0x7fffffff, v2
	v_cmp_gt_u64_e32 vcc, s[78:79], v[20:21]
	v_and_b32_sdwa v0, v2, s80 dst_sel:DWORD dst_unused:UNUSED_PAD src0_sel:BYTE_3 src1_sel:DWORD
                                        ; implicit-def: $vgpr19
	s_and_saveexec_b64 s[28:29], vcc
	s_xor_b64 s[34:35], exec, s[28:29]
	s_cbranch_execz .LBB6_1723
; %bb.1714:                             ;   in Loop: Header=BB6_356 Depth=4
	v_mov_b32_e32 v19, 0
	v_cmp_ne_u32_e32 vcc, 0, v2
	s_and_saveexec_b64 s[36:37], vcc
	s_cbranch_execz .LBB6_1722
; %bb.1715:                             ;   in Loop: Header=BB6_356 Depth=4
	v_bfe_u32 v7, v2, 23, 8
	v_and_b32_e32 v1, 0x7fffff, v2
	v_cmp_gt_u32_e64 s[28:29], s47, v7
	v_sub_u32_e32 v2, 0x79, v7
	v_cmp_eq_u32_e32 vcc, 0, v7
	v_cndmask_b32_e64 v2, 0, v2, s[28:29]
	v_mov_b32_e32 v16, 0x78
	v_or_b32_e32 v3, 0x800000, v1
	v_cndmask_b32_e32 v19, v2, v16, vcc
	v_cndmask_b32_e32 v20, v3, v1, vcc
	v_add_u32_e32 v1, 20, v19
	v_lshlrev_b64 v[1:2], v1, -1
	v_add_u32_e32 v3, 19, v19
	v_lshlrev_b64 v[16:17], v3, 1
	v_bfi_b32 v2, v2, 0, 0
	v_bfi_b32 v1, v1, 0, v20
	v_cmp_eq_u64_e64 s[28:29], v[1:2], v[16:17]
	v_lshrrev_b64 v[2:3], v19, v[20:21]
	v_mov_b32_e32 v17, v3
	v_mov_b32_e32 v16, v2
	s_and_saveexec_b64 s[38:39], s[28:29]
; %bb.1716:                             ;   in Loop: Header=BB6_356 Depth=4
	v_bfe_u32 v1, v2, 20, 1
	v_add_co_u32_e64 v1, s[28:29], v2, v1
	v_add_co_u32_e64 v16, s[28:29], -1, v1
; %bb.1717:                             ;   in Loop: Header=BB6_356 Depth=4
	s_or_b64 exec, exec, s[38:39]
	v_add_u32_e32 v1, 0xffffff81, v7
	v_mov_b32_e32 v3, 0xffffff82
	v_cndmask_b32_e32 v1, v1, v3, vcc
	v_lshrrev_b32_e32 v3, 23, v2
	v_add3_u32 v17, v19, v1, v3
	v_add_u32_e32 v7, 6, v17
	v_and_b32_e32 v1, 0xfffff, v16
	v_add_u32_e32 v20, v1, v2
	v_cmp_ne_u32_e32 vcc, 0, v7
                                        ; implicit-def: $vgpr2_vgpr3
                                        ; implicit-def: $vgpr1
	s_and_saveexec_b64 s[28:29], vcc
	s_xor_b64 s[28:29], exec, s[28:29]
; %bb.1718:                             ;   in Loop: Header=BB6_356 Depth=4
	v_cmp_lt_u64_e32 vcc, s[88:89], v[20:21]
	v_add_u32_e32 v1, 7, v17
	v_cndmask_b32_e64 v2, 0, 1, vcc
	v_lshrrev_b64 v[2:3], v2, v[20:21]
	v_cndmask_b32_e32 v1, v7, v1, vcc
; %bb.1719:                             ;   in Loop: Header=BB6_356 Depth=4
	s_andn2_saveexec_b64 s[28:29], s[28:29]
; %bb.1720:                             ;   in Loop: Header=BB6_356 Depth=4
	v_mov_b32_e32 v2, v20
	v_bfe_u32 v1, v20, 23, 1
	v_mov_b32_e32 v3, v21
; %bb.1721:                             ;   in Loop: Header=BB6_356 Depth=4
	s_or_b64 exec, exec, s[28:29]
	v_lshrrev_b64 v[2:3], 20, v[2:3]
	v_cmp_gt_i32_e32 vcc, 16, v1
	v_cndmask_b32_e32 v3, 0, v3, vcc
	v_cndmask_b32_e32 v2, 7, v2, vcc
	v_cmp_eq_u32_e32 vcc, 0, v1
	v_min_i32_e32 v1, 15, v1
	v_cmp_eq_u64_e64 s[28:29], 0, v[2:3]
	v_lshlrev_b32_e32 v1, 3, v1
	v_and_b32_e32 v1, 0xf8, v1
	v_and_or_b32 v1, v2, 7, v1
	s_and_b64 s[28:29], vcc, s[28:29]
	v_cndmask_b32_e64 v1, v1, 0, s[28:29]
	v_or_b32_e32 v19, v1, v0
.LBB6_1722:                             ;   in Loop: Header=BB6_356 Depth=4
	s_or_b64 exec, exec, s[36:37]
                                        ; implicit-def: $vgpr0
.LBB6_1723:                             ;   in Loop: Header=BB6_356 Depth=4
	s_andn2_saveexec_b64 s[28:29], s[34:35]
; %bb.1724:                             ;   in Loop: Header=BB6_356 Depth=4
	v_or_b32_e32 v19, 0x7e, v0
; %bb.1725:                             ;   in Loop: Header=BB6_356 Depth=4
	s_or_b64 exec, exec, s[28:29]
                                        ; implicit-def: $vgpr2
.LBB6_1726:                             ;   in Loop: Header=BB6_356 Depth=4
	s_andn2_saveexec_b64 s[28:29], s[30:31]
; %bb.1727:                             ;   in Loop: Header=BB6_356 Depth=4
	v_or_b32_sdwa v19, v2, s81 dst_sel:DWORD dst_unused:UNUSED_PAD src0_sel:BYTE_3 src1_sel:DWORD
; %bb.1728:                             ;   in Loop: Header=BB6_356 Depth=4
	s_or_b64 exec, exec, s[28:29]
	v_lshrrev_b16_e32 v2, 8, v12
	v_cmp_ne_u16_e32 vcc, 0, v2
	v_mov_b32_e32 v0, 0
	v_mov_b32_e32 v3, 0
	s_and_saveexec_b64 s[28:29], vcc
	s_cbranch_execz .LBB6_1734
; %bb.1729:                             ;   in Loop: Header=BB6_356 Depth=4
	v_cmp_ne_u16_e32 vcc, s80, v2
	v_bfrev_b32_e32 v3, 1
	s_and_saveexec_b64 s[30:31], vcc
	s_cbranch_execz .LBB6_1733
; %bb.1730:                             ;   in Loop: Header=BB6_356 Depth=4
	v_and_b32_e32 v1, 0x7f, v2
	v_cmp_ne_u32_e32 vcc, s81, v1
	v_mov_b32_e32 v3, 0x7f800001
	s_and_saveexec_b64 s[34:35], vcc
	s_cbranch_execz .LBB6_1732
; %bb.1731:                             ;   in Loop: Header=BB6_356 Depth=4
	v_and_b32_e32 v3, 7, v2
	v_lshrrev_b32_e32 v7, 3, v1
	v_cmp_gt_u32_e32 vcc, 8, v1
	v_ffbh_u32_e32 v1, v3
	v_min_u32_e32 v16, 32, v1
	v_subrev_u32_e32 v1, 28, v16
	v_lshlrev_b64 v[1:2], v1, v[2:3]
	v_sub_u32_e32 v2, 29, v16
	v_and_b32_e32 v1, 7, v1
	v_cndmask_b32_e32 v2, v7, v2, vcc
	v_cndmask_b32_e32 v1, v3, v1, vcc
	v_lshlrev_b32_e32 v3, 16, v12
	v_bfrev_b32_e32 v7, 60
	v_lshlrev_b32_e32 v1, 20, v1
	v_and_b32_e32 v3, 0x80000000, v3
	v_lshl_add_u32 v2, v2, 23, v7
	v_or3_b32 v3, v3, v2, v1
.LBB6_1732:                             ;   in Loop: Header=BB6_356 Depth=4
	s_or_b64 exec, exec, s[34:35]
.LBB6_1733:                             ;   in Loop: Header=BB6_356 Depth=4
	s_or_b64 exec, exec, s[30:31]
.LBB6_1734:                             ;   in Loop: Header=BB6_356 Depth=4
	s_or_b64 exec, exec, s[28:29]
	v_lshrrev_b16_e32 v2, 8, v8
	v_cmp_ne_u16_e32 vcc, 0, v2
	s_and_saveexec_b64 s[28:29], vcc
	s_cbranch_execz .LBB6_1740
; %bb.1735:                             ;   in Loop: Header=BB6_356 Depth=4
	v_cmp_ne_u16_e32 vcc, s80, v2
	v_bfrev_b32_e32 v0, 1
	s_and_saveexec_b64 s[30:31], vcc
	s_cbranch_execz .LBB6_1739
; %bb.1736:                             ;   in Loop: Header=BB6_356 Depth=4
	v_and_b32_e32 v1, 0x7f, v2
	v_cmp_ne_u32_e32 vcc, s81, v1
	v_mov_b32_e32 v0, 0x7f800001
	s_and_saveexec_b64 s[34:35], vcc
	s_cbranch_execz .LBB6_1738
; %bb.1737:                             ;   in Loop: Header=BB6_356 Depth=4
	v_and_b32_e32 v7, 7, v2
	v_ffbh_u32_e32 v0, v7
	v_min_u32_e32 v17, 32, v0
	v_subrev_u32_e32 v0, 28, v17
	v_lshrrev_b32_e32 v16, 3, v1
	v_cmp_gt_u32_e32 vcc, 8, v1
	v_lshlrev_b64 v[0:1], v0, v[2:3]
	v_sub_u32_e32 v1, 29, v17
	v_and_b32_e32 v0, 7, v0
	v_cndmask_b32_e32 v1, v16, v1, vcc
	v_cndmask_b32_e32 v0, v7, v0, vcc
	v_lshlrev_b32_e32 v2, 16, v8
	v_bfrev_b32_e32 v7, 60
	v_lshlrev_b32_e32 v0, 20, v0
	v_and_b32_e32 v2, 0x80000000, v2
	v_lshl_add_u32 v1, v1, 23, v7
	v_or3_b32 v0, v2, v1, v0
.LBB6_1738:                             ;   in Loop: Header=BB6_356 Depth=4
	s_or_b64 exec, exec, s[34:35]
.LBB6_1739:                             ;   in Loop: Header=BB6_356 Depth=4
	s_or_b64 exec, exec, s[30:31]
.LBB6_1740:                             ;   in Loop: Header=BB6_356 Depth=4
	s_or_b64 exec, exec, s[28:29]
	v_mul_f32_e32 v2, v3, v0
	v_and_b32_e32 v20, 0x7f800000, v2
	v_cmp_ne_u64_e32 vcc, s[62:63], v[20:21]
                                        ; implicit-def: $vgpr42
	s_and_saveexec_b64 s[28:29], vcc
	s_xor_b64 s[30:31], exec, s[28:29]
	s_cbranch_execz .LBB6_1754
; %bb.1741:                             ;   in Loop: Header=BB6_356 Depth=4
	v_and_b32_e32 v20, 0x7fffffff, v2
	v_cmp_gt_u64_e32 vcc, s[78:79], v[20:21]
	v_and_b32_sdwa v0, v2, s80 dst_sel:DWORD dst_unused:UNUSED_PAD src0_sel:BYTE_3 src1_sel:DWORD
                                        ; implicit-def: $vgpr42
	s_and_saveexec_b64 s[28:29], vcc
	s_xor_b64 s[34:35], exec, s[28:29]
	s_cbranch_execz .LBB6_1751
; %bb.1742:                             ;   in Loop: Header=BB6_356 Depth=4
	v_mov_b32_e32 v42, 0
	v_cmp_ne_u32_e32 vcc, 0, v2
	s_and_saveexec_b64 s[36:37], vcc
	s_cbranch_execz .LBB6_1750
; %bb.1743:                             ;   in Loop: Header=BB6_356 Depth=4
	v_bfe_u32 v7, v2, 23, 8
	v_and_b32_e32 v1, 0x7fffff, v2
	v_cmp_gt_u32_e64 s[28:29], s47, v7
	v_sub_u32_e32 v2, 0x79, v7
	v_cmp_eq_u32_e32 vcc, 0, v7
	v_cndmask_b32_e64 v2, 0, v2, s[28:29]
	v_mov_b32_e32 v16, 0x78
	v_or_b32_e32 v3, 0x800000, v1
	v_cndmask_b32_e32 v38, v2, v16, vcc
	v_cndmask_b32_e32 v20, v3, v1, vcc
	v_add_u32_e32 v1, 20, v38
	v_lshlrev_b64 v[1:2], v1, -1
	v_add_u32_e32 v3, 19, v38
	v_lshlrev_b64 v[16:17], v3, 1
	v_bfi_b32 v2, v2, 0, 0
	v_bfi_b32 v1, v1, 0, v20
	v_cmp_eq_u64_e64 s[28:29], v[1:2], v[16:17]
	v_lshrrev_b64 v[2:3], v38, v[20:21]
	v_mov_b32_e32 v17, v3
	v_mov_b32_e32 v16, v2
	s_and_saveexec_b64 s[38:39], s[28:29]
; %bb.1744:                             ;   in Loop: Header=BB6_356 Depth=4
	v_bfe_u32 v1, v2, 20, 1
	v_add_co_u32_e64 v1, s[28:29], v2, v1
	v_add_co_u32_e64 v16, s[28:29], -1, v1
; %bb.1745:                             ;   in Loop: Header=BB6_356 Depth=4
	s_or_b64 exec, exec, s[38:39]
	v_add_u32_e32 v1, 0xffffff81, v7
	v_mov_b32_e32 v3, 0xffffff82
	v_cndmask_b32_e32 v1, v1, v3, vcc
	v_lshrrev_b32_e32 v3, 23, v2
	v_add3_u32 v17, v38, v1, v3
	v_add_u32_e32 v7, 6, v17
	v_and_b32_e32 v1, 0xfffff, v16
	v_add_u32_e32 v20, v1, v2
	v_cmp_ne_u32_e32 vcc, 0, v7
                                        ; implicit-def: $vgpr2_vgpr3
                                        ; implicit-def: $vgpr1
	s_and_saveexec_b64 s[28:29], vcc
	s_xor_b64 s[28:29], exec, s[28:29]
; %bb.1746:                             ;   in Loop: Header=BB6_356 Depth=4
	v_cmp_lt_u64_e32 vcc, s[88:89], v[20:21]
	v_add_u32_e32 v1, 7, v17
	v_cndmask_b32_e64 v2, 0, 1, vcc
	v_lshrrev_b64 v[2:3], v2, v[20:21]
	v_cndmask_b32_e32 v1, v7, v1, vcc
; %bb.1747:                             ;   in Loop: Header=BB6_356 Depth=4
	s_andn2_saveexec_b64 s[28:29], s[28:29]
; %bb.1748:                             ;   in Loop: Header=BB6_356 Depth=4
	v_mov_b32_e32 v2, v20
	v_bfe_u32 v1, v20, 23, 1
	v_mov_b32_e32 v3, v21
; %bb.1749:                             ;   in Loop: Header=BB6_356 Depth=4
	s_or_b64 exec, exec, s[28:29]
	v_lshrrev_b64 v[2:3], 20, v[2:3]
	v_cmp_gt_i32_e32 vcc, 16, v1
	v_cndmask_b32_e32 v3, 0, v3, vcc
	v_cndmask_b32_e32 v2, 7, v2, vcc
	v_cmp_eq_u32_e32 vcc, 0, v1
	v_min_i32_e32 v1, 15, v1
	v_cmp_eq_u64_e64 s[28:29], 0, v[2:3]
	v_lshlrev_b32_e32 v1, 3, v1
	v_and_b32_e32 v1, 0xf8, v1
	v_and_or_b32 v1, v2, 7, v1
	s_and_b64 s[28:29], vcc, s[28:29]
	v_cndmask_b32_e64 v1, v1, 0, s[28:29]
	v_or_b32_e32 v42, v1, v0
.LBB6_1750:                             ;   in Loop: Header=BB6_356 Depth=4
	s_or_b64 exec, exec, s[36:37]
                                        ; implicit-def: $vgpr0
.LBB6_1751:                             ;   in Loop: Header=BB6_356 Depth=4
	s_andn2_saveexec_b64 s[28:29], s[34:35]
; %bb.1752:                             ;   in Loop: Header=BB6_356 Depth=4
	v_or_b32_e32 v42, 0x7e, v0
; %bb.1753:                             ;   in Loop: Header=BB6_356 Depth=4
	s_or_b64 exec, exec, s[28:29]
                                        ; implicit-def: $vgpr2
.LBB6_1754:                             ;   in Loop: Header=BB6_356 Depth=4
	s_andn2_saveexec_b64 s[28:29], s[30:31]
; %bb.1755:                             ;   in Loop: Header=BB6_356 Depth=4
	v_or_b32_sdwa v42, v2, s81 dst_sel:DWORD dst_unused:UNUSED_PAD src0_sel:BYTE_3 src1_sel:DWORD
; %bb.1756:                             ;   in Loop: Header=BB6_356 Depth=4
	s_or_b64 exec, exec, s[28:29]
	v_lshrrev_b32_e32 v2, 16, v12
	v_cmp_ne_u16_sdwa vcc, v2, v21 src0_sel:BYTE_0 src1_sel:DWORD
	v_mov_b32_e32 v0, 0
	v_mov_b32_e32 v3, 0
	s_and_saveexec_b64 s[28:29], vcc
	s_cbranch_execz .LBB6_1762
; %bb.1757:                             ;   in Loop: Header=BB6_356 Depth=4
	v_cmp_ne_u16_sdwa vcc, v2, s80 src0_sel:BYTE_0 src1_sel:DWORD
	v_bfrev_b32_e32 v3, 1
	s_and_saveexec_b64 s[30:31], vcc
	s_cbranch_execz .LBB6_1761
; %bb.1758:                             ;   in Loop: Header=BB6_356 Depth=4
	v_bfe_u32 v1, v12, 16, 7
	v_cmp_ne_u32_e32 vcc, s81, v1
	v_mov_b32_e32 v3, 0x7f800001
	s_and_saveexec_b64 s[34:35], vcc
	s_cbranch_execz .LBB6_1760
; %bb.1759:                             ;   in Loop: Header=BB6_356 Depth=4
	v_and_b32_e32 v3, 7, v2
	v_lshrrev_b32_e32 v7, 3, v1
	v_cmp_gt_u32_e32 vcc, 8, v1
	v_ffbh_u32_e32 v1, v3
	v_min_u32_e32 v1, 32, v1
	v_subrev_u32_e32 v16, 28, v1
	v_lshlrev_b64 v[16:17], v16, v[2:3]
	v_sub_u32_e32 v1, 29, v1
	v_and_b32_e32 v16, 7, v16
	v_cndmask_b32_e32 v1, v7, v1, vcc
	v_cndmask_b32_e32 v3, v3, v16, vcc
	v_lshlrev_b32_e32 v2, 24, v2
	v_bfrev_b32_e32 v7, 60
	v_lshlrev_b32_e32 v3, 20, v3
	v_and_b32_e32 v2, 0x80000000, v2
	v_lshl_add_u32 v1, v1, 23, v7
	v_or3_b32 v3, v2, v1, v3
.LBB6_1760:                             ;   in Loop: Header=BB6_356 Depth=4
	s_or_b64 exec, exec, s[34:35]
.LBB6_1761:                             ;   in Loop: Header=BB6_356 Depth=4
	s_or_b64 exec, exec, s[30:31]
.LBB6_1762:                             ;   in Loop: Header=BB6_356 Depth=4
	s_or_b64 exec, exec, s[28:29]
	v_lshrrev_b32_e32 v2, 16, v8
	v_cmp_ne_u16_sdwa vcc, v2, v21 src0_sel:BYTE_0 src1_sel:DWORD
	s_and_saveexec_b64 s[28:29], vcc
	s_cbranch_execz .LBB6_1768
; %bb.1763:                             ;   in Loop: Header=BB6_356 Depth=4
	v_cmp_ne_u16_sdwa vcc, v2, s80 src0_sel:BYTE_0 src1_sel:DWORD
	v_bfrev_b32_e32 v0, 1
	s_and_saveexec_b64 s[30:31], vcc
	s_cbranch_execz .LBB6_1767
; %bb.1764:                             ;   in Loop: Header=BB6_356 Depth=4
	v_bfe_u32 v1, v8, 16, 7
	v_cmp_ne_u32_e32 vcc, s81, v1
	v_mov_b32_e32 v0, 0x7f800001
	s_and_saveexec_b64 s[34:35], vcc
	s_cbranch_execz .LBB6_1766
; %bb.1765:                             ;   in Loop: Header=BB6_356 Depth=4
	v_and_b32_e32 v7, 7, v2
	v_ffbh_u32_e32 v0, v7
	v_min_u32_e32 v17, 32, v0
	v_subrev_u32_e32 v0, 28, v17
	v_lshrrev_b32_e32 v16, 3, v1
	v_cmp_gt_u32_e32 vcc, 8, v1
	v_lshlrev_b64 v[0:1], v0, v[2:3]
	v_sub_u32_e32 v1, 29, v17
	v_and_b32_e32 v0, 7, v0
	v_cndmask_b32_e32 v1, v16, v1, vcc
	v_cndmask_b32_e32 v0, v7, v0, vcc
	v_lshlrev_b32_e32 v2, 8, v8
	v_bfrev_b32_e32 v7, 60
	v_lshlrev_b32_e32 v0, 20, v0
	v_and_b32_e32 v2, 0x80000000, v2
	v_lshl_add_u32 v1, v1, 23, v7
	v_or3_b32 v0, v2, v1, v0
.LBB6_1766:                             ;   in Loop: Header=BB6_356 Depth=4
	s_or_b64 exec, exec, s[34:35]
.LBB6_1767:                             ;   in Loop: Header=BB6_356 Depth=4
	s_or_b64 exec, exec, s[30:31]
.LBB6_1768:                             ;   in Loop: Header=BB6_356 Depth=4
	s_or_b64 exec, exec, s[28:29]
	v_mul_f32_e32 v2, v3, v0
	v_and_b32_e32 v20, 0x7f800000, v2
	v_cmp_ne_u64_e32 vcc, s[62:63], v[20:21]
                                        ; implicit-def: $vgpr46
	s_and_saveexec_b64 s[28:29], vcc
	s_xor_b64 s[30:31], exec, s[28:29]
	s_cbranch_execz .LBB6_1782
; %bb.1769:                             ;   in Loop: Header=BB6_356 Depth=4
	v_and_b32_e32 v20, 0x7fffffff, v2
	v_cmp_gt_u64_e32 vcc, s[78:79], v[20:21]
	v_and_b32_sdwa v0, v2, s80 dst_sel:DWORD dst_unused:UNUSED_PAD src0_sel:BYTE_3 src1_sel:DWORD
                                        ; implicit-def: $vgpr46
	s_and_saveexec_b64 s[28:29], vcc
	s_xor_b64 s[34:35], exec, s[28:29]
	s_cbranch_execz .LBB6_1779
; %bb.1770:                             ;   in Loop: Header=BB6_356 Depth=4
	v_mov_b32_e32 v46, 0
	v_cmp_ne_u32_e32 vcc, 0, v2
	s_and_saveexec_b64 s[36:37], vcc
	s_cbranch_execz .LBB6_1778
; %bb.1771:                             ;   in Loop: Header=BB6_356 Depth=4
	v_bfe_u32 v7, v2, 23, 8
	v_and_b32_e32 v1, 0x7fffff, v2
	v_cmp_gt_u32_e64 s[28:29], s47, v7
	v_sub_u32_e32 v2, 0x79, v7
	v_cmp_eq_u32_e32 vcc, 0, v7
	v_cndmask_b32_e64 v2, 0, v2, s[28:29]
	v_mov_b32_e32 v16, 0x78
	v_or_b32_e32 v3, 0x800000, v1
	v_cndmask_b32_e32 v38, v2, v16, vcc
	v_cndmask_b32_e32 v20, v3, v1, vcc
	v_add_u32_e32 v1, 20, v38
	v_lshlrev_b64 v[1:2], v1, -1
	v_add_u32_e32 v3, 19, v38
	v_lshlrev_b64 v[16:17], v3, 1
	v_bfi_b32 v2, v2, 0, 0
	v_bfi_b32 v1, v1, 0, v20
	v_cmp_eq_u64_e64 s[28:29], v[1:2], v[16:17]
	v_lshrrev_b64 v[2:3], v38, v[20:21]
	v_mov_b32_e32 v17, v3
	v_mov_b32_e32 v16, v2
	s_and_saveexec_b64 s[38:39], s[28:29]
; %bb.1772:                             ;   in Loop: Header=BB6_356 Depth=4
	v_bfe_u32 v1, v2, 20, 1
	v_add_co_u32_e64 v1, s[28:29], v2, v1
	v_add_co_u32_e64 v16, s[28:29], -1, v1
; %bb.1773:                             ;   in Loop: Header=BB6_356 Depth=4
	s_or_b64 exec, exec, s[38:39]
	v_add_u32_e32 v1, 0xffffff81, v7
	v_mov_b32_e32 v3, 0xffffff82
	v_cndmask_b32_e32 v1, v1, v3, vcc
	v_lshrrev_b32_e32 v3, 23, v2
	v_add3_u32 v17, v38, v1, v3
	v_add_u32_e32 v7, 6, v17
	v_and_b32_e32 v1, 0xfffff, v16
	v_add_u32_e32 v20, v1, v2
	v_cmp_ne_u32_e32 vcc, 0, v7
                                        ; implicit-def: $vgpr2_vgpr3
                                        ; implicit-def: $vgpr1
	s_and_saveexec_b64 s[28:29], vcc
	s_xor_b64 s[28:29], exec, s[28:29]
; %bb.1774:                             ;   in Loop: Header=BB6_356 Depth=4
	v_cmp_lt_u64_e32 vcc, s[88:89], v[20:21]
	v_add_u32_e32 v1, 7, v17
	v_cndmask_b32_e64 v2, 0, 1, vcc
	v_lshrrev_b64 v[2:3], v2, v[20:21]
	v_cndmask_b32_e32 v1, v7, v1, vcc
; %bb.1775:                             ;   in Loop: Header=BB6_356 Depth=4
	s_andn2_saveexec_b64 s[28:29], s[28:29]
; %bb.1776:                             ;   in Loop: Header=BB6_356 Depth=4
	v_mov_b32_e32 v2, v20
	v_bfe_u32 v1, v20, 23, 1
	v_mov_b32_e32 v3, v21
; %bb.1777:                             ;   in Loop: Header=BB6_356 Depth=4
	s_or_b64 exec, exec, s[28:29]
	v_lshrrev_b64 v[2:3], 20, v[2:3]
	v_cmp_gt_i32_e32 vcc, 16, v1
	v_cndmask_b32_e32 v3, 0, v3, vcc
	v_cndmask_b32_e32 v2, 7, v2, vcc
	v_cmp_eq_u32_e32 vcc, 0, v1
	v_min_i32_e32 v1, 15, v1
	v_cmp_eq_u64_e64 s[28:29], 0, v[2:3]
	v_lshlrev_b32_e32 v1, 3, v1
	v_and_b32_e32 v1, 0xf8, v1
	v_and_or_b32 v1, v2, 7, v1
	s_and_b64 s[28:29], vcc, s[28:29]
	v_cndmask_b32_e64 v1, v1, 0, s[28:29]
	v_or_b32_e32 v46, v1, v0
.LBB6_1778:                             ;   in Loop: Header=BB6_356 Depth=4
	s_or_b64 exec, exec, s[36:37]
                                        ; implicit-def: $vgpr0
.LBB6_1779:                             ;   in Loop: Header=BB6_356 Depth=4
	s_andn2_saveexec_b64 s[28:29], s[34:35]
; %bb.1780:                             ;   in Loop: Header=BB6_356 Depth=4
	v_or_b32_e32 v46, 0x7e, v0
; %bb.1781:                             ;   in Loop: Header=BB6_356 Depth=4
	s_or_b64 exec, exec, s[28:29]
                                        ; implicit-def: $vgpr2
.LBB6_1782:                             ;   in Loop: Header=BB6_356 Depth=4
	s_andn2_saveexec_b64 s[28:29], s[30:31]
; %bb.1783:                             ;   in Loop: Header=BB6_356 Depth=4
	v_or_b32_sdwa v46, v2, s81 dst_sel:DWORD dst_unused:UNUSED_PAD src0_sel:BYTE_3 src1_sel:DWORD
; %bb.1784:                             ;   in Loop: Header=BB6_356 Depth=4
	s_or_b64 exec, exec, s[28:29]
	v_cmp_lt_u32_e32 vcc, s57, v12
	v_mov_b32_e32 v0, 0
	v_mov_b32_e32 v3, 0
	s_and_saveexec_b64 s[28:29], vcc
	s_cbranch_execz .LBB6_1790
; %bb.1785:                             ;   in Loop: Header=BB6_356 Depth=4
	v_lshrrev_b32_e32 v2, 24, v12
	v_cmp_ne_u32_e32 vcc, s80, v2
	v_bfrev_b32_e32 v3, 1
	s_and_saveexec_b64 s[30:31], vcc
	s_cbranch_execz .LBB6_1789
; %bb.1786:                             ;   in Loop: Header=BB6_356 Depth=4
	v_bfe_u32 v1, v12, 24, 7
	v_cmp_ne_u32_e32 vcc, s81, v1
	v_mov_b32_e32 v3, 0x7f800001
	s_and_saveexec_b64 s[34:35], vcc
	s_cbranch_execz .LBB6_1788
; %bb.1787:                             ;   in Loop: Header=BB6_356 Depth=4
	v_and_b32_e32 v3, 7, v2
	v_lshrrev_b32_e32 v7, 3, v1
	v_cmp_gt_u32_e32 vcc, 8, v1
	v_ffbh_u32_e32 v1, v3
	v_min_u32_e32 v1, 32, v1
	v_subrev_u32_e32 v16, 28, v1
	v_lshlrev_b64 v[16:17], v16, v[2:3]
	v_sub_u32_e32 v1, 29, v1
	v_and_b32_e32 v16, 7, v16
	v_cndmask_b32_e32 v1, v7, v1, vcc
	v_cndmask_b32_e32 v3, v3, v16, vcc
	v_lshlrev_b32_e32 v2, 24, v2
	v_bfrev_b32_e32 v7, 60
	v_lshlrev_b32_e32 v3, 20, v3
	v_and_b32_e32 v2, 0x80000000, v2
	v_lshl_add_u32 v1, v1, 23, v7
	v_or3_b32 v3, v2, v1, v3
.LBB6_1788:                             ;   in Loop: Header=BB6_356 Depth=4
	s_or_b64 exec, exec, s[34:35]
.LBB6_1789:                             ;   in Loop: Header=BB6_356 Depth=4
	s_or_b64 exec, exec, s[30:31]
.LBB6_1790:                             ;   in Loop: Header=BB6_356 Depth=4
	s_or_b64 exec, exec, s[28:29]
	v_cmp_lt_u32_e32 vcc, s57, v8
	s_and_saveexec_b64 s[28:29], vcc
	s_cbranch_execz .LBB6_1796
; %bb.1791:                             ;   in Loop: Header=BB6_356 Depth=4
	v_lshrrev_b32_e32 v2, 24, v8
	v_cmp_ne_u32_e32 vcc, s80, v2
	v_bfrev_b32_e32 v0, 1
	s_and_saveexec_b64 s[30:31], vcc
	s_cbranch_execz .LBB6_1795
; %bb.1792:                             ;   in Loop: Header=BB6_356 Depth=4
	v_bfe_u32 v1, v8, 24, 7
	v_cmp_ne_u32_e32 vcc, s81, v1
	v_mov_b32_e32 v0, 0x7f800001
	s_and_saveexec_b64 s[34:35], vcc
	s_cbranch_execz .LBB6_1794
; %bb.1793:                             ;   in Loop: Header=BB6_356 Depth=4
	v_and_b32_e32 v7, 7, v2
	v_ffbh_u32_e32 v0, v7
	v_min_u32_e32 v17, 32, v0
	v_subrev_u32_e32 v0, 28, v17
	v_lshrrev_b32_e32 v16, 3, v1
	v_cmp_gt_u32_e32 vcc, 8, v1
	v_lshlrev_b64 v[0:1], v0, v[2:3]
	v_sub_u32_e32 v1, 29, v17
	v_and_b32_e32 v0, 7, v0
	v_cndmask_b32_e32 v1, v16, v1, vcc
	v_cndmask_b32_e32 v0, v7, v0, vcc
	v_lshlrev_b32_e32 v2, 24, v2
	v_bfrev_b32_e32 v7, 60
	v_lshlrev_b32_e32 v0, 20, v0
	v_and_b32_e32 v2, 0x80000000, v2
	v_lshl_add_u32 v1, v1, 23, v7
	v_or3_b32 v0, v2, v1, v0
.LBB6_1794:                             ;   in Loop: Header=BB6_356 Depth=4
	s_or_b64 exec, exec, s[34:35]
.LBB6_1795:                             ;   in Loop: Header=BB6_356 Depth=4
	s_or_b64 exec, exec, s[30:31]
.LBB6_1796:                             ;   in Loop: Header=BB6_356 Depth=4
	s_or_b64 exec, exec, s[28:29]
	v_mul_f32_e32 v2, v3, v0
	v_and_b32_e32 v20, 0x7f800000, v2
	v_cmp_ne_u64_e32 vcc, s[62:63], v[20:21]
                                        ; implicit-def: $vgpr47
	s_and_saveexec_b64 s[28:29], vcc
	s_xor_b64 s[30:31], exec, s[28:29]
	s_cbranch_execz .LBB6_1810
; %bb.1797:                             ;   in Loop: Header=BB6_356 Depth=4
	v_and_b32_e32 v20, 0x7fffffff, v2
	v_cmp_gt_u64_e32 vcc, s[78:79], v[20:21]
	v_and_b32_sdwa v0, v2, s80 dst_sel:DWORD dst_unused:UNUSED_PAD src0_sel:BYTE_3 src1_sel:DWORD
                                        ; implicit-def: $vgpr47
	s_and_saveexec_b64 s[28:29], vcc
	s_xor_b64 s[34:35], exec, s[28:29]
	s_cbranch_execz .LBB6_1807
; %bb.1798:                             ;   in Loop: Header=BB6_356 Depth=4
	v_mov_b32_e32 v47, 0
	v_cmp_ne_u32_e32 vcc, 0, v2
	s_and_saveexec_b64 s[36:37], vcc
	s_cbranch_execz .LBB6_1806
; %bb.1799:                             ;   in Loop: Header=BB6_356 Depth=4
	v_bfe_u32 v7, v2, 23, 8
	v_and_b32_e32 v1, 0x7fffff, v2
	v_cmp_gt_u32_e64 s[28:29], s47, v7
	v_sub_u32_e32 v2, 0x79, v7
	v_cmp_eq_u32_e32 vcc, 0, v7
	v_cndmask_b32_e64 v2, 0, v2, s[28:29]
	v_mov_b32_e32 v16, 0x78
	v_or_b32_e32 v3, 0x800000, v1
	v_cndmask_b32_e32 v38, v2, v16, vcc
	v_cndmask_b32_e32 v20, v3, v1, vcc
	v_add_u32_e32 v1, 20, v38
	v_lshlrev_b64 v[1:2], v1, -1
	v_add_u32_e32 v3, 19, v38
	v_lshlrev_b64 v[16:17], v3, 1
	v_bfi_b32 v2, v2, 0, 0
	v_bfi_b32 v1, v1, 0, v20
	v_cmp_eq_u64_e64 s[28:29], v[1:2], v[16:17]
	v_lshrrev_b64 v[2:3], v38, v[20:21]
	v_mov_b32_e32 v17, v3
	v_mov_b32_e32 v16, v2
	s_and_saveexec_b64 s[38:39], s[28:29]
; %bb.1800:                             ;   in Loop: Header=BB6_356 Depth=4
	v_bfe_u32 v1, v2, 20, 1
	v_add_co_u32_e64 v1, s[28:29], v2, v1
	v_add_co_u32_e64 v16, s[28:29], -1, v1
; %bb.1801:                             ;   in Loop: Header=BB6_356 Depth=4
	s_or_b64 exec, exec, s[38:39]
	v_add_u32_e32 v1, 0xffffff81, v7
	v_mov_b32_e32 v3, 0xffffff82
	v_cndmask_b32_e32 v1, v1, v3, vcc
	v_lshrrev_b32_e32 v3, 23, v2
	v_add3_u32 v17, v38, v1, v3
	v_add_u32_e32 v7, 6, v17
	v_and_b32_e32 v1, 0xfffff, v16
	v_add_u32_e32 v20, v1, v2
	v_cmp_ne_u32_e32 vcc, 0, v7
                                        ; implicit-def: $vgpr2_vgpr3
                                        ; implicit-def: $vgpr1
	s_and_saveexec_b64 s[28:29], vcc
	s_xor_b64 s[28:29], exec, s[28:29]
; %bb.1802:                             ;   in Loop: Header=BB6_356 Depth=4
	v_cmp_lt_u64_e32 vcc, s[88:89], v[20:21]
	v_add_u32_e32 v1, 7, v17
	v_cndmask_b32_e64 v2, 0, 1, vcc
	v_lshrrev_b64 v[2:3], v2, v[20:21]
	v_cndmask_b32_e32 v1, v7, v1, vcc
; %bb.1803:                             ;   in Loop: Header=BB6_356 Depth=4
	s_andn2_saveexec_b64 s[28:29], s[28:29]
; %bb.1804:                             ;   in Loop: Header=BB6_356 Depth=4
	v_mov_b32_e32 v2, v20
	v_bfe_u32 v1, v20, 23, 1
	v_mov_b32_e32 v3, v21
; %bb.1805:                             ;   in Loop: Header=BB6_356 Depth=4
	s_or_b64 exec, exec, s[28:29]
	v_lshrrev_b64 v[2:3], 20, v[2:3]
	v_cmp_gt_i32_e32 vcc, 16, v1
	v_cndmask_b32_e32 v3, 0, v3, vcc
	v_cndmask_b32_e32 v2, 7, v2, vcc
	v_cmp_eq_u32_e32 vcc, 0, v1
	v_min_i32_e32 v1, 15, v1
	v_cmp_eq_u64_e64 s[28:29], 0, v[2:3]
	v_lshlrev_b32_e32 v1, 3, v1
	v_and_b32_e32 v1, 0xf8, v1
	v_and_or_b32 v1, v2, 7, v1
	s_and_b64 s[28:29], vcc, s[28:29]
	v_cndmask_b32_e64 v1, v1, 0, s[28:29]
	v_or_b32_e32 v47, v1, v0
.LBB6_1806:                             ;   in Loop: Header=BB6_356 Depth=4
	s_or_b64 exec, exec, s[36:37]
                                        ; implicit-def: $vgpr0
.LBB6_1807:                             ;   in Loop: Header=BB6_356 Depth=4
	s_andn2_saveexec_b64 s[28:29], s[34:35]
; %bb.1808:                             ;   in Loop: Header=BB6_356 Depth=4
	v_or_b32_e32 v47, 0x7e, v0
; %bb.1809:                             ;   in Loop: Header=BB6_356 Depth=4
	s_or_b64 exec, exec, s[28:29]
                                        ; implicit-def: $vgpr2
.LBB6_1810:                             ;   in Loop: Header=BB6_356 Depth=4
	s_andn2_saveexec_b64 s[28:29], s[30:31]
; %bb.1811:                             ;   in Loop: Header=BB6_356 Depth=4
	v_or_b32_sdwa v47, v2, s81 dst_sel:DWORD dst_unused:UNUSED_PAD src0_sel:BYTE_3 src1_sel:DWORD
; %bb.1812:                             ;   in Loop: Header=BB6_356 Depth=4
	s_or_b64 exec, exec, s[28:29]
	v_mov_b32_e32 v20, v13
	v_cmp_ne_u16_sdwa vcc, v13, v21 src0_sel:BYTE_0 src1_sel:DWORD
	v_mov_b32_e32 v2, 0
	v_mov_b32_e32 v0, 0
	s_and_saveexec_b64 s[28:29], vcc
	s_cbranch_execz .LBB6_1818
; %bb.1813:                             ;   in Loop: Header=BB6_356 Depth=4
	v_cmp_ne_u16_sdwa vcc, v13, s80 src0_sel:BYTE_0 src1_sel:DWORD
	v_bfrev_b32_e32 v0, 1
	s_and_saveexec_b64 s[30:31], vcc
	s_cbranch_execz .LBB6_1817
; %bb.1814:                             ;   in Loop: Header=BB6_356 Depth=4
	v_and_b32_e32 v1, 0x7f, v13
	v_cmp_ne_u32_e32 vcc, s81, v1
	v_mov_b32_e32 v0, 0x7f800001
	s_and_saveexec_b64 s[34:35], vcc
	s_cbranch_execz .LBB6_1816
; %bb.1815:                             ;   in Loop: Header=BB6_356 Depth=4
	v_and_b32_e32 v0, 7, v13
	v_ffbh_u32_e32 v0, v0
	v_min_u32_e32 v0, 32, v0
	v_lshrrev_b32_e32 v3, 3, v1
	v_cmp_gt_u32_e32 vcc, 8, v1
	v_subrev_u32_e32 v1, 28, v0
	v_sub_u32_e32 v0, 29, v0
	v_cndmask_b32_e32 v3, v3, v0, vcc
	v_cndmask_b32_e32 v0, 0, v1, vcc
	v_lshlrev_b64 v[0:1], v0, v[20:21]
	v_lshlrev_b32_e32 v1, 24, v20
	v_lshlrev_b32_e32 v0, 20, v0
	v_bfrev_b32_e32 v7, 60
	v_and_b32_e32 v0, 0x700000, v0
	v_and_b32_e32 v1, 0x80000000, v1
	v_lshl_add_u32 v3, v3, 23, v7
	v_or3_b32 v0, v1, v3, v0
.LBB6_1816:                             ;   in Loop: Header=BB6_356 Depth=4
	s_or_b64 exec, exec, s[34:35]
.LBB6_1817:                             ;   in Loop: Header=BB6_356 Depth=4
	s_or_b64 exec, exec, s[30:31]
.LBB6_1818:                             ;   in Loop: Header=BB6_356 Depth=4
	s_or_b64 exec, exec, s[28:29]
	v_cmp_ne_u16_sdwa vcc, v9, v21 src0_sel:BYTE_0 src1_sel:DWORD
	s_and_saveexec_b64 s[28:29], vcc
	s_cbranch_execz .LBB6_1824
; %bb.1819:                             ;   in Loop: Header=BB6_356 Depth=4
	v_cmp_ne_u16_sdwa vcc, v9, s80 src0_sel:BYTE_0 src1_sel:DWORD
	v_bfrev_b32_e32 v2, 1
	s_and_saveexec_b64 s[30:31], vcc
	s_cbranch_execz .LBB6_1823
; %bb.1820:                             ;   in Loop: Header=BB6_356 Depth=4
	v_and_b32_e32 v1, 0x7f, v9
	v_cmp_ne_u32_e32 vcc, s81, v1
	v_mov_b32_e32 v2, 0x7f800001
	s_and_saveexec_b64 s[34:35], vcc
	s_cbranch_execz .LBB6_1822
; %bb.1821:                             ;   in Loop: Header=BB6_356 Depth=4
	v_and_b32_e32 v7, 7, v9
	v_lshrrev_b32_e32 v16, 3, v1
	v_cmp_gt_u32_e32 vcc, 8, v1
	v_ffbh_u32_e32 v1, v7
	v_min_u32_e32 v1, 32, v1
	v_subrev_u32_e32 v7, 28, v1
	v_mov_b32_e32 v2, v9
	v_mov_b32_e32 v3, v21
	v_sub_u32_e32 v1, 29, v1
	v_cndmask_b32_e32 v7, 0, v7, vcc
	v_cndmask_b32_e32 v1, v16, v1, vcc
	v_lshlrev_b64 v[16:17], v7, v[2:3]
	v_lshlrev_b32_e32 v2, 24, v2
	v_lshlrev_b32_e32 v3, 20, v16
	v_bfrev_b32_e32 v7, 60
	v_and_b32_e32 v3, 0x700000, v3
	v_and_b32_e32 v2, 0x80000000, v2
	v_lshl_add_u32 v1, v1, 23, v7
	v_or3_b32 v2, v2, v1, v3
.LBB6_1822:                             ;   in Loop: Header=BB6_356 Depth=4
	s_or_b64 exec, exec, s[34:35]
.LBB6_1823:                             ;   in Loop: Header=BB6_356 Depth=4
	s_or_b64 exec, exec, s[30:31]
.LBB6_1824:                             ;   in Loop: Header=BB6_356 Depth=4
	s_or_b64 exec, exec, s[28:29]
	v_mul_f32_e32 v2, v0, v2
	v_and_b32_e32 v0, 0x7f800000, v2
	v_mov_b32_e32 v1, v21
	v_cmp_ne_u64_e32 vcc, s[62:63], v[0:1]
                                        ; implicit-def: $vgpr60
	s_and_saveexec_b64 s[28:29], vcc
	s_xor_b64 s[30:31], exec, s[28:29]
	s_cbranch_execz .LBB6_1838
; %bb.1825:                             ;   in Loop: Header=BB6_356 Depth=4
	v_and_b32_e32 v0, 0x7fffffff, v2
	v_mov_b32_e32 v1, v21
	v_cmp_gt_u64_e32 vcc, s[78:79], v[0:1]
	v_and_b32_sdwa v0, v2, s80 dst_sel:DWORD dst_unused:UNUSED_PAD src0_sel:BYTE_3 src1_sel:DWORD
                                        ; implicit-def: $vgpr60
	s_and_saveexec_b64 s[28:29], vcc
	s_xor_b64 s[34:35], exec, s[28:29]
	s_cbranch_execz .LBB6_1835
; %bb.1826:                             ;   in Loop: Header=BB6_356 Depth=4
	v_mov_b32_e32 v60, 0
	v_cmp_ne_u32_e32 vcc, 0, v2
	s_and_saveexec_b64 s[36:37], vcc
	s_cbranch_execz .LBB6_1834
; %bb.1827:                             ;   in Loop: Header=BB6_356 Depth=4
	v_bfe_u32 v7, v2, 23, 8
	v_and_b32_e32 v1, 0x7fffff, v2
	v_cmp_gt_u32_e64 s[28:29], s47, v7
	v_sub_u32_e32 v2, 0x79, v7
	v_cmp_eq_u32_e32 vcc, 0, v7
	v_cndmask_b32_e64 v2, 0, v2, s[28:29]
	v_mov_b32_e32 v16, 0x78
	v_or_b32_e32 v3, 0x800000, v1
	v_cndmask_b32_e32 v38, v2, v16, vcc
	v_cndmask_b32_e32 v1, v3, v1, vcc
	v_add_u32_e32 v3, 20, v38
	v_mov_b32_e32 v2, v21
	v_lshlrev_b64 v[16:17], v3, -1
	v_add_u32_e32 v3, 19, v38
	v_lshlrev_b64 v[24:25], v3, 1
	v_lshrrev_b64 v[2:3], v38, v[1:2]
	v_bfi_b32 v17, v17, 0, 0
	v_bfi_b32 v16, v16, 0, v1
	v_cmp_eq_u64_e64 s[28:29], v[16:17], v[24:25]
	v_mov_b32_e32 v17, v3
	v_mov_b32_e32 v16, v2
	s_and_saveexec_b64 s[38:39], s[28:29]
; %bb.1828:                             ;   in Loop: Header=BB6_356 Depth=4
	v_bfe_u32 v1, v2, 20, 1
	v_add_co_u32_e64 v1, s[28:29], v2, v1
	v_add_co_u32_e64 v16, s[28:29], -1, v1
; %bb.1829:                             ;   in Loop: Header=BB6_356 Depth=4
	s_or_b64 exec, exec, s[38:39]
	v_add_u32_e32 v1, 0xffffff81, v7
	v_mov_b32_e32 v3, 0xffffff82
	v_cndmask_b32_e32 v1, v1, v3, vcc
	v_lshrrev_b32_e32 v3, 23, v2
	v_add3_u32 v17, v38, v1, v3
	v_add_u32_e32 v7, 6, v17
	v_and_b32_e32 v1, 0xfffff, v16
	v_add_u32_e32 v2, v1, v2
	v_mov_b32_e32 v3, v21
	v_cmp_ne_u32_e32 vcc, 0, v7
                                        ; implicit-def: $vgpr1
	s_and_saveexec_b64 s[28:29], vcc
	s_xor_b64 s[28:29], exec, s[28:29]
; %bb.1830:                             ;   in Loop: Header=BB6_356 Depth=4
	v_cmp_lt_u64_e32 vcc, s[88:89], v[2:3]
	v_add_u32_e32 v1, 7, v17
	v_cndmask_b32_e32 v1, v7, v1, vcc
	v_cndmask_b32_e64 v7, 0, 1, vcc
	v_lshrrev_b64 v[2:3], v7, v[2:3]
; %bb.1831:                             ;   in Loop: Header=BB6_356 Depth=4
	s_andn2_saveexec_b64 s[28:29], s[28:29]
; %bb.1832:                             ;   in Loop: Header=BB6_356 Depth=4
	v_bfe_u32 v1, v2, 23, 1
; %bb.1833:                             ;   in Loop: Header=BB6_356 Depth=4
	s_or_b64 exec, exec, s[28:29]
	v_lshrrev_b64 v[2:3], 20, v[2:3]
	v_cmp_gt_i32_e32 vcc, 16, v1
	v_cndmask_b32_e32 v3, 0, v3, vcc
	v_cndmask_b32_e32 v2, 7, v2, vcc
	v_cmp_eq_u32_e32 vcc, 0, v1
	v_min_i32_e32 v1, 15, v1
	v_cmp_eq_u64_e64 s[28:29], 0, v[2:3]
	v_lshlrev_b32_e32 v1, 3, v1
	v_and_b32_e32 v1, 0xf8, v1
	v_and_or_b32 v1, v2, 7, v1
	s_and_b64 s[28:29], vcc, s[28:29]
	v_cndmask_b32_e64 v1, v1, 0, s[28:29]
	v_or_b32_e32 v60, v1, v0
.LBB6_1834:                             ;   in Loop: Header=BB6_356 Depth=4
	s_or_b64 exec, exec, s[36:37]
                                        ; implicit-def: $vgpr0
.LBB6_1835:                             ;   in Loop: Header=BB6_356 Depth=4
	s_andn2_saveexec_b64 s[28:29], s[34:35]
; %bb.1836:                             ;   in Loop: Header=BB6_356 Depth=4
	v_or_b32_e32 v60, 0x7e, v0
; %bb.1837:                             ;   in Loop: Header=BB6_356 Depth=4
	s_or_b64 exec, exec, s[28:29]
                                        ; implicit-def: $vgpr2
.LBB6_1838:                             ;   in Loop: Header=BB6_356 Depth=4
	s_andn2_saveexec_b64 s[28:29], s[30:31]
; %bb.1839:                             ;   in Loop: Header=BB6_356 Depth=4
	v_or_b32_sdwa v60, v2, s81 dst_sel:DWORD dst_unused:UNUSED_PAD src0_sel:BYTE_3 src1_sel:DWORD
; %bb.1840:                             ;   in Loop: Header=BB6_356 Depth=4
	s_or_b64 exec, exec, s[28:29]
	v_lshrrev_b16_e32 v2, 8, v20
	v_cmp_ne_u16_e32 vcc, 0, v2
	v_mov_b32_e32 v0, 0
	v_mov_b32_e32 v3, 0
	s_and_saveexec_b64 s[28:29], vcc
	s_cbranch_execz .LBB6_1846
; %bb.1841:                             ;   in Loop: Header=BB6_356 Depth=4
	v_cmp_ne_u16_e32 vcc, s80, v2
	v_bfrev_b32_e32 v3, 1
	s_and_saveexec_b64 s[30:31], vcc
	s_cbranch_execz .LBB6_1845
; %bb.1842:                             ;   in Loop: Header=BB6_356 Depth=4
	v_and_b32_e32 v1, 0x7f, v2
	v_cmp_ne_u32_e32 vcc, s81, v1
	v_mov_b32_e32 v3, 0x7f800001
	s_and_saveexec_b64 s[34:35], vcc
	s_cbranch_execz .LBB6_1844
; %bb.1843:                             ;   in Loop: Header=BB6_356 Depth=4
	v_and_b32_e32 v3, 7, v2
	v_lshrrev_b32_e32 v7, 3, v1
	v_cmp_gt_u32_e32 vcc, 8, v1
	v_ffbh_u32_e32 v1, v3
	v_min_u32_e32 v16, 32, v1
	v_subrev_u32_e32 v1, 28, v16
	v_lshlrev_b64 v[1:2], v1, v[2:3]
	v_sub_u32_e32 v2, 29, v16
	v_and_b32_e32 v1, 7, v1
	v_cndmask_b32_e32 v2, v7, v2, vcc
	v_cndmask_b32_e32 v1, v3, v1, vcc
	v_lshlrev_b32_e32 v3, 16, v20
	v_bfrev_b32_e32 v7, 60
	v_lshlrev_b32_e32 v1, 20, v1
	v_and_b32_e32 v3, 0x80000000, v3
	v_lshl_add_u32 v2, v2, 23, v7
	v_or3_b32 v3, v3, v2, v1
.LBB6_1844:                             ;   in Loop: Header=BB6_356 Depth=4
	s_or_b64 exec, exec, s[34:35]
.LBB6_1845:                             ;   in Loop: Header=BB6_356 Depth=4
	s_or_b64 exec, exec, s[30:31]
.LBB6_1846:                             ;   in Loop: Header=BB6_356 Depth=4
	s_or_b64 exec, exec, s[28:29]
	v_lshrrev_b16_e32 v2, 8, v9
	v_cmp_ne_u16_e32 vcc, 0, v2
	s_and_saveexec_b64 s[28:29], vcc
	s_cbranch_execz .LBB6_1852
; %bb.1847:                             ;   in Loop: Header=BB6_356 Depth=4
	v_cmp_ne_u16_e32 vcc, s80, v2
	v_bfrev_b32_e32 v0, 1
	s_and_saveexec_b64 s[30:31], vcc
	s_cbranch_execz .LBB6_1851
; %bb.1848:                             ;   in Loop: Header=BB6_356 Depth=4
	v_and_b32_e32 v1, 0x7f, v2
	v_cmp_ne_u32_e32 vcc, s81, v1
	v_mov_b32_e32 v0, 0x7f800001
	s_and_saveexec_b64 s[34:35], vcc
	s_cbranch_execz .LBB6_1850
; %bb.1849:                             ;   in Loop: Header=BB6_356 Depth=4
	v_and_b32_e32 v7, 7, v2
	v_ffbh_u32_e32 v0, v7
	v_min_u32_e32 v17, 32, v0
	v_subrev_u32_e32 v0, 28, v17
	v_lshrrev_b32_e32 v16, 3, v1
	v_cmp_gt_u32_e32 vcc, 8, v1
	v_lshlrev_b64 v[0:1], v0, v[2:3]
	v_sub_u32_e32 v1, 29, v17
	v_and_b32_e32 v0, 7, v0
	v_cndmask_b32_e32 v1, v16, v1, vcc
	v_cndmask_b32_e32 v0, v7, v0, vcc
	v_lshlrev_b32_e32 v2, 16, v9
	v_bfrev_b32_e32 v7, 60
	v_lshlrev_b32_e32 v0, 20, v0
	v_and_b32_e32 v2, 0x80000000, v2
	v_lshl_add_u32 v1, v1, 23, v7
	v_or3_b32 v0, v2, v1, v0
.LBB6_1850:                             ;   in Loop: Header=BB6_356 Depth=4
	s_or_b64 exec, exec, s[34:35]
.LBB6_1851:                             ;   in Loop: Header=BB6_356 Depth=4
	s_or_b64 exec, exec, s[30:31]
.LBB6_1852:                             ;   in Loop: Header=BB6_356 Depth=4
	s_or_b64 exec, exec, s[28:29]
	v_mul_f32_e32 v2, v3, v0
	v_and_b32_e32 v20, 0x7f800000, v2
	v_cmp_ne_u64_e32 vcc, s[62:63], v[20:21]
                                        ; implicit-def: $vgpr61
	s_and_saveexec_b64 s[28:29], vcc
	s_xor_b64 s[30:31], exec, s[28:29]
	s_cbranch_execz .LBB6_1866
; %bb.1853:                             ;   in Loop: Header=BB6_356 Depth=4
	v_and_b32_e32 v20, 0x7fffffff, v2
	v_cmp_gt_u64_e32 vcc, s[78:79], v[20:21]
	v_and_b32_sdwa v0, v2, s80 dst_sel:DWORD dst_unused:UNUSED_PAD src0_sel:BYTE_3 src1_sel:DWORD
                                        ; implicit-def: $vgpr61
	s_and_saveexec_b64 s[28:29], vcc
	s_xor_b64 s[34:35], exec, s[28:29]
	s_cbranch_execz .LBB6_1863
; %bb.1854:                             ;   in Loop: Header=BB6_356 Depth=4
	v_mov_b32_e32 v61, 0
	v_cmp_ne_u32_e32 vcc, 0, v2
	s_and_saveexec_b64 s[36:37], vcc
	s_cbranch_execz .LBB6_1862
; %bb.1855:                             ;   in Loop: Header=BB6_356 Depth=4
	v_bfe_u32 v7, v2, 23, 8
	v_and_b32_e32 v1, 0x7fffff, v2
	v_cmp_gt_u32_e64 s[28:29], s47, v7
	v_sub_u32_e32 v2, 0x79, v7
	v_cmp_eq_u32_e32 vcc, 0, v7
	v_cndmask_b32_e64 v2, 0, v2, s[28:29]
	v_mov_b32_e32 v16, 0x78
	v_or_b32_e32 v3, 0x800000, v1
	v_cndmask_b32_e32 v38, v2, v16, vcc
	v_cndmask_b32_e32 v20, v3, v1, vcc
	v_add_u32_e32 v1, 20, v38
	v_lshlrev_b64 v[1:2], v1, -1
	v_add_u32_e32 v3, 19, v38
	v_lshlrev_b64 v[16:17], v3, 1
	v_bfi_b32 v2, v2, 0, 0
	v_bfi_b32 v1, v1, 0, v20
	v_cmp_eq_u64_e64 s[28:29], v[1:2], v[16:17]
	v_lshrrev_b64 v[2:3], v38, v[20:21]
	v_mov_b32_e32 v17, v3
	v_mov_b32_e32 v16, v2
	s_and_saveexec_b64 s[38:39], s[28:29]
; %bb.1856:                             ;   in Loop: Header=BB6_356 Depth=4
	v_bfe_u32 v1, v2, 20, 1
	v_add_co_u32_e64 v1, s[28:29], v2, v1
	v_add_co_u32_e64 v16, s[28:29], -1, v1
; %bb.1857:                             ;   in Loop: Header=BB6_356 Depth=4
	s_or_b64 exec, exec, s[38:39]
	v_add_u32_e32 v1, 0xffffff81, v7
	v_mov_b32_e32 v3, 0xffffff82
	v_cndmask_b32_e32 v1, v1, v3, vcc
	v_lshrrev_b32_e32 v3, 23, v2
	v_add3_u32 v17, v38, v1, v3
	v_add_u32_e32 v7, 6, v17
	v_and_b32_e32 v1, 0xfffff, v16
	v_add_u32_e32 v20, v1, v2
	v_cmp_ne_u32_e32 vcc, 0, v7
                                        ; implicit-def: $vgpr2_vgpr3
                                        ; implicit-def: $vgpr1
	s_and_saveexec_b64 s[28:29], vcc
	s_xor_b64 s[28:29], exec, s[28:29]
; %bb.1858:                             ;   in Loop: Header=BB6_356 Depth=4
	v_cmp_lt_u64_e32 vcc, s[88:89], v[20:21]
	v_add_u32_e32 v1, 7, v17
	v_cndmask_b32_e64 v2, 0, 1, vcc
	v_lshrrev_b64 v[2:3], v2, v[20:21]
	v_cndmask_b32_e32 v1, v7, v1, vcc
; %bb.1859:                             ;   in Loop: Header=BB6_356 Depth=4
	s_andn2_saveexec_b64 s[28:29], s[28:29]
; %bb.1860:                             ;   in Loop: Header=BB6_356 Depth=4
	v_mov_b32_e32 v2, v20
	v_bfe_u32 v1, v20, 23, 1
	v_mov_b32_e32 v3, v21
; %bb.1861:                             ;   in Loop: Header=BB6_356 Depth=4
	s_or_b64 exec, exec, s[28:29]
	v_lshrrev_b64 v[2:3], 20, v[2:3]
	v_cmp_gt_i32_e32 vcc, 16, v1
	v_cndmask_b32_e32 v3, 0, v3, vcc
	v_cndmask_b32_e32 v2, 7, v2, vcc
	v_cmp_eq_u32_e32 vcc, 0, v1
	v_min_i32_e32 v1, 15, v1
	v_cmp_eq_u64_e64 s[28:29], 0, v[2:3]
	v_lshlrev_b32_e32 v1, 3, v1
	v_and_b32_e32 v1, 0xf8, v1
	v_and_or_b32 v1, v2, 7, v1
	s_and_b64 s[28:29], vcc, s[28:29]
	v_cndmask_b32_e64 v1, v1, 0, s[28:29]
	v_or_b32_e32 v61, v1, v0
.LBB6_1862:                             ;   in Loop: Header=BB6_356 Depth=4
	s_or_b64 exec, exec, s[36:37]
                                        ; implicit-def: $vgpr0
.LBB6_1863:                             ;   in Loop: Header=BB6_356 Depth=4
	s_andn2_saveexec_b64 s[28:29], s[34:35]
; %bb.1864:                             ;   in Loop: Header=BB6_356 Depth=4
	v_or_b32_e32 v61, 0x7e, v0
; %bb.1865:                             ;   in Loop: Header=BB6_356 Depth=4
	s_or_b64 exec, exec, s[28:29]
                                        ; implicit-def: $vgpr2
.LBB6_1866:                             ;   in Loop: Header=BB6_356 Depth=4
	s_andn2_saveexec_b64 s[28:29], s[30:31]
; %bb.1867:                             ;   in Loop: Header=BB6_356 Depth=4
	v_or_b32_sdwa v61, v2, s81 dst_sel:DWORD dst_unused:UNUSED_PAD src0_sel:BYTE_3 src1_sel:DWORD
; %bb.1868:                             ;   in Loop: Header=BB6_356 Depth=4
	s_or_b64 exec, exec, s[28:29]
	v_lshrrev_b32_e32 v2, 16, v13
	v_cmp_ne_u16_sdwa vcc, v2, v21 src0_sel:BYTE_0 src1_sel:DWORD
	v_mov_b32_e32 v0, 0
	v_mov_b32_e32 v3, 0
	s_and_saveexec_b64 s[28:29], vcc
	s_cbranch_execz .LBB6_1874
; %bb.1869:                             ;   in Loop: Header=BB6_356 Depth=4
	v_cmp_ne_u16_sdwa vcc, v2, s80 src0_sel:BYTE_0 src1_sel:DWORD
	v_bfrev_b32_e32 v3, 1
	s_and_saveexec_b64 s[30:31], vcc
	s_cbranch_execz .LBB6_1873
; %bb.1870:                             ;   in Loop: Header=BB6_356 Depth=4
	v_bfe_u32 v1, v13, 16, 7
	v_cmp_ne_u32_e32 vcc, s81, v1
	v_mov_b32_e32 v3, 0x7f800001
	s_and_saveexec_b64 s[34:35], vcc
	s_cbranch_execz .LBB6_1872
; %bb.1871:                             ;   in Loop: Header=BB6_356 Depth=4
	v_and_b32_e32 v3, 7, v2
	v_lshrrev_b32_e32 v7, 3, v1
	v_cmp_gt_u32_e32 vcc, 8, v1
	v_ffbh_u32_e32 v1, v3
	v_min_u32_e32 v1, 32, v1
	v_subrev_u32_e32 v16, 28, v1
	v_lshlrev_b64 v[16:17], v16, v[2:3]
	v_sub_u32_e32 v1, 29, v1
	v_and_b32_e32 v16, 7, v16
	v_cndmask_b32_e32 v1, v7, v1, vcc
	v_cndmask_b32_e32 v3, v3, v16, vcc
	v_lshlrev_b32_e32 v2, 24, v2
	v_bfrev_b32_e32 v7, 60
	v_lshlrev_b32_e32 v3, 20, v3
	v_and_b32_e32 v2, 0x80000000, v2
	v_lshl_add_u32 v1, v1, 23, v7
	v_or3_b32 v3, v2, v1, v3
.LBB6_1872:                             ;   in Loop: Header=BB6_356 Depth=4
	s_or_b64 exec, exec, s[34:35]
.LBB6_1873:                             ;   in Loop: Header=BB6_356 Depth=4
	s_or_b64 exec, exec, s[30:31]
.LBB6_1874:                             ;   in Loop: Header=BB6_356 Depth=4
	s_or_b64 exec, exec, s[28:29]
	v_lshrrev_b32_e32 v2, 16, v9
	v_cmp_ne_u16_sdwa vcc, v2, v21 src0_sel:BYTE_0 src1_sel:DWORD
	s_and_saveexec_b64 s[28:29], vcc
	s_cbranch_execz .LBB6_1880
; %bb.1875:                             ;   in Loop: Header=BB6_356 Depth=4
	v_cmp_ne_u16_sdwa vcc, v2, s80 src0_sel:BYTE_0 src1_sel:DWORD
	v_bfrev_b32_e32 v0, 1
	s_and_saveexec_b64 s[30:31], vcc
	s_cbranch_execz .LBB6_1879
; %bb.1876:                             ;   in Loop: Header=BB6_356 Depth=4
	v_bfe_u32 v1, v9, 16, 7
	v_cmp_ne_u32_e32 vcc, s81, v1
	v_mov_b32_e32 v0, 0x7f800001
	s_and_saveexec_b64 s[34:35], vcc
	s_cbranch_execz .LBB6_1878
; %bb.1877:                             ;   in Loop: Header=BB6_356 Depth=4
	v_and_b32_e32 v7, 7, v2
	v_ffbh_u32_e32 v0, v7
	v_min_u32_e32 v17, 32, v0
	v_subrev_u32_e32 v0, 28, v17
	v_lshrrev_b32_e32 v16, 3, v1
	v_cmp_gt_u32_e32 vcc, 8, v1
	v_lshlrev_b64 v[0:1], v0, v[2:3]
	v_sub_u32_e32 v1, 29, v17
	v_and_b32_e32 v0, 7, v0
	v_cndmask_b32_e32 v1, v16, v1, vcc
	v_cndmask_b32_e32 v0, v7, v0, vcc
	v_lshlrev_b32_e32 v2, 8, v9
	v_bfrev_b32_e32 v7, 60
	v_lshlrev_b32_e32 v0, 20, v0
	v_and_b32_e32 v2, 0x80000000, v2
	v_lshl_add_u32 v1, v1, 23, v7
	v_or3_b32 v0, v2, v1, v0
.LBB6_1878:                             ;   in Loop: Header=BB6_356 Depth=4
	s_or_b64 exec, exec, s[34:35]
.LBB6_1879:                             ;   in Loop: Header=BB6_356 Depth=4
	s_or_b64 exec, exec, s[30:31]
.LBB6_1880:                             ;   in Loop: Header=BB6_356 Depth=4
	s_or_b64 exec, exec, s[28:29]
	v_mul_f32_e32 v2, v3, v0
	v_and_b32_e32 v20, 0x7f800000, v2
	v_cmp_ne_u64_e32 vcc, s[62:63], v[20:21]
                                        ; implicit-def: $vgpr16
	s_and_saveexec_b64 s[28:29], vcc
	s_xor_b64 s[30:31], exec, s[28:29]
	s_cbranch_execz .LBB6_1894
; %bb.1881:                             ;   in Loop: Header=BB6_356 Depth=4
	v_and_b32_e32 v20, 0x7fffffff, v2
	v_cmp_gt_u64_e32 vcc, s[78:79], v[20:21]
	v_and_b32_sdwa v0, v2, s80 dst_sel:DWORD dst_unused:UNUSED_PAD src0_sel:BYTE_3 src1_sel:DWORD
                                        ; implicit-def: $vgpr16
	s_and_saveexec_b64 s[28:29], vcc
	s_xor_b64 s[34:35], exec, s[28:29]
	s_cbranch_execz .LBB6_1891
; %bb.1882:                             ;   in Loop: Header=BB6_356 Depth=4
	v_mov_b32_e32 v16, 0
	v_cmp_ne_u32_e32 vcc, 0, v2
	s_and_saveexec_b64 s[36:37], vcc
	s_cbranch_execz .LBB6_1890
; %bb.1883:                             ;   in Loop: Header=BB6_356 Depth=4
	v_bfe_u32 v7, v2, 23, 8
	v_and_b32_e32 v1, 0x7fffff, v2
	v_cmp_gt_u32_e64 s[28:29], s47, v7
	v_sub_u32_e32 v2, 0x79, v7
	v_cmp_eq_u32_e32 vcc, 0, v7
	v_cndmask_b32_e64 v2, 0, v2, s[28:29]
	v_mov_b32_e32 v16, 0x78
	v_or_b32_e32 v3, 0x800000, v1
	v_cndmask_b32_e32 v38, v2, v16, vcc
	v_cndmask_b32_e32 v20, v3, v1, vcc
	v_add_u32_e32 v1, 20, v38
	v_lshlrev_b64 v[1:2], v1, -1
	v_add_u32_e32 v3, 19, v38
	v_lshlrev_b64 v[16:17], v3, 1
	v_bfi_b32 v2, v2, 0, 0
	v_bfi_b32 v1, v1, 0, v20
	v_cmp_eq_u64_e64 s[28:29], v[1:2], v[16:17]
	v_lshrrev_b64 v[2:3], v38, v[20:21]
	v_mov_b32_e32 v17, v3
	v_mov_b32_e32 v16, v2
	s_and_saveexec_b64 s[38:39], s[28:29]
; %bb.1884:                             ;   in Loop: Header=BB6_356 Depth=4
	v_bfe_u32 v1, v2, 20, 1
	v_add_co_u32_e64 v1, s[28:29], v2, v1
	v_add_co_u32_e64 v16, s[28:29], -1, v1
; %bb.1885:                             ;   in Loop: Header=BB6_356 Depth=4
	s_or_b64 exec, exec, s[38:39]
	v_add_u32_e32 v1, 0xffffff81, v7
	v_mov_b32_e32 v3, 0xffffff82
	v_cndmask_b32_e32 v1, v1, v3, vcc
	v_lshrrev_b32_e32 v3, 23, v2
	v_add3_u32 v17, v38, v1, v3
	v_add_u32_e32 v7, 6, v17
	v_and_b32_e32 v1, 0xfffff, v16
	v_add_u32_e32 v20, v1, v2
	v_cmp_ne_u32_e32 vcc, 0, v7
                                        ; implicit-def: $vgpr2_vgpr3
                                        ; implicit-def: $vgpr1
	s_and_saveexec_b64 s[28:29], vcc
	s_xor_b64 s[28:29], exec, s[28:29]
; %bb.1886:                             ;   in Loop: Header=BB6_356 Depth=4
	v_cmp_lt_u64_e32 vcc, s[88:89], v[20:21]
	v_add_u32_e32 v1, 7, v17
	v_cndmask_b32_e64 v2, 0, 1, vcc
	v_lshrrev_b64 v[2:3], v2, v[20:21]
	v_cndmask_b32_e32 v1, v7, v1, vcc
; %bb.1887:                             ;   in Loop: Header=BB6_356 Depth=4
	s_andn2_saveexec_b64 s[28:29], s[28:29]
; %bb.1888:                             ;   in Loop: Header=BB6_356 Depth=4
	v_mov_b32_e32 v2, v20
	v_bfe_u32 v1, v20, 23, 1
	v_mov_b32_e32 v3, v21
; %bb.1889:                             ;   in Loop: Header=BB6_356 Depth=4
	s_or_b64 exec, exec, s[28:29]
	v_lshrrev_b64 v[2:3], 20, v[2:3]
	v_cmp_gt_i32_e32 vcc, 16, v1
	v_cndmask_b32_e32 v3, 0, v3, vcc
	v_cndmask_b32_e32 v2, 7, v2, vcc
	v_cmp_eq_u32_e32 vcc, 0, v1
	v_min_i32_e32 v1, 15, v1
	v_cmp_eq_u64_e64 s[28:29], 0, v[2:3]
	v_lshlrev_b32_e32 v1, 3, v1
	v_and_b32_e32 v1, 0xf8, v1
	v_and_or_b32 v1, v2, 7, v1
	s_and_b64 s[28:29], vcc, s[28:29]
	v_cndmask_b32_e64 v1, v1, 0, s[28:29]
	v_or_b32_e32 v16, v1, v0
.LBB6_1890:                             ;   in Loop: Header=BB6_356 Depth=4
	s_or_b64 exec, exec, s[36:37]
                                        ; implicit-def: $vgpr0
.LBB6_1891:                             ;   in Loop: Header=BB6_356 Depth=4
	s_andn2_saveexec_b64 s[28:29], s[34:35]
; %bb.1892:                             ;   in Loop: Header=BB6_356 Depth=4
	v_or_b32_e32 v16, 0x7e, v0
; %bb.1893:                             ;   in Loop: Header=BB6_356 Depth=4
	s_or_b64 exec, exec, s[28:29]
                                        ; implicit-def: $vgpr2
.LBB6_1894:                             ;   in Loop: Header=BB6_356 Depth=4
	s_andn2_saveexec_b64 s[28:29], s[30:31]
; %bb.1895:                             ;   in Loop: Header=BB6_356 Depth=4
	v_or_b32_sdwa v16, v2, s81 dst_sel:DWORD dst_unused:UNUSED_PAD src0_sel:BYTE_3 src1_sel:DWORD
; %bb.1896:                             ;   in Loop: Header=BB6_356 Depth=4
	s_or_b64 exec, exec, s[28:29]
	v_cmp_lt_u64_e32 vcc, s[56:57], v[12:13]
	v_mov_b32_e32 v0, 0
	v_mov_b32_e32 v3, 0
	s_and_saveexec_b64 s[28:29], vcc
	s_cbranch_execz .LBB6_1902
; %bb.1897:                             ;   in Loop: Header=BB6_356 Depth=4
	v_lshrrev_b32_e32 v2, 24, v13
	v_cmp_ne_u32_e32 vcc, s80, v2
	v_bfrev_b32_e32 v3, 1
	s_and_saveexec_b64 s[30:31], vcc
	s_cbranch_execz .LBB6_1901
; %bb.1898:                             ;   in Loop: Header=BB6_356 Depth=4
	v_bfe_u32 v1, v13, 24, 7
	v_cmp_ne_u32_e32 vcc, s81, v1
	v_mov_b32_e32 v3, 0x7f800001
	s_and_saveexec_b64 s[34:35], vcc
	s_cbranch_execz .LBB6_1900
; %bb.1899:                             ;   in Loop: Header=BB6_356 Depth=4
	v_and_b32_e32 v3, 7, v2
	v_lshrrev_b32_e32 v7, 3, v1
	v_cmp_gt_u32_e32 vcc, 8, v1
	v_ffbh_u32_e32 v1, v3
	v_min_u32_e32 v1, 32, v1
	v_subrev_u32_e32 v12, 28, v1
	v_lshlrev_b64 v[12:13], v12, v[2:3]
	v_sub_u32_e32 v1, 29, v1
	v_and_b32_e32 v12, 7, v12
	v_cndmask_b32_e32 v1, v7, v1, vcc
	v_cndmask_b32_e32 v3, v3, v12, vcc
	v_lshlrev_b32_e32 v2, 24, v2
	v_bfrev_b32_e32 v7, 60
	v_lshlrev_b32_e32 v3, 20, v3
	v_and_b32_e32 v2, 0x80000000, v2
	v_lshl_add_u32 v1, v1, 23, v7
	v_or3_b32 v3, v2, v1, v3
.LBB6_1900:                             ;   in Loop: Header=BB6_356 Depth=4
	s_or_b64 exec, exec, s[34:35]
.LBB6_1901:                             ;   in Loop: Header=BB6_356 Depth=4
	s_or_b64 exec, exec, s[30:31]
.LBB6_1902:                             ;   in Loop: Header=BB6_356 Depth=4
	s_or_b64 exec, exec, s[28:29]
	v_cmp_lt_u64_e32 vcc, s[56:57], v[8:9]
	s_and_saveexec_b64 s[28:29], vcc
	s_cbranch_execz .LBB6_1908
; %bb.1903:                             ;   in Loop: Header=BB6_356 Depth=4
	v_lshrrev_b32_e32 v2, 24, v9
	v_cmp_ne_u32_e32 vcc, s80, v2
	v_bfrev_b32_e32 v0, 1
	s_and_saveexec_b64 s[30:31], vcc
	s_cbranch_execz .LBB6_1907
; %bb.1904:                             ;   in Loop: Header=BB6_356 Depth=4
	v_bfe_u32 v1, v9, 24, 7
	v_cmp_ne_u32_e32 vcc, s81, v1
	v_mov_b32_e32 v0, 0x7f800001
	s_and_saveexec_b64 s[34:35], vcc
	s_cbranch_execz .LBB6_1906
; %bb.1905:                             ;   in Loop: Header=BB6_356 Depth=4
	v_and_b32_e32 v7, 7, v2
	v_ffbh_u32_e32 v0, v7
	v_min_u32_e32 v9, 32, v0
	v_subrev_u32_e32 v0, 28, v9
	v_lshrrev_b32_e32 v8, 3, v1
	v_cmp_gt_u32_e32 vcc, 8, v1
	v_lshlrev_b64 v[0:1], v0, v[2:3]
	v_sub_u32_e32 v1, 29, v9
	v_and_b32_e32 v0, 7, v0
	v_cndmask_b32_e32 v1, v8, v1, vcc
	v_cndmask_b32_e32 v0, v7, v0, vcc
	v_lshlrev_b32_e32 v2, 24, v2
	v_bfrev_b32_e32 v7, 60
	v_lshlrev_b32_e32 v0, 20, v0
	v_and_b32_e32 v2, 0x80000000, v2
	v_lshl_add_u32 v1, v1, 23, v7
	v_or3_b32 v0, v2, v1, v0
.LBB6_1906:                             ;   in Loop: Header=BB6_356 Depth=4
	s_or_b64 exec, exec, s[34:35]
.LBB6_1907:                             ;   in Loop: Header=BB6_356 Depth=4
	s_or_b64 exec, exec, s[30:31]
.LBB6_1908:                             ;   in Loop: Header=BB6_356 Depth=4
	s_or_b64 exec, exec, s[28:29]
	v_mul_f32_e32 v2, v3, v0
	v_and_b32_e32 v20, 0x7f800000, v2
	v_cmp_ne_u64_e32 vcc, s[62:63], v[20:21]
                                        ; implicit-def: $vgpr9
	s_and_saveexec_b64 s[28:29], vcc
	s_xor_b64 s[30:31], exec, s[28:29]
	s_cbranch_execz .LBB6_1922
; %bb.1909:                             ;   in Loop: Header=BB6_356 Depth=4
	v_and_b32_e32 v20, 0x7fffffff, v2
	v_cmp_gt_u64_e32 vcc, s[78:79], v[20:21]
	v_and_b32_sdwa v0, v2, s80 dst_sel:DWORD dst_unused:UNUSED_PAD src0_sel:BYTE_3 src1_sel:DWORD
                                        ; implicit-def: $vgpr9
	s_and_saveexec_b64 s[28:29], vcc
	s_xor_b64 s[34:35], exec, s[28:29]
	s_cbranch_execz .LBB6_1919
; %bb.1910:                             ;   in Loop: Header=BB6_356 Depth=4
	v_mov_b32_e32 v9, 0
	v_cmp_ne_u32_e32 vcc, 0, v2
	s_and_saveexec_b64 s[36:37], vcc
	s_cbranch_execz .LBB6_1918
; %bb.1911:                             ;   in Loop: Header=BB6_356 Depth=4
	v_bfe_u32 v9, v2, 23, 8
	v_and_b32_e32 v1, 0x7fffff, v2
	v_cmp_gt_u32_e64 s[28:29], s47, v9
	v_sub_u32_e32 v2, 0x79, v9
	v_cmp_eq_u32_e32 vcc, 0, v9
	v_cndmask_b32_e64 v2, 0, v2, s[28:29]
	v_mov_b32_e32 v7, 0x78
	v_or_b32_e32 v3, 0x800000, v1
	v_cndmask_b32_e32 v12, v2, v7, vcc
	v_cndmask_b32_e32 v20, v3, v1, vcc
	v_add_u32_e32 v1, 20, v12
	v_lshlrev_b64 v[1:2], v1, -1
	v_add_u32_e32 v3, 19, v12
	v_lshlrev_b64 v[7:8], v3, 1
	v_bfi_b32 v2, v2, 0, 0
	v_bfi_b32 v1, v1, 0, v20
	v_cmp_eq_u64_e64 s[28:29], v[1:2], v[7:8]
	v_lshrrev_b64 v[2:3], v12, v[20:21]
	v_mov_b32_e32 v8, v3
	v_mov_b32_e32 v7, v2
	s_and_saveexec_b64 s[38:39], s[28:29]
; %bb.1912:                             ;   in Loop: Header=BB6_356 Depth=4
	v_bfe_u32 v1, v2, 20, 1
	v_add_co_u32_e64 v1, s[28:29], v2, v1
	v_add_co_u32_e64 v7, s[28:29], -1, v1
; %bb.1913:                             ;   in Loop: Header=BB6_356 Depth=4
	s_or_b64 exec, exec, s[38:39]
	v_add_u32_e32 v1, 0xffffff81, v9
	v_mov_b32_e32 v3, 0xffffff82
	v_cndmask_b32_e32 v1, v1, v3, vcc
	v_lshrrev_b32_e32 v3, 23, v2
	v_add3_u32 v9, v12, v1, v3
	v_add_u32_e32 v8, 6, v9
	v_and_b32_e32 v1, 0xfffff, v7
	v_add_u32_e32 v20, v1, v2
	v_cmp_ne_u32_e32 vcc, 0, v8
                                        ; implicit-def: $vgpr2_vgpr3
                                        ; implicit-def: $vgpr1
	s_and_saveexec_b64 s[28:29], vcc
	s_xor_b64 s[28:29], exec, s[28:29]
; %bb.1914:                             ;   in Loop: Header=BB6_356 Depth=4
	v_cmp_lt_u64_e32 vcc, s[88:89], v[20:21]
	v_add_u32_e32 v1, 7, v9
	v_cndmask_b32_e64 v2, 0, 1, vcc
	v_lshrrev_b64 v[2:3], v2, v[20:21]
	v_cndmask_b32_e32 v1, v8, v1, vcc
; %bb.1915:                             ;   in Loop: Header=BB6_356 Depth=4
	s_andn2_saveexec_b64 s[28:29], s[28:29]
; %bb.1916:                             ;   in Loop: Header=BB6_356 Depth=4
	v_mov_b32_e32 v2, v20
	v_bfe_u32 v1, v20, 23, 1
	v_mov_b32_e32 v3, v21
; %bb.1917:                             ;   in Loop: Header=BB6_356 Depth=4
	s_or_b64 exec, exec, s[28:29]
	v_lshrrev_b64 v[2:3], 20, v[2:3]
	v_cmp_gt_i32_e32 vcc, 16, v1
	v_cndmask_b32_e32 v3, 0, v3, vcc
	v_cndmask_b32_e32 v2, 7, v2, vcc
	v_cmp_eq_u32_e32 vcc, 0, v1
	v_min_i32_e32 v1, 15, v1
	v_cmp_eq_u64_e64 s[28:29], 0, v[2:3]
	v_lshlrev_b32_e32 v1, 3, v1
	v_and_b32_e32 v1, 0xf8, v1
	v_and_or_b32 v1, v2, 7, v1
	s_and_b64 s[28:29], vcc, s[28:29]
	v_cndmask_b32_e64 v1, v1, 0, s[28:29]
	v_or_b32_e32 v9, v1, v0
.LBB6_1918:                             ;   in Loop: Header=BB6_356 Depth=4
	s_or_b64 exec, exec, s[36:37]
                                        ; implicit-def: $vgpr0
.LBB6_1919:                             ;   in Loop: Header=BB6_356 Depth=4
	s_andn2_saveexec_b64 s[28:29], s[34:35]
; %bb.1920:                             ;   in Loop: Header=BB6_356 Depth=4
	v_or_b32_e32 v9, 0x7e, v0
; %bb.1921:                             ;   in Loop: Header=BB6_356 Depth=4
	s_or_b64 exec, exec, s[28:29]
                                        ; implicit-def: $vgpr2
.LBB6_1922:                             ;   in Loop: Header=BB6_356 Depth=4
	s_andn2_saveexec_b64 s[28:29], s[30:31]
; %bb.1923:                             ;   in Loop: Header=BB6_356 Depth=4
	v_or_b32_sdwa v9, v2, s81 dst_sel:DWORD dst_unused:UNUSED_PAD src0_sel:BYTE_3 src1_sel:DWORD
; %bb.1924:                             ;   in Loop: Header=BB6_356 Depth=4
	s_or_b64 exec, exec, s[28:29]
	v_cmp_ne_u16_sdwa vcc, v14, v21 src0_sel:BYTE_0 src1_sel:DWORD
	v_mov_b32_e32 v0, 0
	v_mov_b32_e32 v2, 0
	s_and_saveexec_b64 s[28:29], vcc
	s_cbranch_execz .LBB6_1930
; %bb.1925:                             ;   in Loop: Header=BB6_356 Depth=4
	v_cmp_ne_u16_sdwa vcc, v14, s80 src0_sel:BYTE_0 src1_sel:DWORD
	v_bfrev_b32_e32 v2, 1
	s_and_saveexec_b64 s[30:31], vcc
	s_cbranch_execz .LBB6_1929
; %bb.1926:                             ;   in Loop: Header=BB6_356 Depth=4
	v_and_b32_e32 v1, 0x7f, v14
	v_cmp_ne_u32_e32 vcc, s81, v1
	v_mov_b32_e32 v2, 0x7f800001
	s_and_saveexec_b64 s[34:35], vcc
	s_cbranch_execz .LBB6_1928
; %bb.1927:                             ;   in Loop: Header=BB6_356 Depth=4
	v_and_b32_e32 v2, 7, v14
	v_lshrrev_b32_e32 v3, 3, v1
	v_cmp_gt_u32_e32 vcc, 8, v1
	v_ffbh_u32_e32 v1, v2
	v_min_u32_e32 v1, 32, v1
	v_subrev_u32_e32 v2, 28, v1
	v_sub_u32_e32 v1, 29, v1
	v_cndmask_b32_e32 v3, v3, v1, vcc
	v_cndmask_b32_e32 v1, 0, v2, vcc
	v_lshlrev_b64 v[1:2], v1, v[14:15]
	v_lshlrev_b32_e32 v2, 24, v14
	v_lshlrev_b32_e32 v1, 20, v1
	v_bfrev_b32_e32 v7, 60
	v_and_b32_e32 v1, 0x700000, v1
	v_and_b32_e32 v2, 0x80000000, v2
	v_lshl_add_u32 v3, v3, 23, v7
	v_or3_b32 v2, v2, v3, v1
.LBB6_1928:                             ;   in Loop: Header=BB6_356 Depth=4
	s_or_b64 exec, exec, s[34:35]
.LBB6_1929:                             ;   in Loop: Header=BB6_356 Depth=4
	s_or_b64 exec, exec, s[30:31]
.LBB6_1930:                             ;   in Loop: Header=BB6_356 Depth=4
	s_or_b64 exec, exec, s[28:29]
	v_cmp_ne_u16_sdwa vcc, v10, v21 src0_sel:BYTE_0 src1_sel:DWORD
	s_and_saveexec_b64 s[28:29], vcc
	s_cbranch_execz .LBB6_1936
; %bb.1931:                             ;   in Loop: Header=BB6_356 Depth=4
	v_cmp_ne_u16_sdwa vcc, v10, s80 src0_sel:BYTE_0 src1_sel:DWORD
	v_bfrev_b32_e32 v0, 1
	s_and_saveexec_b64 s[30:31], vcc
	s_cbranch_execz .LBB6_1935
; %bb.1932:                             ;   in Loop: Header=BB6_356 Depth=4
	v_and_b32_e32 v1, 0x7f, v10
	v_cmp_ne_u32_e32 vcc, s81, v1
	v_mov_b32_e32 v0, 0x7f800001
	s_and_saveexec_b64 s[34:35], vcc
	s_cbranch_execz .LBB6_1934
; %bb.1933:                             ;   in Loop: Header=BB6_356 Depth=4
	v_and_b32_e32 v0, 7, v10
	v_ffbh_u32_e32 v0, v0
	v_min_u32_e32 v0, 32, v0
	v_lshrrev_b32_e32 v3, 3, v1
	v_cmp_gt_u32_e32 vcc, 8, v1
	v_subrev_u32_e32 v1, 28, v0
	v_sub_u32_e32 v0, 29, v0
	v_cndmask_b32_e32 v3, v3, v0, vcc
	v_cndmask_b32_e32 v0, 0, v1, vcc
	v_lshlrev_b64 v[0:1], v0, v[10:11]
	v_lshlrev_b32_e32 v1, 24, v10
	v_lshlrev_b32_e32 v0, 20, v0
	v_bfrev_b32_e32 v7, 60
	v_and_b32_e32 v0, 0x700000, v0
	v_and_b32_e32 v1, 0x80000000, v1
	v_lshl_add_u32 v3, v3, 23, v7
	v_or3_b32 v0, v1, v3, v0
.LBB6_1934:                             ;   in Loop: Header=BB6_356 Depth=4
	s_or_b64 exec, exec, s[34:35]
.LBB6_1935:                             ;   in Loop: Header=BB6_356 Depth=4
	s_or_b64 exec, exec, s[30:31]
.LBB6_1936:                             ;   in Loop: Header=BB6_356 Depth=4
	s_or_b64 exec, exec, s[28:29]
	v_mul_f32_e32 v2, v2, v0
	v_and_b32_e32 v20, 0x7f800000, v2
	v_cmp_ne_u64_e32 vcc, s[62:63], v[20:21]
                                        ; implicit-def: $vgpr12
	s_and_saveexec_b64 s[28:29], vcc
	s_xor_b64 s[30:31], exec, s[28:29]
	s_cbranch_execz .LBB6_1950
; %bb.1937:                             ;   in Loop: Header=BB6_356 Depth=4
	v_and_b32_e32 v20, 0x7fffffff, v2
	v_cmp_gt_u64_e32 vcc, s[78:79], v[20:21]
	v_and_b32_sdwa v0, v2, s80 dst_sel:DWORD dst_unused:UNUSED_PAD src0_sel:BYTE_3 src1_sel:DWORD
                                        ; implicit-def: $vgpr12
	s_and_saveexec_b64 s[28:29], vcc
	s_xor_b64 s[34:35], exec, s[28:29]
	s_cbranch_execz .LBB6_1947
; %bb.1938:                             ;   in Loop: Header=BB6_356 Depth=4
	v_mov_b32_e32 v12, 0
	v_cmp_ne_u32_e32 vcc, 0, v2
	s_and_saveexec_b64 s[36:37], vcc
	s_cbranch_execz .LBB6_1946
; %bb.1939:                             ;   in Loop: Header=BB6_356 Depth=4
	v_bfe_u32 v12, v2, 23, 8
	v_and_b32_e32 v1, 0x7fffff, v2
	v_cmp_gt_u32_e64 s[28:29], s47, v12
	v_sub_u32_e32 v2, 0x79, v12
	v_cmp_eq_u32_e32 vcc, 0, v12
	v_cndmask_b32_e64 v2, 0, v2, s[28:29]
	v_mov_b32_e32 v7, 0x78
	v_or_b32_e32 v3, 0x800000, v1
	v_cndmask_b32_e32 v13, v2, v7, vcc
	v_cndmask_b32_e32 v20, v3, v1, vcc
	v_add_u32_e32 v1, 20, v13
	v_lshlrev_b64 v[1:2], v1, -1
	v_add_u32_e32 v3, 19, v13
	v_lshlrev_b64 v[7:8], v3, 1
	v_bfi_b32 v2, v2, 0, 0
	v_bfi_b32 v1, v1, 0, v20
	v_cmp_eq_u64_e64 s[28:29], v[1:2], v[7:8]
	v_lshrrev_b64 v[2:3], v13, v[20:21]
	v_mov_b32_e32 v8, v3
	v_mov_b32_e32 v7, v2
	s_and_saveexec_b64 s[38:39], s[28:29]
; %bb.1940:                             ;   in Loop: Header=BB6_356 Depth=4
	v_bfe_u32 v1, v2, 20, 1
	v_add_co_u32_e64 v1, s[28:29], v2, v1
	v_add_co_u32_e64 v7, s[28:29], -1, v1
; %bb.1941:                             ;   in Loop: Header=BB6_356 Depth=4
	s_or_b64 exec, exec, s[38:39]
	v_add_u32_e32 v1, 0xffffff81, v12
	v_mov_b32_e32 v3, 0xffffff82
	v_cndmask_b32_e32 v1, v1, v3, vcc
	v_lshrrev_b32_e32 v3, 23, v2
	v_add3_u32 v12, v13, v1, v3
	v_add_u32_e32 v8, 6, v12
	v_and_b32_e32 v1, 0xfffff, v7
	v_add_u32_e32 v20, v1, v2
	v_cmp_ne_u32_e32 vcc, 0, v8
                                        ; implicit-def: $vgpr2_vgpr3
                                        ; implicit-def: $vgpr1
	s_and_saveexec_b64 s[28:29], vcc
	s_xor_b64 s[28:29], exec, s[28:29]
; %bb.1942:                             ;   in Loop: Header=BB6_356 Depth=4
	v_cmp_lt_u64_e32 vcc, s[88:89], v[20:21]
	v_add_u32_e32 v1, 7, v12
	v_cndmask_b32_e64 v2, 0, 1, vcc
	v_lshrrev_b64 v[2:3], v2, v[20:21]
	v_cndmask_b32_e32 v1, v8, v1, vcc
; %bb.1943:                             ;   in Loop: Header=BB6_356 Depth=4
	s_andn2_saveexec_b64 s[28:29], s[28:29]
; %bb.1944:                             ;   in Loop: Header=BB6_356 Depth=4
	v_mov_b32_e32 v2, v20
	v_bfe_u32 v1, v20, 23, 1
	v_mov_b32_e32 v3, v21
; %bb.1945:                             ;   in Loop: Header=BB6_356 Depth=4
	s_or_b64 exec, exec, s[28:29]
	v_lshrrev_b64 v[2:3], 20, v[2:3]
	v_cmp_gt_i32_e32 vcc, 16, v1
	v_cndmask_b32_e32 v3, 0, v3, vcc
	v_cndmask_b32_e32 v2, 7, v2, vcc
	v_cmp_eq_u32_e32 vcc, 0, v1
	v_min_i32_e32 v1, 15, v1
	v_cmp_eq_u64_e64 s[28:29], 0, v[2:3]
	v_lshlrev_b32_e32 v1, 3, v1
	v_and_b32_e32 v1, 0xf8, v1
	v_and_or_b32 v1, v2, 7, v1
	s_and_b64 s[28:29], vcc, s[28:29]
	v_cndmask_b32_e64 v1, v1, 0, s[28:29]
	v_or_b32_e32 v12, v1, v0
.LBB6_1946:                             ;   in Loop: Header=BB6_356 Depth=4
	s_or_b64 exec, exec, s[36:37]
                                        ; implicit-def: $vgpr0
.LBB6_1947:                             ;   in Loop: Header=BB6_356 Depth=4
	s_andn2_saveexec_b64 s[28:29], s[34:35]
; %bb.1948:                             ;   in Loop: Header=BB6_356 Depth=4
	v_or_b32_e32 v12, 0x7e, v0
; %bb.1949:                             ;   in Loop: Header=BB6_356 Depth=4
	s_or_b64 exec, exec, s[28:29]
                                        ; implicit-def: $vgpr2
.LBB6_1950:                             ;   in Loop: Header=BB6_356 Depth=4
	s_andn2_saveexec_b64 s[28:29], s[30:31]
; %bb.1951:                             ;   in Loop: Header=BB6_356 Depth=4
	v_or_b32_sdwa v12, v2, s81 dst_sel:DWORD dst_unused:UNUSED_PAD src0_sel:BYTE_3 src1_sel:DWORD
; %bb.1952:                             ;   in Loop: Header=BB6_356 Depth=4
	s_or_b64 exec, exec, s[28:29]
	v_lshrrev_b16_e32 v2, 8, v14
	v_cmp_ne_u16_e32 vcc, 0, v2
	v_mov_b32_e32 v0, 0
	v_mov_b32_e32 v3, 0
	s_and_saveexec_b64 s[28:29], vcc
	s_cbranch_execz .LBB6_1958
; %bb.1953:                             ;   in Loop: Header=BB6_356 Depth=4
	v_cmp_ne_u16_e32 vcc, s80, v2
	v_bfrev_b32_e32 v3, 1
	s_and_saveexec_b64 s[30:31], vcc
	s_cbranch_execz .LBB6_1957
; %bb.1954:                             ;   in Loop: Header=BB6_356 Depth=4
	v_and_b32_e32 v1, 0x7f, v2
	v_cmp_ne_u32_e32 vcc, s81, v1
	v_mov_b32_e32 v3, 0x7f800001
	s_and_saveexec_b64 s[34:35], vcc
	s_cbranch_execz .LBB6_1956
; %bb.1955:                             ;   in Loop: Header=BB6_356 Depth=4
	v_and_b32_e32 v3, 7, v2
	v_lshrrev_b32_e32 v7, 3, v1
	v_cmp_gt_u32_e32 vcc, 8, v1
	v_ffbh_u32_e32 v1, v3
	v_min_u32_e32 v8, 32, v1
	v_subrev_u32_e32 v1, 28, v8
	v_lshlrev_b64 v[1:2], v1, v[2:3]
	v_sub_u32_e32 v2, 29, v8
	v_and_b32_e32 v1, 7, v1
	v_cndmask_b32_e32 v2, v7, v2, vcc
	v_cndmask_b32_e32 v1, v3, v1, vcc
	v_lshlrev_b32_e32 v3, 16, v14
	v_bfrev_b32_e32 v7, 60
	v_lshlrev_b32_e32 v1, 20, v1
	v_and_b32_e32 v3, 0x80000000, v3
	v_lshl_add_u32 v2, v2, 23, v7
	v_or3_b32 v3, v3, v2, v1
.LBB6_1956:                             ;   in Loop: Header=BB6_356 Depth=4
	s_or_b64 exec, exec, s[34:35]
.LBB6_1957:                             ;   in Loop: Header=BB6_356 Depth=4
	s_or_b64 exec, exec, s[30:31]
.LBB6_1958:                             ;   in Loop: Header=BB6_356 Depth=4
	s_or_b64 exec, exec, s[28:29]
	v_lshrrev_b16_e32 v2, 8, v10
	v_cmp_ne_u16_e32 vcc, 0, v2
	s_and_saveexec_b64 s[28:29], vcc
	s_cbranch_execz .LBB6_1964
; %bb.1959:                             ;   in Loop: Header=BB6_356 Depth=4
	v_cmp_ne_u16_e32 vcc, s80, v2
	v_bfrev_b32_e32 v0, 1
	s_and_saveexec_b64 s[30:31], vcc
	s_cbranch_execz .LBB6_1963
; %bb.1960:                             ;   in Loop: Header=BB6_356 Depth=4
	v_and_b32_e32 v1, 0x7f, v2
	v_cmp_ne_u32_e32 vcc, s81, v1
	v_mov_b32_e32 v0, 0x7f800001
	s_and_saveexec_b64 s[34:35], vcc
	s_cbranch_execz .LBB6_1962
; %bb.1961:                             ;   in Loop: Header=BB6_356 Depth=4
	v_and_b32_e32 v7, 7, v2
	v_ffbh_u32_e32 v0, v7
	v_min_u32_e32 v13, 32, v0
	v_subrev_u32_e32 v0, 28, v13
	v_lshrrev_b32_e32 v8, 3, v1
	v_cmp_gt_u32_e32 vcc, 8, v1
	v_lshlrev_b64 v[0:1], v0, v[2:3]
	v_sub_u32_e32 v1, 29, v13
	v_and_b32_e32 v0, 7, v0
	v_cndmask_b32_e32 v1, v8, v1, vcc
	v_cndmask_b32_e32 v0, v7, v0, vcc
	v_lshlrev_b32_e32 v2, 16, v10
	v_bfrev_b32_e32 v7, 60
	v_lshlrev_b32_e32 v0, 20, v0
	v_and_b32_e32 v2, 0x80000000, v2
	v_lshl_add_u32 v1, v1, 23, v7
	v_or3_b32 v0, v2, v1, v0
.LBB6_1962:                             ;   in Loop: Header=BB6_356 Depth=4
	s_or_b64 exec, exec, s[34:35]
.LBB6_1963:                             ;   in Loop: Header=BB6_356 Depth=4
	s_or_b64 exec, exec, s[30:31]
.LBB6_1964:                             ;   in Loop: Header=BB6_356 Depth=4
	s_or_b64 exec, exec, s[28:29]
	v_mul_f32_e32 v2, v3, v0
	v_and_b32_e32 v20, 0x7f800000, v2
	v_cmp_ne_u64_e32 vcc, s[62:63], v[20:21]
                                        ; implicit-def: $vgpr13
	s_and_saveexec_b64 s[28:29], vcc
	s_xor_b64 s[30:31], exec, s[28:29]
	s_cbranch_execz .LBB6_1978
; %bb.1965:                             ;   in Loop: Header=BB6_356 Depth=4
	v_and_b32_e32 v20, 0x7fffffff, v2
	v_cmp_gt_u64_e32 vcc, s[78:79], v[20:21]
	v_and_b32_sdwa v0, v2, s80 dst_sel:DWORD dst_unused:UNUSED_PAD src0_sel:BYTE_3 src1_sel:DWORD
                                        ; implicit-def: $vgpr13
	s_and_saveexec_b64 s[28:29], vcc
	s_xor_b64 s[34:35], exec, s[28:29]
	s_cbranch_execz .LBB6_1975
; %bb.1966:                             ;   in Loop: Header=BB6_356 Depth=4
	v_mov_b32_e32 v13, 0
	v_cmp_ne_u32_e32 vcc, 0, v2
	s_and_saveexec_b64 s[36:37], vcc
	s_cbranch_execz .LBB6_1974
; %bb.1967:                             ;   in Loop: Header=BB6_356 Depth=4
	v_bfe_u32 v13, v2, 23, 8
	v_and_b32_e32 v1, 0x7fffff, v2
	v_cmp_gt_u32_e64 s[28:29], s47, v13
	v_sub_u32_e32 v2, 0x79, v13
	v_cmp_eq_u32_e32 vcc, 0, v13
	v_cndmask_b32_e64 v2, 0, v2, s[28:29]
	v_mov_b32_e32 v7, 0x78
	v_or_b32_e32 v3, 0x800000, v1
	v_cndmask_b32_e32 v17, v2, v7, vcc
	v_cndmask_b32_e32 v20, v3, v1, vcc
	v_add_u32_e32 v1, 20, v17
	v_lshlrev_b64 v[1:2], v1, -1
	v_add_u32_e32 v3, 19, v17
	v_lshlrev_b64 v[7:8], v3, 1
	v_bfi_b32 v2, v2, 0, 0
	v_bfi_b32 v1, v1, 0, v20
	v_cmp_eq_u64_e64 s[28:29], v[1:2], v[7:8]
	v_lshrrev_b64 v[2:3], v17, v[20:21]
	v_mov_b32_e32 v8, v3
	v_mov_b32_e32 v7, v2
	s_and_saveexec_b64 s[38:39], s[28:29]
; %bb.1968:                             ;   in Loop: Header=BB6_356 Depth=4
	v_bfe_u32 v1, v2, 20, 1
	v_add_co_u32_e64 v1, s[28:29], v2, v1
	v_add_co_u32_e64 v7, s[28:29], -1, v1
; %bb.1969:                             ;   in Loop: Header=BB6_356 Depth=4
	s_or_b64 exec, exec, s[38:39]
	v_add_u32_e32 v1, 0xffffff81, v13
	v_mov_b32_e32 v3, 0xffffff82
	v_cndmask_b32_e32 v1, v1, v3, vcc
	v_lshrrev_b32_e32 v3, 23, v2
	v_add3_u32 v13, v17, v1, v3
	v_add_u32_e32 v8, 6, v13
	v_and_b32_e32 v1, 0xfffff, v7
	v_add_u32_e32 v20, v1, v2
	v_cmp_ne_u32_e32 vcc, 0, v8
                                        ; implicit-def: $vgpr2_vgpr3
                                        ; implicit-def: $vgpr1
	s_and_saveexec_b64 s[28:29], vcc
	s_xor_b64 s[28:29], exec, s[28:29]
; %bb.1970:                             ;   in Loop: Header=BB6_356 Depth=4
	v_cmp_lt_u64_e32 vcc, s[88:89], v[20:21]
	v_add_u32_e32 v1, 7, v13
	v_cndmask_b32_e64 v2, 0, 1, vcc
	v_lshrrev_b64 v[2:3], v2, v[20:21]
	v_cndmask_b32_e32 v1, v8, v1, vcc
; %bb.1971:                             ;   in Loop: Header=BB6_356 Depth=4
	s_andn2_saveexec_b64 s[28:29], s[28:29]
; %bb.1972:                             ;   in Loop: Header=BB6_356 Depth=4
	v_mov_b32_e32 v2, v20
	v_bfe_u32 v1, v20, 23, 1
	v_mov_b32_e32 v3, v21
; %bb.1973:                             ;   in Loop: Header=BB6_356 Depth=4
	s_or_b64 exec, exec, s[28:29]
	v_lshrrev_b64 v[2:3], 20, v[2:3]
	v_cmp_gt_i32_e32 vcc, 16, v1
	v_cndmask_b32_e32 v3, 0, v3, vcc
	v_cndmask_b32_e32 v2, 7, v2, vcc
	v_cmp_eq_u32_e32 vcc, 0, v1
	v_min_i32_e32 v1, 15, v1
	v_cmp_eq_u64_e64 s[28:29], 0, v[2:3]
	v_lshlrev_b32_e32 v1, 3, v1
	v_and_b32_e32 v1, 0xf8, v1
	v_and_or_b32 v1, v2, 7, v1
	s_and_b64 s[28:29], vcc, s[28:29]
	v_cndmask_b32_e64 v1, v1, 0, s[28:29]
	v_or_b32_e32 v13, v1, v0
.LBB6_1974:                             ;   in Loop: Header=BB6_356 Depth=4
	s_or_b64 exec, exec, s[36:37]
                                        ; implicit-def: $vgpr0
.LBB6_1975:                             ;   in Loop: Header=BB6_356 Depth=4
	s_andn2_saveexec_b64 s[28:29], s[34:35]
; %bb.1976:                             ;   in Loop: Header=BB6_356 Depth=4
	v_or_b32_e32 v13, 0x7e, v0
; %bb.1977:                             ;   in Loop: Header=BB6_356 Depth=4
	s_or_b64 exec, exec, s[28:29]
                                        ; implicit-def: $vgpr2
.LBB6_1978:                             ;   in Loop: Header=BB6_356 Depth=4
	s_andn2_saveexec_b64 s[28:29], s[30:31]
; %bb.1979:                             ;   in Loop: Header=BB6_356 Depth=4
	v_or_b32_sdwa v13, v2, s81 dst_sel:DWORD dst_unused:UNUSED_PAD src0_sel:BYTE_3 src1_sel:DWORD
; %bb.1980:                             ;   in Loop: Header=BB6_356 Depth=4
	s_or_b64 exec, exec, s[28:29]
	v_lshrrev_b32_e32 v2, 16, v14
	v_cmp_ne_u16_sdwa vcc, v2, v21 src0_sel:BYTE_0 src1_sel:DWORD
	v_mov_b32_e32 v0, 0
	v_mov_b32_e32 v3, 0
	s_and_saveexec_b64 s[28:29], vcc
	s_cbranch_execz .LBB6_1986
; %bb.1981:                             ;   in Loop: Header=BB6_356 Depth=4
	v_cmp_ne_u16_sdwa vcc, v2, s80 src0_sel:BYTE_0 src1_sel:DWORD
	v_bfrev_b32_e32 v3, 1
	s_and_saveexec_b64 s[30:31], vcc
	s_cbranch_execz .LBB6_1985
; %bb.1982:                             ;   in Loop: Header=BB6_356 Depth=4
	v_bfe_u32 v1, v14, 16, 7
	v_cmp_ne_u32_e32 vcc, s81, v1
	v_mov_b32_e32 v3, 0x7f800001
	s_and_saveexec_b64 s[34:35], vcc
	s_cbranch_execz .LBB6_1984
; %bb.1983:                             ;   in Loop: Header=BB6_356 Depth=4
	v_and_b32_e32 v3, 7, v2
	v_lshrrev_b32_e32 v17, 3, v1
	v_cmp_gt_u32_e32 vcc, 8, v1
	v_ffbh_u32_e32 v1, v3
	v_min_u32_e32 v1, 32, v1
	v_subrev_u32_e32 v7, 28, v1
	v_lshlrev_b64 v[7:8], v7, v[2:3]
	v_sub_u32_e32 v1, 29, v1
	v_and_b32_e32 v7, 7, v7
	v_cndmask_b32_e32 v1, v17, v1, vcc
	v_cndmask_b32_e32 v3, v3, v7, vcc
	v_lshlrev_b32_e32 v2, 24, v2
	v_bfrev_b32_e32 v7, 60
	v_lshlrev_b32_e32 v3, 20, v3
	v_and_b32_e32 v2, 0x80000000, v2
	v_lshl_add_u32 v1, v1, 23, v7
	v_or3_b32 v3, v2, v1, v3
.LBB6_1984:                             ;   in Loop: Header=BB6_356 Depth=4
	s_or_b64 exec, exec, s[34:35]
.LBB6_1985:                             ;   in Loop: Header=BB6_356 Depth=4
	s_or_b64 exec, exec, s[30:31]
.LBB6_1986:                             ;   in Loop: Header=BB6_356 Depth=4
	s_or_b64 exec, exec, s[28:29]
	v_lshrrev_b32_e32 v2, 16, v10
	v_cmp_ne_u16_sdwa vcc, v2, v21 src0_sel:BYTE_0 src1_sel:DWORD
	s_and_saveexec_b64 s[28:29], vcc
	s_cbranch_execz .LBB6_1992
; %bb.1987:                             ;   in Loop: Header=BB6_356 Depth=4
	v_cmp_ne_u16_sdwa vcc, v2, s80 src0_sel:BYTE_0 src1_sel:DWORD
	v_bfrev_b32_e32 v0, 1
	s_and_saveexec_b64 s[30:31], vcc
	s_cbranch_execz .LBB6_1991
; %bb.1988:                             ;   in Loop: Header=BB6_356 Depth=4
	v_bfe_u32 v1, v10, 16, 7
	v_cmp_ne_u32_e32 vcc, s81, v1
	v_mov_b32_e32 v0, 0x7f800001
	s_and_saveexec_b64 s[34:35], vcc
	s_cbranch_execz .LBB6_1990
; %bb.1989:                             ;   in Loop: Header=BB6_356 Depth=4
	v_and_b32_e32 v7, 7, v2
	v_ffbh_u32_e32 v0, v7
	v_min_u32_e32 v17, 32, v0
	v_subrev_u32_e32 v0, 28, v17
	v_lshrrev_b32_e32 v8, 3, v1
	v_cmp_gt_u32_e32 vcc, 8, v1
	v_lshlrev_b64 v[0:1], v0, v[2:3]
	v_sub_u32_e32 v1, 29, v17
	v_and_b32_e32 v0, 7, v0
	v_cndmask_b32_e32 v1, v8, v1, vcc
	v_cndmask_b32_e32 v0, v7, v0, vcc
	v_lshlrev_b32_e32 v2, 8, v10
	v_bfrev_b32_e32 v7, 60
	v_lshlrev_b32_e32 v0, 20, v0
	v_and_b32_e32 v2, 0x80000000, v2
	v_lshl_add_u32 v1, v1, 23, v7
	v_or3_b32 v0, v2, v1, v0
.LBB6_1990:                             ;   in Loop: Header=BB6_356 Depth=4
	s_or_b64 exec, exec, s[34:35]
.LBB6_1991:                             ;   in Loop: Header=BB6_356 Depth=4
	s_or_b64 exec, exec, s[30:31]
.LBB6_1992:                             ;   in Loop: Header=BB6_356 Depth=4
	s_or_b64 exec, exec, s[28:29]
	v_mul_f32_e32 v2, v3, v0
	v_and_b32_e32 v20, 0x7f800000, v2
	v_cmp_ne_u64_e32 vcc, s[62:63], v[20:21]
                                        ; implicit-def: $vgpr17
	s_and_saveexec_b64 s[28:29], vcc
	s_xor_b64 s[30:31], exec, s[28:29]
	s_cbranch_execz .LBB6_2006
; %bb.1993:                             ;   in Loop: Header=BB6_356 Depth=4
	v_and_b32_e32 v20, 0x7fffffff, v2
	v_cmp_gt_u64_e32 vcc, s[78:79], v[20:21]
	v_and_b32_sdwa v0, v2, s80 dst_sel:DWORD dst_unused:UNUSED_PAD src0_sel:BYTE_3 src1_sel:DWORD
                                        ; implicit-def: $vgpr17
	s_and_saveexec_b64 s[28:29], vcc
	s_xor_b64 s[34:35], exec, s[28:29]
	s_cbranch_execz .LBB6_2003
; %bb.1994:                             ;   in Loop: Header=BB6_356 Depth=4
	v_mov_b32_e32 v17, 0
	v_cmp_ne_u32_e32 vcc, 0, v2
	s_and_saveexec_b64 s[36:37], vcc
	s_cbranch_execz .LBB6_2002
; %bb.1995:                             ;   in Loop: Header=BB6_356 Depth=4
	v_bfe_u32 v17, v2, 23, 8
	v_and_b32_e32 v1, 0x7fffff, v2
	v_cmp_gt_u32_e64 s[28:29], s47, v17
	v_sub_u32_e32 v2, 0x79, v17
	v_cmp_eq_u32_e32 vcc, 0, v17
	v_cndmask_b32_e64 v2, 0, v2, s[28:29]
	v_mov_b32_e32 v7, 0x78
	v_or_b32_e32 v3, 0x800000, v1
	v_cndmask_b32_e32 v38, v2, v7, vcc
	v_cndmask_b32_e32 v20, v3, v1, vcc
	v_add_u32_e32 v1, 20, v38
	v_lshlrev_b64 v[1:2], v1, -1
	v_add_u32_e32 v3, 19, v38
	v_lshlrev_b64 v[7:8], v3, 1
	v_bfi_b32 v2, v2, 0, 0
	v_bfi_b32 v1, v1, 0, v20
	v_cmp_eq_u64_e64 s[28:29], v[1:2], v[7:8]
	v_lshrrev_b64 v[2:3], v38, v[20:21]
	v_mov_b32_e32 v8, v3
	v_mov_b32_e32 v7, v2
	s_and_saveexec_b64 s[38:39], s[28:29]
; %bb.1996:                             ;   in Loop: Header=BB6_356 Depth=4
	v_bfe_u32 v1, v2, 20, 1
	v_add_co_u32_e64 v1, s[28:29], v2, v1
	v_add_co_u32_e64 v7, s[28:29], -1, v1
; %bb.1997:                             ;   in Loop: Header=BB6_356 Depth=4
	s_or_b64 exec, exec, s[38:39]
	v_add_u32_e32 v1, 0xffffff81, v17
	v_mov_b32_e32 v3, 0xffffff82
	v_cndmask_b32_e32 v1, v1, v3, vcc
	v_lshrrev_b32_e32 v3, 23, v2
	v_add3_u32 v17, v38, v1, v3
	v_add_u32_e32 v8, 6, v17
	v_and_b32_e32 v1, 0xfffff, v7
	v_add_u32_e32 v20, v1, v2
	v_cmp_ne_u32_e32 vcc, 0, v8
                                        ; implicit-def: $vgpr2_vgpr3
                                        ; implicit-def: $vgpr1
	s_and_saveexec_b64 s[28:29], vcc
	s_xor_b64 s[28:29], exec, s[28:29]
; %bb.1998:                             ;   in Loop: Header=BB6_356 Depth=4
	v_cmp_lt_u64_e32 vcc, s[88:89], v[20:21]
	v_add_u32_e32 v1, 7, v17
	v_cndmask_b32_e64 v2, 0, 1, vcc
	v_lshrrev_b64 v[2:3], v2, v[20:21]
	v_cndmask_b32_e32 v1, v8, v1, vcc
; %bb.1999:                             ;   in Loop: Header=BB6_356 Depth=4
	s_andn2_saveexec_b64 s[28:29], s[28:29]
; %bb.2000:                             ;   in Loop: Header=BB6_356 Depth=4
	v_mov_b32_e32 v2, v20
	v_bfe_u32 v1, v20, 23, 1
	v_mov_b32_e32 v3, v21
; %bb.2001:                             ;   in Loop: Header=BB6_356 Depth=4
	s_or_b64 exec, exec, s[28:29]
	v_lshrrev_b64 v[2:3], 20, v[2:3]
	v_cmp_gt_i32_e32 vcc, 16, v1
	v_cndmask_b32_e32 v3, 0, v3, vcc
	v_cndmask_b32_e32 v2, 7, v2, vcc
	v_cmp_eq_u32_e32 vcc, 0, v1
	v_min_i32_e32 v1, 15, v1
	v_cmp_eq_u64_e64 s[28:29], 0, v[2:3]
	v_lshlrev_b32_e32 v1, 3, v1
	v_and_b32_e32 v1, 0xf8, v1
	v_and_or_b32 v1, v2, 7, v1
	s_and_b64 s[28:29], vcc, s[28:29]
	v_cndmask_b32_e64 v1, v1, 0, s[28:29]
	v_or_b32_e32 v17, v1, v0
.LBB6_2002:                             ;   in Loop: Header=BB6_356 Depth=4
	s_or_b64 exec, exec, s[36:37]
                                        ; implicit-def: $vgpr0
.LBB6_2003:                             ;   in Loop: Header=BB6_356 Depth=4
	s_andn2_saveexec_b64 s[28:29], s[34:35]
; %bb.2004:                             ;   in Loop: Header=BB6_356 Depth=4
	v_or_b32_e32 v17, 0x7e, v0
; %bb.2005:                             ;   in Loop: Header=BB6_356 Depth=4
	s_or_b64 exec, exec, s[28:29]
                                        ; implicit-def: $vgpr2
.LBB6_2006:                             ;   in Loop: Header=BB6_356 Depth=4
	s_andn2_saveexec_b64 s[28:29], s[30:31]
; %bb.2007:                             ;   in Loop: Header=BB6_356 Depth=4
	v_or_b32_sdwa v17, v2, s81 dst_sel:DWORD dst_unused:UNUSED_PAD src0_sel:BYTE_3 src1_sel:DWORD
; %bb.2008:                             ;   in Loop: Header=BB6_356 Depth=4
	s_or_b64 exec, exec, s[28:29]
	v_cmp_lt_u32_e32 vcc, s57, v14
	v_mov_b32_e32 v0, 0
	v_mov_b32_e32 v3, 0
	s_and_saveexec_b64 s[28:29], vcc
	s_cbranch_execz .LBB6_2014
; %bb.2009:                             ;   in Loop: Header=BB6_356 Depth=4
	v_lshrrev_b32_e32 v2, 24, v14
	v_cmp_ne_u32_e32 vcc, s80, v2
	v_bfrev_b32_e32 v3, 1
	s_and_saveexec_b64 s[30:31], vcc
	s_cbranch_execz .LBB6_2013
; %bb.2010:                             ;   in Loop: Header=BB6_356 Depth=4
	v_bfe_u32 v1, v14, 24, 7
	v_cmp_ne_u32_e32 vcc, s81, v1
	v_mov_b32_e32 v3, 0x7f800001
	s_and_saveexec_b64 s[34:35], vcc
	s_cbranch_execz .LBB6_2012
; %bb.2011:                             ;   in Loop: Header=BB6_356 Depth=4
	v_and_b32_e32 v3, 7, v2
	v_lshrrev_b32_e32 v20, 3, v1
	v_cmp_gt_u32_e32 vcc, 8, v1
	v_ffbh_u32_e32 v1, v3
	v_min_u32_e32 v1, 32, v1
	v_subrev_u32_e32 v7, 28, v1
	v_lshlrev_b64 v[7:8], v7, v[2:3]
	v_sub_u32_e32 v1, 29, v1
	v_and_b32_e32 v7, 7, v7
	v_cndmask_b32_e32 v1, v20, v1, vcc
	v_cndmask_b32_e32 v3, v3, v7, vcc
	v_lshlrev_b32_e32 v2, 24, v2
	v_bfrev_b32_e32 v7, 60
	v_lshlrev_b32_e32 v3, 20, v3
	v_and_b32_e32 v2, 0x80000000, v2
	v_lshl_add_u32 v1, v1, 23, v7
	v_or3_b32 v3, v2, v1, v3
.LBB6_2012:                             ;   in Loop: Header=BB6_356 Depth=4
	s_or_b64 exec, exec, s[34:35]
.LBB6_2013:                             ;   in Loop: Header=BB6_356 Depth=4
	s_or_b64 exec, exec, s[30:31]
.LBB6_2014:                             ;   in Loop: Header=BB6_356 Depth=4
	s_or_b64 exec, exec, s[28:29]
	v_cmp_lt_u32_e32 vcc, s57, v10
	s_and_saveexec_b64 s[28:29], vcc
	s_cbranch_execz .LBB6_2020
; %bb.2015:                             ;   in Loop: Header=BB6_356 Depth=4
	v_lshrrev_b32_e32 v2, 24, v10
	v_cmp_ne_u32_e32 vcc, s80, v2
	v_bfrev_b32_e32 v0, 1
	s_and_saveexec_b64 s[30:31], vcc
	s_cbranch_execz .LBB6_2019
; %bb.2016:                             ;   in Loop: Header=BB6_356 Depth=4
	v_bfe_u32 v1, v10, 24, 7
	v_cmp_ne_u32_e32 vcc, s81, v1
	v_mov_b32_e32 v0, 0x7f800001
	s_and_saveexec_b64 s[34:35], vcc
	s_cbranch_execz .LBB6_2018
; %bb.2017:                             ;   in Loop: Header=BB6_356 Depth=4
	v_and_b32_e32 v7, 7, v2
	v_ffbh_u32_e32 v0, v7
	v_min_u32_e32 v20, 32, v0
	v_subrev_u32_e32 v0, 28, v20
	v_lshrrev_b32_e32 v8, 3, v1
	v_cmp_gt_u32_e32 vcc, 8, v1
	v_lshlrev_b64 v[0:1], v0, v[2:3]
	v_sub_u32_e32 v1, 29, v20
	v_and_b32_e32 v0, 7, v0
	v_cndmask_b32_e32 v1, v8, v1, vcc
	v_cndmask_b32_e32 v0, v7, v0, vcc
	v_lshlrev_b32_e32 v2, 24, v2
	v_bfrev_b32_e32 v7, 60
	v_lshlrev_b32_e32 v0, 20, v0
	v_and_b32_e32 v2, 0x80000000, v2
	v_lshl_add_u32 v1, v1, 23, v7
	v_or3_b32 v0, v2, v1, v0
.LBB6_2018:                             ;   in Loop: Header=BB6_356 Depth=4
	s_or_b64 exec, exec, s[34:35]
.LBB6_2019:                             ;   in Loop: Header=BB6_356 Depth=4
	s_or_b64 exec, exec, s[30:31]
.LBB6_2020:                             ;   in Loop: Header=BB6_356 Depth=4
	s_or_b64 exec, exec, s[28:29]
	v_mul_f32_e32 v2, v3, v0
	v_and_b32_e32 v20, 0x7f800000, v2
	v_cmp_ne_u64_e32 vcc, s[62:63], v[20:21]
                                        ; implicit-def: $vgpr0
	s_and_saveexec_b64 s[28:29], vcc
	s_xor_b64 s[30:31], exec, s[28:29]
	s_cbranch_execz .LBB6_2034
; %bb.2021:                             ;   in Loop: Header=BB6_356 Depth=4
	v_and_b32_e32 v20, 0x7fffffff, v2
	v_cmp_gt_u64_e32 vcc, s[78:79], v[20:21]
	v_and_b32_sdwa v38, v2, s80 dst_sel:DWORD dst_unused:UNUSED_PAD src0_sel:BYTE_3 src1_sel:DWORD
                                        ; implicit-def: $vgpr0
	s_and_saveexec_b64 s[28:29], vcc
	s_xor_b64 s[34:35], exec, s[28:29]
	s_cbranch_execz .LBB6_2031
; %bb.2022:                             ;   in Loop: Header=BB6_356 Depth=4
	v_mov_b32_e32 v0, 0
	v_cmp_ne_u32_e32 vcc, 0, v2
	s_and_saveexec_b64 s[36:37], vcc
	s_cbranch_execz .LBB6_2030
; %bb.2023:                             ;   in Loop: Header=BB6_356 Depth=4
	v_bfe_u32 v0, v2, 23, 8
	v_and_b32_e32 v1, 0x7fffff, v2
	v_cmp_gt_u32_e64 s[28:29], s47, v0
	v_sub_u32_e32 v2, 0x79, v0
	v_cmp_eq_u32_e32 vcc, 0, v0
	v_cndmask_b32_e64 v2, 0, v2, s[28:29]
	v_mov_b32_e32 v7, 0x78
	v_or_b32_e32 v3, 0x800000, v1
	v_cndmask_b32_e32 v39, v2, v7, vcc
	v_cndmask_b32_e32 v20, v3, v1, vcc
	v_add_u32_e32 v1, 20, v39
	v_lshlrev_b64 v[1:2], v1, -1
	v_add_u32_e32 v3, 19, v39
	v_lshlrev_b64 v[7:8], v3, 1
	v_bfi_b32 v2, v2, 0, 0
	v_bfi_b32 v1, v1, 0, v20
	v_cmp_eq_u64_e64 s[28:29], v[1:2], v[7:8]
	v_lshrrev_b64 v[2:3], v39, v[20:21]
	v_mov_b32_e32 v8, v3
	v_mov_b32_e32 v7, v2
	s_and_saveexec_b64 s[38:39], s[28:29]
; %bb.2024:                             ;   in Loop: Header=BB6_356 Depth=4
	v_bfe_u32 v1, v2, 20, 1
	v_add_co_u32_e64 v1, s[28:29], v2, v1
	v_add_co_u32_e64 v7, s[28:29], -1, v1
; %bb.2025:                             ;   in Loop: Header=BB6_356 Depth=4
	s_or_b64 exec, exec, s[38:39]
	v_add_u32_e32 v0, 0xffffff81, v0
	v_mov_b32_e32 v1, 0xffffff82
	v_cndmask_b32_e32 v0, v0, v1, vcc
	v_lshrrev_b32_e32 v1, 23, v2
	v_add3_u32 v8, v39, v0, v1
	v_add_u32_e32 v1, 6, v8
	v_and_b32_e32 v0, 0xfffff, v7
	v_add_u32_e32 v20, v0, v2
	v_cmp_ne_u32_e32 vcc, 0, v1
                                        ; implicit-def: $vgpr2_vgpr3
                                        ; implicit-def: $vgpr0
	s_and_saveexec_b64 s[28:29], vcc
	s_xor_b64 s[28:29], exec, s[28:29]
; %bb.2026:                             ;   in Loop: Header=BB6_356 Depth=4
	v_cmp_lt_u64_e32 vcc, s[88:89], v[20:21]
	v_add_u32_e32 v0, 7, v8
	v_cndmask_b32_e32 v0, v1, v0, vcc
	v_cndmask_b32_e64 v1, 0, 1, vcc
	v_lshrrev_b64 v[2:3], v1, v[20:21]
; %bb.2027:                             ;   in Loop: Header=BB6_356 Depth=4
	s_andn2_saveexec_b64 s[28:29], s[28:29]
; %bb.2028:                             ;   in Loop: Header=BB6_356 Depth=4
	v_mov_b32_e32 v2, v20
	v_bfe_u32 v0, v20, 23, 1
	v_mov_b32_e32 v3, v21
; %bb.2029:                             ;   in Loop: Header=BB6_356 Depth=4
	s_or_b64 exec, exec, s[28:29]
	v_lshrrev_b64 v[1:2], 20, v[2:3]
	v_cmp_gt_i32_e32 vcc, 16, v0
	v_cndmask_b32_e32 v2, 0, v2, vcc
	v_cndmask_b32_e32 v1, 7, v1, vcc
	v_cmp_eq_u32_e32 vcc, 0, v0
	v_min_i32_e32 v0, 15, v0
	v_cmp_eq_u64_e64 s[28:29], 0, v[1:2]
	v_lshlrev_b32_e32 v0, 3, v0
	v_and_b32_e32 v0, 0xf8, v0
	v_and_or_b32 v0, v1, 7, v0
	s_and_b64 s[28:29], vcc, s[28:29]
	v_cndmask_b32_e64 v0, v0, 0, s[28:29]
	v_or_b32_e32 v0, v0, v38
.LBB6_2030:                             ;   in Loop: Header=BB6_356 Depth=4
	s_or_b64 exec, exec, s[36:37]
                                        ; implicit-def: $vgpr38
.LBB6_2031:                             ;   in Loop: Header=BB6_356 Depth=4
	s_andn2_saveexec_b64 s[28:29], s[34:35]
; %bb.2032:                             ;   in Loop: Header=BB6_356 Depth=4
	v_or_b32_e32 v0, 0x7e, v38
; %bb.2033:                             ;   in Loop: Header=BB6_356 Depth=4
	s_or_b64 exec, exec, s[28:29]
                                        ; implicit-def: $vgpr2
.LBB6_2034:                             ;   in Loop: Header=BB6_356 Depth=4
	s_andn2_saveexec_b64 s[28:29], s[30:31]
; %bb.2035:                             ;   in Loop: Header=BB6_356 Depth=4
	v_or_b32_sdwa v0, v2, s81 dst_sel:DWORD dst_unused:UNUSED_PAD src0_sel:BYTE_3 src1_sel:DWORD
; %bb.2036:                             ;   in Loop: Header=BB6_356 Depth=4
	s_or_b64 exec, exec, s[28:29]
	v_mov_b32_e32 v20, v15
	v_cmp_ne_u16_sdwa vcc, v15, v21 src0_sel:BYTE_0 src1_sel:DWORD
	v_mov_b32_e32 v3, 0
	v_mov_b32_e32 v2, 0
	s_and_saveexec_b64 s[28:29], vcc
	s_cbranch_execz .LBB6_2042
; %bb.2037:                             ;   in Loop: Header=BB6_356 Depth=4
	v_cmp_ne_u16_sdwa vcc, v15, s80 src0_sel:BYTE_0 src1_sel:DWORD
	v_bfrev_b32_e32 v2, 1
	s_and_saveexec_b64 s[30:31], vcc
	s_cbranch_execz .LBB6_2041
; %bb.2038:                             ;   in Loop: Header=BB6_356 Depth=4
	v_and_b32_e32 v1, 0x7f, v15
	v_cmp_ne_u32_e32 vcc, s81, v1
	v_mov_b32_e32 v2, 0x7f800001
	s_and_saveexec_b64 s[34:35], vcc
	s_cbranch_execz .LBB6_2040
; %bb.2039:                             ;   in Loop: Header=BB6_356 Depth=4
	v_and_b32_e32 v2, 7, v15
	v_lshrrev_b32_e32 v7, 3, v1
	v_cmp_gt_u32_e32 vcc, 8, v1
	v_ffbh_u32_e32 v1, v2
	v_min_u32_e32 v1, 32, v1
	v_subrev_u32_e32 v2, 28, v1
	v_sub_u32_e32 v1, 29, v1
	v_cndmask_b32_e32 v7, v7, v1, vcc
	v_cndmask_b32_e32 v1, 0, v2, vcc
	v_lshlrev_b64 v[1:2], v1, v[20:21]
	v_lshlrev_b32_e32 v2, 24, v20
	v_lshlrev_b32_e32 v1, 20, v1
	v_bfrev_b32_e32 v8, 60
	v_and_b32_e32 v1, 0x700000, v1
	v_and_b32_e32 v2, 0x80000000, v2
	v_lshl_add_u32 v7, v7, 23, v8
	v_or3_b32 v2, v2, v7, v1
.LBB6_2040:                             ;   in Loop: Header=BB6_356 Depth=4
	s_or_b64 exec, exec, s[34:35]
.LBB6_2041:                             ;   in Loop: Header=BB6_356 Depth=4
	s_or_b64 exec, exec, s[30:31]
.LBB6_2042:                             ;   in Loop: Header=BB6_356 Depth=4
	s_or_b64 exec, exec, s[28:29]
	v_cmp_ne_u16_sdwa vcc, v11, v21 src0_sel:BYTE_0 src1_sel:DWORD
	s_and_saveexec_b64 s[28:29], vcc
	s_cbranch_execz .LBB6_2048
; %bb.2043:                             ;   in Loop: Header=BB6_356 Depth=4
	v_cmp_ne_u16_sdwa vcc, v11, s80 src0_sel:BYTE_0 src1_sel:DWORD
	v_bfrev_b32_e32 v3, 1
	s_and_saveexec_b64 s[30:31], vcc
	s_cbranch_execz .LBB6_2047
; %bb.2044:                             ;   in Loop: Header=BB6_356 Depth=4
	v_and_b32_e32 v1, 0x7f, v11
	v_cmp_ne_u32_e32 vcc, s81, v1
	v_mov_b32_e32 v3, 0x7f800001
	s_and_saveexec_b64 s[34:35], vcc
	s_cbranch_execz .LBB6_2046
; %bb.2045:                             ;   in Loop: Header=BB6_356 Depth=4
	v_and_b32_e32 v3, 7, v11
	v_lshrrev_b32_e32 v24, 3, v1
	v_cmp_gt_u32_e32 vcc, 8, v1
	v_ffbh_u32_e32 v1, v3
	v_min_u32_e32 v1, 32, v1
	v_subrev_u32_e32 v3, 28, v1
	v_mov_b32_e32 v7, v11
	v_mov_b32_e32 v8, v21
	v_sub_u32_e32 v1, 29, v1
	v_cndmask_b32_e32 v3, 0, v3, vcc
	v_cndmask_b32_e32 v1, v24, v1, vcc
	v_lshlrev_b64 v[24:25], v3, v[7:8]
	v_lshlrev_b32_e32 v7, 24, v7
	v_lshlrev_b32_e32 v3, 20, v24
	v_bfrev_b32_e32 v8, 60
	v_and_b32_e32 v3, 0x700000, v3
	v_and_b32_e32 v7, 0x80000000, v7
	v_lshl_add_u32 v1, v1, 23, v8
	v_or3_b32 v3, v7, v1, v3
.LBB6_2046:                             ;   in Loop: Header=BB6_356 Depth=4
	s_or_b64 exec, exec, s[34:35]
.LBB6_2047:                             ;   in Loop: Header=BB6_356 Depth=4
	s_or_b64 exec, exec, s[30:31]
.LBB6_2048:                             ;   in Loop: Header=BB6_356 Depth=4
	s_or_b64 exec, exec, s[28:29]
	v_mul_f32_e32 v2, v2, v3
	v_and_b32_e32 v7, 0x7f800000, v2
	v_mov_b32_e32 v8, v21
	v_cmp_ne_u64_e32 vcc, s[62:63], v[7:8]
                                        ; implicit-def: $vgpr38
	s_and_saveexec_b64 s[28:29], vcc
	s_xor_b64 s[30:31], exec, s[28:29]
	s_cbranch_execz .LBB6_2062
; %bb.2049:                             ;   in Loop: Header=BB6_356 Depth=4
	v_and_b32_e32 v7, 0x7fffffff, v2
	v_mov_b32_e32 v8, v21
	v_cmp_gt_u64_e32 vcc, s[78:79], v[7:8]
	v_and_b32_sdwa v39, v2, s80 dst_sel:DWORD dst_unused:UNUSED_PAD src0_sel:BYTE_3 src1_sel:DWORD
                                        ; implicit-def: $vgpr38
	s_and_saveexec_b64 s[28:29], vcc
	s_xor_b64 s[34:35], exec, s[28:29]
	s_cbranch_execz .LBB6_2059
; %bb.2050:                             ;   in Loop: Header=BB6_356 Depth=4
	v_mov_b32_e32 v38, 0
	v_cmp_ne_u32_e32 vcc, 0, v2
	s_and_saveexec_b64 s[36:37], vcc
	s_cbranch_execz .LBB6_2058
; %bb.2051:                             ;   in Loop: Header=BB6_356 Depth=4
	v_bfe_u32 v38, v2, 23, 8
	v_and_b32_e32 v1, 0x7fffff, v2
	v_cmp_gt_u32_e64 s[28:29], s47, v38
	v_sub_u32_e32 v2, 0x79, v38
	v_cmp_eq_u32_e32 vcc, 0, v38
	v_cndmask_b32_e64 v2, 0, v2, s[28:29]
	v_mov_b32_e32 v7, 0x78
	v_or_b32_e32 v3, 0x800000, v1
	v_cndmask_b32_e32 v50, v2, v7, vcc
	v_cndmask_b32_e32 v1, v3, v1, vcc
	v_add_u32_e32 v3, 20, v50
	v_mov_b32_e32 v2, v21
	v_lshlrev_b64 v[7:8], v3, -1
	v_add_u32_e32 v3, 19, v50
	v_lshlrev_b64 v[24:25], v3, 1
	v_lshrrev_b64 v[2:3], v50, v[1:2]
	v_bfi_b32 v8, v8, 0, 0
	v_bfi_b32 v7, v7, 0, v1
	v_cmp_eq_u64_e64 s[28:29], v[7:8], v[24:25]
	v_mov_b32_e32 v8, v3
	v_mov_b32_e32 v7, v2
	s_and_saveexec_b64 s[38:39], s[28:29]
; %bb.2052:                             ;   in Loop: Header=BB6_356 Depth=4
	v_bfe_u32 v1, v2, 20, 1
	v_add_co_u32_e64 v1, s[28:29], v2, v1
	v_add_co_u32_e64 v7, s[28:29], -1, v1
; %bb.2053:                             ;   in Loop: Header=BB6_356 Depth=4
	s_or_b64 exec, exec, s[38:39]
	v_add_u32_e32 v1, 0xffffff81, v38
	v_mov_b32_e32 v3, 0xffffff82
	v_cndmask_b32_e32 v1, v1, v3, vcc
	v_lshrrev_b32_e32 v3, 23, v2
	v_add3_u32 v38, v50, v1, v3
	v_add_u32_e32 v8, 6, v38
	v_and_b32_e32 v1, 0xfffff, v7
	v_add_u32_e32 v2, v1, v2
	v_mov_b32_e32 v3, v21
	v_cmp_ne_u32_e32 vcc, 0, v8
                                        ; implicit-def: $vgpr1
	s_and_saveexec_b64 s[28:29], vcc
	s_xor_b64 s[28:29], exec, s[28:29]
; %bb.2054:                             ;   in Loop: Header=BB6_356 Depth=4
	v_cmp_lt_u64_e32 vcc, s[88:89], v[2:3]
	v_add_u32_e32 v1, 7, v38
	v_cndmask_b32_e64 v7, 0, 1, vcc
	v_lshrrev_b64 v[2:3], v7, v[2:3]
	v_cndmask_b32_e32 v1, v8, v1, vcc
; %bb.2055:                             ;   in Loop: Header=BB6_356 Depth=4
	s_andn2_saveexec_b64 s[28:29], s[28:29]
; %bb.2056:                             ;   in Loop: Header=BB6_356 Depth=4
	v_bfe_u32 v1, v2, 23, 1
; %bb.2057:                             ;   in Loop: Header=BB6_356 Depth=4
	s_or_b64 exec, exec, s[28:29]
	v_lshrrev_b64 v[2:3], 20, v[2:3]
	v_cmp_gt_i32_e32 vcc, 16, v1
	v_cndmask_b32_e32 v3, 0, v3, vcc
	v_cndmask_b32_e32 v2, 7, v2, vcc
	v_cmp_eq_u32_e32 vcc, 0, v1
	v_min_i32_e32 v1, 15, v1
	v_cmp_eq_u64_e64 s[28:29], 0, v[2:3]
	v_lshlrev_b32_e32 v1, 3, v1
	v_and_b32_e32 v1, 0xf8, v1
	v_and_or_b32 v1, v2, 7, v1
	s_and_b64 s[28:29], vcc, s[28:29]
	v_cndmask_b32_e64 v1, v1, 0, s[28:29]
	v_or_b32_e32 v38, v1, v39
.LBB6_2058:                             ;   in Loop: Header=BB6_356 Depth=4
	s_or_b64 exec, exec, s[36:37]
                                        ; implicit-def: $vgpr39
.LBB6_2059:                             ;   in Loop: Header=BB6_356 Depth=4
	s_andn2_saveexec_b64 s[28:29], s[34:35]
; %bb.2060:                             ;   in Loop: Header=BB6_356 Depth=4
	v_or_b32_e32 v38, 0x7e, v39
; %bb.2061:                             ;   in Loop: Header=BB6_356 Depth=4
	s_or_b64 exec, exec, s[28:29]
                                        ; implicit-def: $vgpr2
.LBB6_2062:                             ;   in Loop: Header=BB6_356 Depth=4
	s_andn2_saveexec_b64 s[28:29], s[30:31]
; %bb.2063:                             ;   in Loop: Header=BB6_356 Depth=4
	v_or_b32_sdwa v38, v2, s81 dst_sel:DWORD dst_unused:UNUSED_PAD src0_sel:BYTE_3 src1_sel:DWORD
; %bb.2064:                             ;   in Loop: Header=BB6_356 Depth=4
	s_or_b64 exec, exec, s[28:29]
	v_lshrrev_b16_e32 v2, 8, v20
	v_cmp_ne_u16_e32 vcc, 0, v2
	v_mov_b32_e32 v3, 0
	v_mov_b32_e32 v7, 0
	s_and_saveexec_b64 s[28:29], vcc
	s_cbranch_execz .LBB6_2070
; %bb.2065:                             ;   in Loop: Header=BB6_356 Depth=4
	v_cmp_ne_u16_e32 vcc, s80, v2
	v_bfrev_b32_e32 v7, 1
	s_and_saveexec_b64 s[30:31], vcc
	s_cbranch_execz .LBB6_2069
; %bb.2066:                             ;   in Loop: Header=BB6_356 Depth=4
	v_and_b32_e32 v1, 0x7f, v2
	v_cmp_ne_u32_e32 vcc, s81, v1
	v_mov_b32_e32 v7, 0x7f800001
	s_and_saveexec_b64 s[34:35], vcc
	s_cbranch_execz .LBB6_2068
; %bb.2067:                             ;   in Loop: Header=BB6_356 Depth=4
	v_and_b32_e32 v7, 7, v2
	v_lshrrev_b32_e32 v8, 3, v1
	v_cmp_gt_u32_e32 vcc, 8, v1
	v_ffbh_u32_e32 v1, v7
	v_min_u32_e32 v24, 32, v1
	v_subrev_u32_e32 v1, 28, v24
	v_lshlrev_b64 v[1:2], v1, v[2:3]
	v_sub_u32_e32 v2, 29, v24
	v_and_b32_e32 v1, 7, v1
	v_cndmask_b32_e32 v2, v8, v2, vcc
	v_cndmask_b32_e32 v1, v7, v1, vcc
	v_lshlrev_b32_e32 v7, 16, v20
	v_bfrev_b32_e32 v8, 60
	v_lshlrev_b32_e32 v1, 20, v1
	v_and_b32_e32 v7, 0x80000000, v7
	v_lshl_add_u32 v2, v2, 23, v8
	v_or3_b32 v7, v7, v2, v1
.LBB6_2068:                             ;   in Loop: Header=BB6_356 Depth=4
	s_or_b64 exec, exec, s[34:35]
.LBB6_2069:                             ;   in Loop: Header=BB6_356 Depth=4
	s_or_b64 exec, exec, s[30:31]
.LBB6_2070:                             ;   in Loop: Header=BB6_356 Depth=4
	s_or_b64 exec, exec, s[28:29]
	v_lshrrev_b16_e32 v2, 8, v11
	v_cmp_ne_u16_e32 vcc, 0, v2
	s_and_saveexec_b64 s[28:29], vcc
	s_cbranch_execz .LBB6_2076
; %bb.2071:                             ;   in Loop: Header=BB6_356 Depth=4
	v_cmp_ne_u16_e32 vcc, s80, v2
	v_bfrev_b32_e32 v3, 1
	s_and_saveexec_b64 s[30:31], vcc
	s_cbranch_execz .LBB6_2075
; %bb.2072:                             ;   in Loop: Header=BB6_356 Depth=4
	v_and_b32_e32 v1, 0x7f, v2
	v_cmp_ne_u32_e32 vcc, s81, v1
	v_mov_b32_e32 v3, 0x7f800001
	s_and_saveexec_b64 s[34:35], vcc
	s_cbranch_execz .LBB6_2074
; %bb.2073:                             ;   in Loop: Header=BB6_356 Depth=4
	v_and_b32_e32 v3, 7, v2
	v_lshrrev_b32_e32 v8, 3, v1
	v_cmp_gt_u32_e32 vcc, 8, v1
	v_ffbh_u32_e32 v1, v3
	v_min_u32_e32 v20, 32, v1
	v_subrev_u32_e32 v1, 28, v20
	v_lshlrev_b64 v[1:2], v1, v[2:3]
	v_sub_u32_e32 v2, 29, v20
	v_and_b32_e32 v1, 7, v1
	v_cndmask_b32_e32 v2, v8, v2, vcc
	v_cndmask_b32_e32 v1, v3, v1, vcc
	v_lshlrev_b32_e32 v3, 16, v11
	v_bfrev_b32_e32 v8, 60
	v_lshlrev_b32_e32 v1, 20, v1
	v_and_b32_e32 v3, 0x80000000, v3
	v_lshl_add_u32 v2, v2, 23, v8
	v_or3_b32 v3, v3, v2, v1
.LBB6_2074:                             ;   in Loop: Header=BB6_356 Depth=4
	s_or_b64 exec, exec, s[34:35]
.LBB6_2075:                             ;   in Loop: Header=BB6_356 Depth=4
	s_or_b64 exec, exec, s[30:31]
.LBB6_2076:                             ;   in Loop: Header=BB6_356 Depth=4
	s_or_b64 exec, exec, s[28:29]
	v_mul_f32_e32 v2, v7, v3
	v_and_b32_e32 v20, 0x7f800000, v2
	v_cmp_ne_u64_e32 vcc, s[62:63], v[20:21]
                                        ; implicit-def: $vgpr39
	s_and_saveexec_b64 s[28:29], vcc
	s_xor_b64 s[30:31], exec, s[28:29]
	s_cbranch_execz .LBB6_2090
; %bb.2077:                             ;   in Loop: Header=BB6_356 Depth=4
	v_and_b32_e32 v20, 0x7fffffff, v2
	v_cmp_gt_u64_e32 vcc, s[78:79], v[20:21]
	v_and_b32_sdwa v50, v2, s80 dst_sel:DWORD dst_unused:UNUSED_PAD src0_sel:BYTE_3 src1_sel:DWORD
                                        ; implicit-def: $vgpr39
	s_and_saveexec_b64 s[28:29], vcc
	s_xor_b64 s[34:35], exec, s[28:29]
	s_cbranch_execz .LBB6_2087
; %bb.2078:                             ;   in Loop: Header=BB6_356 Depth=4
	v_mov_b32_e32 v39, 0
	v_cmp_ne_u32_e32 vcc, 0, v2
	s_and_saveexec_b64 s[36:37], vcc
	s_cbranch_execz .LBB6_2086
; %bb.2079:                             ;   in Loop: Header=BB6_356 Depth=4
	v_bfe_u32 v39, v2, 23, 8
	v_and_b32_e32 v1, 0x7fffff, v2
	v_cmp_gt_u32_e64 s[28:29], s47, v39
	v_sub_u32_e32 v2, 0x79, v39
	v_cmp_eq_u32_e32 vcc, 0, v39
	v_cndmask_b32_e64 v2, 0, v2, s[28:29]
	v_mov_b32_e32 v7, 0x78
	v_or_b32_e32 v3, 0x800000, v1
	v_cndmask_b32_e32 v51, v2, v7, vcc
	v_cndmask_b32_e32 v20, v3, v1, vcc
	v_add_u32_e32 v1, 20, v51
	v_lshlrev_b64 v[1:2], v1, -1
	v_add_u32_e32 v3, 19, v51
	v_lshlrev_b64 v[7:8], v3, 1
	v_bfi_b32 v2, v2, 0, 0
	v_bfi_b32 v1, v1, 0, v20
	v_cmp_eq_u64_e64 s[28:29], v[1:2], v[7:8]
	v_lshrrev_b64 v[2:3], v51, v[20:21]
	v_mov_b32_e32 v8, v3
	v_mov_b32_e32 v7, v2
	s_and_saveexec_b64 s[38:39], s[28:29]
; %bb.2080:                             ;   in Loop: Header=BB6_356 Depth=4
	v_bfe_u32 v1, v2, 20, 1
	v_add_co_u32_e64 v1, s[28:29], v2, v1
	v_add_co_u32_e64 v7, s[28:29], -1, v1
; %bb.2081:                             ;   in Loop: Header=BB6_356 Depth=4
	s_or_b64 exec, exec, s[38:39]
	v_add_u32_e32 v1, 0xffffff81, v39
	v_mov_b32_e32 v3, 0xffffff82
	v_cndmask_b32_e32 v1, v1, v3, vcc
	v_lshrrev_b32_e32 v3, 23, v2
	v_add3_u32 v39, v51, v1, v3
	v_add_u32_e32 v8, 6, v39
	v_and_b32_e32 v1, 0xfffff, v7
	v_add_u32_e32 v20, v1, v2
	v_cmp_ne_u32_e32 vcc, 0, v8
                                        ; implicit-def: $vgpr2_vgpr3
                                        ; implicit-def: $vgpr1
	s_and_saveexec_b64 s[28:29], vcc
	s_xor_b64 s[28:29], exec, s[28:29]
; %bb.2082:                             ;   in Loop: Header=BB6_356 Depth=4
	v_cmp_lt_u64_e32 vcc, s[88:89], v[20:21]
	v_add_u32_e32 v1, 7, v39
	v_cndmask_b32_e64 v2, 0, 1, vcc
	v_lshrrev_b64 v[2:3], v2, v[20:21]
	v_cndmask_b32_e32 v1, v8, v1, vcc
; %bb.2083:                             ;   in Loop: Header=BB6_356 Depth=4
	s_andn2_saveexec_b64 s[28:29], s[28:29]
; %bb.2084:                             ;   in Loop: Header=BB6_356 Depth=4
	v_mov_b32_e32 v2, v20
	v_bfe_u32 v1, v20, 23, 1
	v_mov_b32_e32 v3, v21
; %bb.2085:                             ;   in Loop: Header=BB6_356 Depth=4
	s_or_b64 exec, exec, s[28:29]
	v_lshrrev_b64 v[2:3], 20, v[2:3]
	v_cmp_gt_i32_e32 vcc, 16, v1
	v_cndmask_b32_e32 v3, 0, v3, vcc
	v_cndmask_b32_e32 v2, 7, v2, vcc
	v_cmp_eq_u32_e32 vcc, 0, v1
	v_min_i32_e32 v1, 15, v1
	v_cmp_eq_u64_e64 s[28:29], 0, v[2:3]
	v_lshlrev_b32_e32 v1, 3, v1
	v_and_b32_e32 v1, 0xf8, v1
	v_and_or_b32 v1, v2, 7, v1
	s_and_b64 s[28:29], vcc, s[28:29]
	v_cndmask_b32_e64 v1, v1, 0, s[28:29]
	v_or_b32_e32 v39, v1, v50
.LBB6_2086:                             ;   in Loop: Header=BB6_356 Depth=4
	s_or_b64 exec, exec, s[36:37]
                                        ; implicit-def: $vgpr50
.LBB6_2087:                             ;   in Loop: Header=BB6_356 Depth=4
	s_andn2_saveexec_b64 s[28:29], s[34:35]
; %bb.2088:                             ;   in Loop: Header=BB6_356 Depth=4
	v_or_b32_e32 v39, 0x7e, v50
; %bb.2089:                             ;   in Loop: Header=BB6_356 Depth=4
	s_or_b64 exec, exec, s[28:29]
                                        ; implicit-def: $vgpr2
.LBB6_2090:                             ;   in Loop: Header=BB6_356 Depth=4
	s_andn2_saveexec_b64 s[28:29], s[30:31]
; %bb.2091:                             ;   in Loop: Header=BB6_356 Depth=4
	v_or_b32_sdwa v39, v2, s81 dst_sel:DWORD dst_unused:UNUSED_PAD src0_sel:BYTE_3 src1_sel:DWORD
; %bb.2092:                             ;   in Loop: Header=BB6_356 Depth=4
	s_or_b64 exec, exec, s[28:29]
	v_lshrrev_b32_e32 v2, 16, v15
	v_cmp_ne_u16_sdwa vcc, v2, v21 src0_sel:BYTE_0 src1_sel:DWORD
	v_mov_b32_e32 v3, 0
	v_mov_b32_e32 v7, 0
	s_and_saveexec_b64 s[28:29], vcc
	s_cbranch_execz .LBB6_2098
; %bb.2093:                             ;   in Loop: Header=BB6_356 Depth=4
	v_cmp_ne_u16_sdwa vcc, v2, s80 src0_sel:BYTE_0 src1_sel:DWORD
	v_bfrev_b32_e32 v7, 1
	s_and_saveexec_b64 s[30:31], vcc
	s_cbranch_execz .LBB6_2097
; %bb.2094:                             ;   in Loop: Header=BB6_356 Depth=4
	v_bfe_u32 v1, v15, 16, 7
	v_cmp_ne_u32_e32 vcc, s81, v1
	v_mov_b32_e32 v7, 0x7f800001
	s_and_saveexec_b64 s[34:35], vcc
	s_cbranch_execz .LBB6_2096
; %bb.2095:                             ;   in Loop: Header=BB6_356 Depth=4
	v_and_b32_e32 v20, 7, v2
	v_lshrrev_b32_e32 v24, 3, v1
	v_cmp_gt_u32_e32 vcc, 8, v1
	v_ffbh_u32_e32 v1, v20
	v_min_u32_e32 v1, 32, v1
	v_subrev_u32_e32 v7, 28, v1
	v_lshlrev_b64 v[7:8], v7, v[2:3]
	v_sub_u32_e32 v1, 29, v1
	v_and_b32_e32 v7, 7, v7
	v_cndmask_b32_e32 v1, v24, v1, vcc
	v_cndmask_b32_e32 v7, v20, v7, vcc
	v_lshlrev_b32_e32 v2, 24, v2
	v_bfrev_b32_e32 v8, 60
	v_lshlrev_b32_e32 v7, 20, v7
	v_and_b32_e32 v2, 0x80000000, v2
	v_lshl_add_u32 v1, v1, 23, v8
	v_or3_b32 v7, v2, v1, v7
.LBB6_2096:                             ;   in Loop: Header=BB6_356 Depth=4
	s_or_b64 exec, exec, s[34:35]
.LBB6_2097:                             ;   in Loop: Header=BB6_356 Depth=4
	s_or_b64 exec, exec, s[30:31]
.LBB6_2098:                             ;   in Loop: Header=BB6_356 Depth=4
	s_or_b64 exec, exec, s[28:29]
	v_lshrrev_b32_e32 v2, 16, v11
	v_cmp_ne_u16_sdwa vcc, v2, v21 src0_sel:BYTE_0 src1_sel:DWORD
	s_and_saveexec_b64 s[28:29], vcc
	s_cbranch_execz .LBB6_2104
; %bb.2099:                             ;   in Loop: Header=BB6_356 Depth=4
	v_cmp_ne_u16_sdwa vcc, v2, s80 src0_sel:BYTE_0 src1_sel:DWORD
	v_bfrev_b32_e32 v3, 1
	s_and_saveexec_b64 s[30:31], vcc
	s_cbranch_execz .LBB6_2103
; %bb.2100:                             ;   in Loop: Header=BB6_356 Depth=4
	v_bfe_u32 v1, v11, 16, 7
	v_cmp_ne_u32_e32 vcc, s81, v1
	v_mov_b32_e32 v3, 0x7f800001
	s_and_saveexec_b64 s[34:35], vcc
	s_cbranch_execz .LBB6_2102
; %bb.2101:                             ;   in Loop: Header=BB6_356 Depth=4
	v_and_b32_e32 v3, 7, v2
	v_lshrrev_b32_e32 v8, 3, v1
	v_cmp_gt_u32_e32 vcc, 8, v1
	v_ffbh_u32_e32 v1, v3
	v_min_u32_e32 v20, 32, v1
	v_subrev_u32_e32 v1, 28, v20
	v_lshlrev_b64 v[1:2], v1, v[2:3]
	v_sub_u32_e32 v2, 29, v20
	v_and_b32_e32 v1, 7, v1
	v_cndmask_b32_e32 v2, v8, v2, vcc
	v_cndmask_b32_e32 v1, v3, v1, vcc
	v_lshlrev_b32_e32 v3, 8, v11
	v_bfrev_b32_e32 v8, 60
	v_lshlrev_b32_e32 v1, 20, v1
	v_and_b32_e32 v3, 0x80000000, v3
	v_lshl_add_u32 v2, v2, 23, v8
	v_or3_b32 v3, v3, v2, v1
.LBB6_2102:                             ;   in Loop: Header=BB6_356 Depth=4
	s_or_b64 exec, exec, s[34:35]
.LBB6_2103:                             ;   in Loop: Header=BB6_356 Depth=4
	s_or_b64 exec, exec, s[30:31]
.LBB6_2104:                             ;   in Loop: Header=BB6_356 Depth=4
	s_or_b64 exec, exec, s[28:29]
	v_mul_f32_e32 v2, v7, v3
	v_and_b32_e32 v20, 0x7f800000, v2
	v_cmp_ne_u64_e32 vcc, s[62:63], v[20:21]
                                        ; implicit-def: $vgpr50
	s_and_saveexec_b64 s[28:29], vcc
	s_xor_b64 s[30:31], exec, s[28:29]
	s_cbranch_execz .LBB6_2118
; %bb.2105:                             ;   in Loop: Header=BB6_356 Depth=4
	v_and_b32_e32 v20, 0x7fffffff, v2
	v_cmp_gt_u64_e32 vcc, s[78:79], v[20:21]
	v_and_b32_sdwa v51, v2, s80 dst_sel:DWORD dst_unused:UNUSED_PAD src0_sel:BYTE_3 src1_sel:DWORD
                                        ; implicit-def: $vgpr50
	s_and_saveexec_b64 s[28:29], vcc
	s_xor_b64 s[34:35], exec, s[28:29]
	s_cbranch_execz .LBB6_2115
; %bb.2106:                             ;   in Loop: Header=BB6_356 Depth=4
	v_mov_b32_e32 v50, 0
	v_cmp_ne_u32_e32 vcc, 0, v2
	s_and_saveexec_b64 s[36:37], vcc
	s_cbranch_execz .LBB6_2114
; %bb.2107:                             ;   in Loop: Header=BB6_356 Depth=4
	v_bfe_u32 v50, v2, 23, 8
	v_cmp_gt_u32_e64 s[28:29], s47, v50
	v_sub_u32_e32 v1, 0x79, v50
	v_and_b32_e32 v3, 0x7fffff, v2
	v_cmp_eq_u32_e32 vcc, 0, v50
	v_cndmask_b32_e64 v1, 0, v1, s[28:29]
	v_mov_b32_e32 v7, 0x78
	v_or_b32_e32 v2, 0x800000, v3
	v_cndmask_b32_e32 v1, v1, v7, vcc
	v_cndmask_b32_e32 v20, v2, v3, vcc
	v_add_u32_e32 v2, 20, v1
	v_lshlrev_b64 v[2:3], v2, -1
	v_add_u32_e32 v7, 19, v1
	v_lshlrev_b64 v[7:8], v7, 1
	v_bfi_b32 v3, v3, 0, 0
	v_bfi_b32 v2, v2, 0, v20
	v_cmp_eq_u64_e64 s[28:29], v[2:3], v[7:8]
	v_lshrrev_b64 v[2:3], v1, v[20:21]
	v_mov_b32_e32 v8, v3
	v_mov_b32_e32 v7, v2
	s_and_saveexec_b64 s[38:39], s[28:29]
; %bb.2108:                             ;   in Loop: Header=BB6_356 Depth=4
	v_bfe_u32 v3, v2, 20, 1
	v_add_co_u32_e64 v3, s[28:29], v2, v3
	v_add_co_u32_e64 v7, s[28:29], -1, v3
; %bb.2109:                             ;   in Loop: Header=BB6_356 Depth=4
	s_or_b64 exec, exec, s[38:39]
	v_add_u32_e32 v3, 0xffffff81, v50
	v_mov_b32_e32 v8, 0xffffff82
	v_cndmask_b32_e32 v3, v3, v8, vcc
	v_lshrrev_b32_e32 v8, 23, v2
	v_add3_u32 v50, v1, v3, v8
	v_add_u32_e32 v8, 6, v50
	v_and_b32_e32 v1, 0xfffff, v7
	v_add_u32_e32 v20, v1, v2
	v_cmp_ne_u32_e32 vcc, 0, v8
                                        ; implicit-def: $vgpr2_vgpr3
                                        ; implicit-def: $vgpr1
	s_and_saveexec_b64 s[28:29], vcc
	s_xor_b64 s[28:29], exec, s[28:29]
; %bb.2110:                             ;   in Loop: Header=BB6_356 Depth=4
	v_cmp_lt_u64_e32 vcc, s[88:89], v[20:21]
	v_add_u32_e32 v1, 7, v50
	v_cndmask_b32_e64 v2, 0, 1, vcc
	v_lshrrev_b64 v[2:3], v2, v[20:21]
	v_cndmask_b32_e32 v1, v8, v1, vcc
; %bb.2111:                             ;   in Loop: Header=BB6_356 Depth=4
	s_andn2_saveexec_b64 s[28:29], s[28:29]
; %bb.2112:                             ;   in Loop: Header=BB6_356 Depth=4
	v_mov_b32_e32 v2, v20
	v_bfe_u32 v1, v20, 23, 1
	v_mov_b32_e32 v3, v21
; %bb.2113:                             ;   in Loop: Header=BB6_356 Depth=4
	s_or_b64 exec, exec, s[28:29]
	v_lshrrev_b64 v[2:3], 20, v[2:3]
	v_cmp_gt_i32_e32 vcc, 16, v1
	v_cndmask_b32_e32 v3, 0, v3, vcc
	v_cndmask_b32_e32 v2, 7, v2, vcc
	v_cmp_eq_u32_e32 vcc, 0, v1
	v_min_i32_e32 v1, 15, v1
	v_cmp_eq_u64_e64 s[28:29], 0, v[2:3]
	v_lshlrev_b32_e32 v1, 3, v1
	v_and_b32_e32 v1, 0xf8, v1
	v_and_or_b32 v1, v2, 7, v1
	s_and_b64 s[28:29], vcc, s[28:29]
	v_cndmask_b32_e64 v1, v1, 0, s[28:29]
	v_or_b32_e32 v50, v1, v51
.LBB6_2114:                             ;   in Loop: Header=BB6_356 Depth=4
	s_or_b64 exec, exec, s[36:37]
                                        ; implicit-def: $vgpr51
.LBB6_2115:                             ;   in Loop: Header=BB6_356 Depth=4
	s_andn2_saveexec_b64 s[28:29], s[34:35]
; %bb.2116:                             ;   in Loop: Header=BB6_356 Depth=4
	v_or_b32_e32 v50, 0x7e, v51
; %bb.2117:                             ;   in Loop: Header=BB6_356 Depth=4
	s_or_b64 exec, exec, s[28:29]
                                        ; implicit-def: $vgpr2
.LBB6_2118:                             ;   in Loop: Header=BB6_356 Depth=4
	s_andn2_saveexec_b64 s[28:29], s[30:31]
; %bb.2119:                             ;   in Loop: Header=BB6_356 Depth=4
	v_or_b32_sdwa v50, v2, s81 dst_sel:DWORD dst_unused:UNUSED_PAD src0_sel:BYTE_3 src1_sel:DWORD
; %bb.2120:                             ;   in Loop: Header=BB6_356 Depth=4
	s_or_b64 exec, exec, s[28:29]
	v_cmp_lt_u64_e32 vcc, s[56:57], v[14:15]
	v_mov_b32_e32 v3, 0
	v_mov_b32_e32 v7, 0
	s_and_saveexec_b64 s[28:29], vcc
	s_cbranch_execz .LBB6_2126
; %bb.2121:                             ;   in Loop: Header=BB6_356 Depth=4
	v_lshrrev_b32_e32 v2, 24, v15
	v_cmp_ne_u32_e32 vcc, s80, v2
	v_bfrev_b32_e32 v7, 1
	s_and_saveexec_b64 s[30:31], vcc
	s_cbranch_execz .LBB6_2125
; %bb.2122:                             ;   in Loop: Header=BB6_356 Depth=4
	v_bfe_u32 v1, v15, 24, 7
	v_cmp_ne_u32_e32 vcc, s81, v1
	v_mov_b32_e32 v7, 0x7f800001
	s_and_saveexec_b64 s[34:35], vcc
	s_cbranch_execz .LBB6_2124
; %bb.2123:                             ;   in Loop: Header=BB6_356 Depth=4
	v_and_b32_e32 v14, 7, v2
	v_lshrrev_b32_e32 v15, 3, v1
	v_cmp_gt_u32_e32 vcc, 8, v1
	v_ffbh_u32_e32 v1, v14
	v_min_u32_e32 v1, 32, v1
	v_subrev_u32_e32 v7, 28, v1
	v_lshlrev_b64 v[7:8], v7, v[2:3]
	v_sub_u32_e32 v1, 29, v1
	v_and_b32_e32 v7, 7, v7
	v_cndmask_b32_e32 v1, v15, v1, vcc
	v_cndmask_b32_e32 v7, v14, v7, vcc
	v_lshlrev_b32_e32 v2, 24, v2
	v_bfrev_b32_e32 v8, 60
	v_lshlrev_b32_e32 v7, 20, v7
	v_and_b32_e32 v2, 0x80000000, v2
	v_lshl_add_u32 v1, v1, 23, v8
	v_or3_b32 v7, v2, v1, v7
.LBB6_2124:                             ;   in Loop: Header=BB6_356 Depth=4
	s_or_b64 exec, exec, s[34:35]
.LBB6_2125:                             ;   in Loop: Header=BB6_356 Depth=4
	s_or_b64 exec, exec, s[30:31]
.LBB6_2126:                             ;   in Loop: Header=BB6_356 Depth=4
	s_or_b64 exec, exec, s[28:29]
	v_cmp_lt_u64_e32 vcc, s[56:57], v[10:11]
	s_and_saveexec_b64 s[28:29], vcc
	s_cbranch_execz .LBB6_2132
; %bb.2127:                             ;   in Loop: Header=BB6_356 Depth=4
	v_lshrrev_b32_e32 v2, 24, v11
	v_cmp_ne_u32_e32 vcc, s80, v2
	v_bfrev_b32_e32 v3, 1
	s_and_saveexec_b64 s[30:31], vcc
	s_cbranch_execz .LBB6_2131
; %bb.2128:                             ;   in Loop: Header=BB6_356 Depth=4
	v_bfe_u32 v1, v11, 24, 7
	v_cmp_ne_u32_e32 vcc, s81, v1
	v_mov_b32_e32 v3, 0x7f800001
	s_and_saveexec_b64 s[34:35], vcc
	s_cbranch_execz .LBB6_2130
; %bb.2129:                             ;   in Loop: Header=BB6_356 Depth=4
	v_and_b32_e32 v3, 7, v2
	v_lshrrev_b32_e32 v8, 3, v1
	v_cmp_gt_u32_e32 vcc, 8, v1
	v_ffbh_u32_e32 v1, v3
	v_min_u32_e32 v1, 32, v1
	v_subrev_u32_e32 v10, 28, v1
	v_lshlrev_b64 v[10:11], v10, v[2:3]
	v_sub_u32_e32 v1, 29, v1
	v_and_b32_e32 v10, 7, v10
	v_cndmask_b32_e32 v1, v8, v1, vcc
	v_cndmask_b32_e32 v3, v3, v10, vcc
	v_lshlrev_b32_e32 v2, 24, v2
	v_bfrev_b32_e32 v8, 60
	v_lshlrev_b32_e32 v3, 20, v3
	v_and_b32_e32 v2, 0x80000000, v2
	v_lshl_add_u32 v1, v1, 23, v8
	v_or3_b32 v3, v2, v1, v3
.LBB6_2130:                             ;   in Loop: Header=BB6_356 Depth=4
	s_or_b64 exec, exec, s[34:35]
.LBB6_2131:                             ;   in Loop: Header=BB6_356 Depth=4
	s_or_b64 exec, exec, s[30:31]
.LBB6_2132:                             ;   in Loop: Header=BB6_356 Depth=4
	s_or_b64 exec, exec, s[28:29]
	v_mul_f32_e32 v3, v7, v3
	v_and_b32_e32 v20, 0x7f800000, v3
	v_cmp_ne_u64_e32 vcc, s[62:63], v[20:21]
                                        ; implicit-def: $vgpr2
	s_and_saveexec_b64 s[28:29], vcc
	s_xor_b64 s[30:31], exec, s[28:29]
	s_cbranch_execz .LBB6_2146
; %bb.2133:                             ;   in Loop: Header=BB6_356 Depth=4
	v_and_b32_e32 v20, 0x7fffffff, v3
	v_cmp_gt_u64_e32 vcc, s[78:79], v[20:21]
	v_and_b32_sdwa v10, v3, s80 dst_sel:DWORD dst_unused:UNUSED_PAD src0_sel:BYTE_3 src1_sel:DWORD
                                        ; implicit-def: $vgpr2
	s_and_saveexec_b64 s[28:29], vcc
	s_xor_b64 s[34:35], exec, s[28:29]
	s_cbranch_execz .LBB6_2143
; %bb.2134:                             ;   in Loop: Header=BB6_356 Depth=4
	v_mov_b32_e32 v2, 0
	v_cmp_ne_u32_e32 vcc, 0, v3
	s_and_saveexec_b64 s[36:37], vcc
	s_cbranch_execz .LBB6_2142
; %bb.2135:                             ;   in Loop: Header=BB6_356 Depth=4
	v_bfe_u32 v11, v3, 23, 8
	v_cmp_gt_u32_e64 s[28:29], s47, v11
	v_sub_u32_e32 v1, 0x79, v11
	v_and_b32_e32 v2, 0x7fffff, v3
	v_cmp_eq_u32_e32 vcc, 0, v11
	v_cndmask_b32_e64 v1, 0, v1, s[28:29]
	v_mov_b32_e32 v7, 0x78
	v_or_b32_e32 v3, 0x800000, v2
	v_cndmask_b32_e32 v1, v1, v7, vcc
	v_cndmask_b32_e32 v20, v3, v2, vcc
	v_add_u32_e32 v2, 20, v1
	v_lshlrev_b64 v[2:3], v2, -1
	v_add_u32_e32 v7, 19, v1
	v_lshlrev_b64 v[7:8], v7, 1
	v_bfi_b32 v3, v3, 0, 0
	v_bfi_b32 v2, v2, 0, v20
	v_cmp_eq_u64_e64 s[28:29], v[2:3], v[7:8]
	v_lshrrev_b64 v[2:3], v1, v[20:21]
	v_mov_b32_e32 v8, v3
	v_mov_b32_e32 v7, v2
	s_and_saveexec_b64 s[38:39], s[28:29]
; %bb.2136:                             ;   in Loop: Header=BB6_356 Depth=4
	v_bfe_u32 v3, v2, 20, 1
	v_add_co_u32_e64 v3, s[28:29], v2, v3
	v_add_co_u32_e64 v7, s[28:29], -1, v3
; %bb.2137:                             ;   in Loop: Header=BB6_356 Depth=4
	s_or_b64 exec, exec, s[38:39]
	v_add_u32_e32 v3, 0xffffff81, v11
	v_mov_b32_e32 v8, 0xffffff82
	v_cndmask_b32_e32 v3, v3, v8, vcc
	v_lshrrev_b32_e32 v8, 23, v2
	v_add3_u32 v11, v1, v3, v8
	v_add_u32_e32 v8, 6, v11
	v_and_b32_e32 v1, 0xfffff, v7
	v_add_u32_e32 v20, v1, v2
	v_cmp_ne_u32_e32 vcc, 0, v8
                                        ; implicit-def: $vgpr2_vgpr3
                                        ; implicit-def: $vgpr1
	s_and_saveexec_b64 s[28:29], vcc
	s_xor_b64 s[28:29], exec, s[28:29]
; %bb.2138:                             ;   in Loop: Header=BB6_356 Depth=4
	v_cmp_lt_u64_e32 vcc, s[88:89], v[20:21]
	v_add_u32_e32 v1, 7, v11
	v_cndmask_b32_e64 v2, 0, 1, vcc
	v_lshrrev_b64 v[2:3], v2, v[20:21]
	v_cndmask_b32_e32 v1, v8, v1, vcc
; %bb.2139:                             ;   in Loop: Header=BB6_356 Depth=4
	s_andn2_saveexec_b64 s[28:29], s[28:29]
; %bb.2140:                             ;   in Loop: Header=BB6_356 Depth=4
	v_mov_b32_e32 v2, v20
	v_bfe_u32 v1, v20, 23, 1
	v_mov_b32_e32 v3, v21
; %bb.2141:                             ;   in Loop: Header=BB6_356 Depth=4
	s_or_b64 exec, exec, s[28:29]
	v_lshrrev_b64 v[2:3], 20, v[2:3]
	v_cmp_gt_i32_e32 vcc, 16, v1
	v_cndmask_b32_e32 v3, 0, v3, vcc
	v_cndmask_b32_e32 v2, 7, v2, vcc
	v_cmp_eq_u32_e32 vcc, 0, v1
	v_min_i32_e32 v1, 15, v1
	v_cmp_eq_u64_e64 s[28:29], 0, v[2:3]
	v_lshlrev_b32_e32 v1, 3, v1
	v_and_b32_e32 v1, 0xf8, v1
	v_and_or_b32 v1, v2, 7, v1
	s_and_b64 s[28:29], vcc, s[28:29]
	v_cndmask_b32_e64 v1, v1, 0, s[28:29]
	v_or_b32_e32 v2, v1, v10
.LBB6_2142:                             ;   in Loop: Header=BB6_356 Depth=4
	s_or_b64 exec, exec, s[36:37]
                                        ; implicit-def: $vgpr10
.LBB6_2143:                             ;   in Loop: Header=BB6_356 Depth=4
	s_andn2_saveexec_b64 s[28:29], s[34:35]
; %bb.2144:                             ;   in Loop: Header=BB6_356 Depth=4
	v_or_b32_e32 v2, 0x7e, v10
; %bb.2145:                             ;   in Loop: Header=BB6_356 Depth=4
	s_or_b64 exec, exec, s[28:29]
                                        ; implicit-def: $vgpr3
.LBB6_2146:                             ;   in Loop: Header=BB6_356 Depth=4
	s_andn2_saveexec_b64 s[28:29], s[30:31]
	s_cbranch_execz .LBB6_355
; %bb.2147:                             ;   in Loop: Header=BB6_356 Depth=4
	v_or_b32_sdwa v2, v3, s81 dst_sel:DWORD dst_unused:UNUSED_PAD src0_sel:BYTE_3 src1_sel:DWORD
	s_branch .LBB6_355
.LBB6_2148:                             ;   in Loop: Header=BB6_274 Depth=3
	s_or_b64 exec, exec, s[94:95]
	buffer_load_dword v52, off, s[0:3], s33 offset:320 ; 4-byte Folded Reload
	buffer_load_dword v53, off, s[0:3], s33 offset:296 ; 4-byte Folded Reload
	;; [unrolled: 1-line block ×12, first 2 shown]
.LBB6_2149:                             ;   in Loop: Header=BB6_274 Depth=3
	s_or_b64 exec, exec, s[40:41]
	s_waitcnt vmcnt(0)
	v_lshlrev_b32_e32 v0, 12, v1
	v_cmp_ne_u32_e32 vcc, v54, v0
	s_mov_b64 s[28:29], 0
	v_mov_b32_e32 v7, 0
                                        ; implicit-def: $vgpr8
                                        ; implicit-def: $vgpr9
                                        ; implicit-def: $vgpr2
	s_and_saveexec_b64 s[94:95], vcc
	s_cbranch_execz .LBB6_2605
; %bb.2150:                             ;   in Loop: Header=BB6_274 Depth=3
	buffer_load_dword v2, off, s[0:3], s33 offset:332 ; 4-byte Folded Reload
	v_lshlrev_b32_e32 v1, 6, v5
	v_sub_u32_e32 v3, v54, v0
	v_ashrrev_i32_e32 v4, 31, v3
	v_lshrrev_b32_e32 v4, 22, v4
	v_add_u32_e32 v4, v3, v4
	v_ashrrev_i32_e32 v7, 10, v4
	v_and_b32_e32 v4, 0xfffffc00, v4
	v_sub_u32_e32 v6, v3, v4
	v_cmp_lt_i32_e32 vcc, 15, v6
	s_waitcnt vmcnt(0)
	v_sub_u32_e32 v1, v2, v1
	v_ashrrev_i32_e32 v2, 31, v1
	v_lshrrev_b32_e32 v2, 26, v2
	v_add_u32_e32 v2, v1, v2
	v_ashrrev_i32_e32 v5, 6, v2
	v_and_b32_e32 v2, 0xffffffc0, v2
	v_sub_u32_e32 v1, v1, v2
	v_lshlrev_b32_e32 v2, 4, v1
	v_lshl_add_u32 v2, v5, 10, v2
	v_sub_u32_e32 v28, v3, v2
	v_addc_co_u32_e64 v3, s[28:29], 0, v7, vcc
	v_sub_u32_e32 v5, v3, v5
	v_cmp_lt_i32_e64 s[28:29], 15, v28
	s_and_saveexec_b64 s[30:31], s[28:29]
	s_cbranch_execz .LBB6_2602
; %bb.2151:                             ;   in Loop: Header=BB6_274 Depth=3
	v_add_u32_e32 v7, v2, v0
	s_trap 2
	ds_read_b64 v[2:3], v0
	v_ashrrev_i32_e32 v8, 31, v7
	v_add_co_u32_e64 v16, s[28:29], v7, v44
	v_addc_co_u32_e64 v17, s[28:29], v8, v45, s[28:29]
	s_waitcnt lgkmcnt(0)
	v_add_co_u32_e64 v18, s[28:29], v2, v7
	v_addc_co_u32_e64 v19, s[28:29], v3, v8, s[28:29]
	v_add_co_u32_e64 v24, s[28:29], v7, v42
	v_addc_co_u32_e64 v25, s[28:29], v8, v43, s[28:29]
	s_mov_b64 s[34:35], 0
	s_branch .LBB6_2153
.LBB6_2152:                             ;   in Loop: Header=BB6_2153 Depth=4
	s_or_b64 exec, exec, s[28:29]
	v_lshl_or_b32 v3, v27, 8, v26
	v_lshlrev_b32_e32 v7, 16, v22
	v_lshlrev_b32_e32 v8, 24, v23
	v_or3_b32 v49, v3, v7, v8
	v_lshl_or_b32 v3, v30, 8, v29
	v_lshlrev_b32_e32 v7, 16, v31
	v_lshlrev_b32_e32 v8, 24, v32
	v_or3_b32 v48, v3, v7, v8
	;; [unrolled: 4-line block ×3, first 2 shown]
	v_lshlrev_b32_e32 v2, 24, v2
	v_lshlrev_b32_e32 v3, 16, v13
	v_lshl_or_b32 v7, v12, 8, v9
	v_or3_b32 v51, v7, v3, v2
	buffer_load_dword v2, off, s[0:3], s33 offset:236 ; 4-byte Folded Reload
	s_nop 0
	global_store_dwordx4 v[24:25], v[48:51], off glc slc
	buffer_load_dword v49, off, s[0:3], s33 offset:92 ; 4-byte Folded Reload
	s_waitcnt vmcnt(2)
	v_add_co_u32_e64 v16, s[28:29], v16, v2
	v_addc_co_u32_e64 v17, s[28:29], 0, v17, s[28:29]
	v_add_co_u32_e64 v18, s[28:29], v18, v2
	v_addc_co_u32_e64 v19, s[28:29], 0, v19, s[28:29]
	v_add_co_u32_e64 v24, s[28:29], v24, v2
	v_addc_co_u32_e64 v25, s[28:29], 0, v25, s[28:29]
	v_sub_u32_e32 v28, v28, v2
	v_cmp_gt_i32_e64 s[28:29], 16, v28
	s_or_b64 s[34:35], s[28:29], s[34:35]
	s_waitcnt vmcnt(0)
	v_sub_u32_e32 v5, v5, v49
	s_andn2_b64 exec, exec, s[34:35]
	s_cbranch_execz .LBB6_2601
.LBB6_2153:                             ;   Parent Loop BB6_47 Depth=1
                                        ;     Parent Loop BB6_271 Depth=2
                                        ;       Parent Loop BB6_274 Depth=3
                                        ; =>      This Inner Loop Header: Depth=4
	global_load_dwordx4 v[12:15], v[16:17], off glc slc
	global_load_dwordx4 v[8:11], v[18:19], off glc slc
	v_mov_b32_e32 v2, 0
	s_waitcnt vmcnt(1)
	v_cmp_ne_u16_sdwa s[28:29], v12, v21 src0_sel:BYTE_0 src1_sel:DWORD
	s_and_saveexec_b64 s[40:41], s[28:29]
	s_cbranch_execz .LBB6_2159
; %bb.2154:                             ;   in Loop: Header=BB6_2153 Depth=4
	v_cmp_ne_u16_sdwa s[28:29], v12, s80 src0_sel:BYTE_0 src1_sel:DWORD
	v_bfrev_b32_e32 v2, 1
	s_and_saveexec_b64 s[36:37], s[28:29]
	s_cbranch_execz .LBB6_2158
; %bb.2155:                             ;   in Loop: Header=BB6_2153 Depth=4
	v_and_b32_e32 v3, 0x7f, v12
	v_cmp_ne_u32_e64 s[28:29], s81, v3
	v_mov_b32_e32 v2, 0x7f800001
	s_and_saveexec_b64 s[38:39], s[28:29]
	s_cbranch_execz .LBB6_2157
; %bb.2156:                             ;   in Loop: Header=BB6_2153 Depth=4
	v_and_b32_e32 v2, 7, v12
	v_ffbh_u32_e32 v2, v2
	v_min_u32_e32 v2, 32, v2
	v_lshrrev_b32_e32 v7, 3, v3
	v_cmp_gt_u32_e64 s[28:29], 8, v3
	v_subrev_u32_e32 v3, 28, v2
	v_sub_u32_e32 v2, 29, v2
	v_cndmask_b32_e64 v7, v7, v2, s[28:29]
	v_cndmask_b32_e64 v2, 0, v3, s[28:29]
	v_lshlrev_b64 v[2:3], v2, v[12:13]
	v_lshlrev_b32_e32 v3, 24, v12
	v_lshlrev_b32_e32 v2, 20, v2
	v_bfrev_b32_e32 v20, 60
	v_and_b32_e32 v2, 0x700000, v2
	v_and_b32_e32 v3, 0x80000000, v3
	v_lshl_add_u32 v7, v7, 23, v20
	v_or3_b32 v2, v3, v7, v2
.LBB6_2157:                             ;   in Loop: Header=BB6_2153 Depth=4
	s_or_b64 exec, exec, s[38:39]
.LBB6_2158:                             ;   in Loop: Header=BB6_2153 Depth=4
	s_or_b64 exec, exec, s[36:37]
.LBB6_2159:                             ;   in Loop: Header=BB6_2153 Depth=4
	s_or_b64 exec, exec, s[40:41]
	s_waitcnt vmcnt(0)
	v_cmp_gt_i16_sdwa s[40:41], v8, s81 src0_sel:BYTE_0 src1_sel:DWORD
	s_mov_b64 s[28:29], 0
	s_and_saveexec_b64 s[36:37], s[40:41]
	s_xor_b64 s[40:41], exec, s[36:37]
	s_cbranch_execz .LBB6_2581
; %bb.2160:                             ;   in Loop: Header=BB6_2153 Depth=4
	v_cmp_eq_u16_sdwa s[38:39], v8, s80 src0_sel:BYTE_0 src1_sel:DWORD
	s_mov_b64 s[28:29], -1
	s_and_saveexec_b64 s[36:37], s[38:39]
; %bb.2161:                             ;   in Loop: Header=BB6_2153 Depth=4
	s_xor_b64 s[28:29], exec, -1
; %bb.2162:                             ;   in Loop: Header=BB6_2153 Depth=4
	s_or_b64 exec, exec, s[36:37]
	s_and_b64 s[28:29], s[28:29], exec
	s_or_saveexec_b64 s[40:41], s[40:41]
	v_bfrev_b32_e32 v3, 1
	s_xor_b64 exec, exec, s[40:41]
	s_cbranch_execnz .LBB6_2582
.LBB6_2163:                             ;   in Loop: Header=BB6_2153 Depth=4
	s_or_b64 exec, exec, s[40:41]
	s_and_saveexec_b64 s[40:41], s[28:29]
	s_cbranch_execz .LBB6_2165
.LBB6_2164:                             ;   in Loop: Header=BB6_2153 Depth=4
	v_and_b32_e32 v3, 7, v8
	v_ffbh_u32_e32 v3, v3
	v_and_b32_e32 v7, 0x7f, v8
	v_min_u32_e32 v3, 32, v3
	v_bfe_u32 v20, v8, 3, 4
	v_subrev_u32_e32 v22, 28, v3
	v_sub_u32_e32 v3, 29, v3
	v_cmp_gt_u32_e64 s[28:29], 8, v7
	v_cndmask_b32_e64 v3, v20, v3, s[28:29]
	v_cndmask_b32_e64 v20, 0, v22, s[28:29]
	v_lshlrev_b64 v[22:23], v20, v[8:9]
	v_bfrev_b32_e32 v23, 60
	v_lshlrev_b32_e32 v20, 20, v22
	v_lshlrev_b32_e32 v22, 24, v8
	v_and_b32_e32 v20, 0x700000, v20
	v_and_b32_e32 v22, 0x80000000, v22
	v_lshl_add_u32 v3, v3, 23, v23
	v_or3_b32 v3, v22, v3, v20
	v_cmp_ne_u32_e64 s[28:29], s81, v7
	v_mov_b32_e32 v7, 0x7f800001
	v_cndmask_b32_e64 v3, v7, v3, s[28:29]
.LBB6_2165:                             ;   in Loop: Header=BB6_2153 Depth=4
	s_or_b64 exec, exec, s[40:41]
	v_mul_f32_e32 v2, v2, v3
	v_and_b32_e32 v20, 0x7f800000, v2
	v_cmp_ne_u64_e64 s[28:29], s[62:63], v[20:21]
                                        ; implicit-def: $vgpr29
	s_and_saveexec_b64 s[40:41], s[28:29]
	s_xor_b64 s[36:37], exec, s[40:41]
	s_cbranch_execz .LBB6_2179
; %bb.2166:                             ;   in Loop: Header=BB6_2153 Depth=4
	v_and_b32_e32 v20, 0x7fffffff, v2
	v_cmp_gt_u64_e64 s[28:29], s[78:79], v[20:21]
	v_and_b32_sdwa v7, v2, s80 dst_sel:DWORD dst_unused:UNUSED_PAD src0_sel:BYTE_3 src1_sel:DWORD
                                        ; implicit-def: $vgpr29
	s_and_saveexec_b64 s[40:41], s[28:29]
	s_xor_b64 s[38:39], exec, s[40:41]
	s_cbranch_execz .LBB6_2176
; %bb.2167:                             ;   in Loop: Header=BB6_2153 Depth=4
	v_mov_b32_e32 v29, 0
	v_cmp_ne_u32_e64 s[28:29], 0, v2
	s_and_saveexec_b64 s[48:49], s[28:29]
	s_cbranch_execz .LBB6_2175
; %bb.2168:                             ;   in Loop: Header=BB6_2153 Depth=4
	v_bfe_u32 v26, v2, 23, 8
	v_and_b32_e32 v3, 0x7fffff, v2
	v_cmp_gt_u32_e64 s[40:41], s47, v26
	v_sub_u32_e32 v2, 0x79, v26
	v_cmp_eq_u32_e64 s[28:29], 0, v26
	v_cndmask_b32_e64 v2, 0, v2, s[40:41]
	v_mov_b32_e32 v22, 0x78
	v_cndmask_b32_e64 v27, v2, v22, s[28:29]
	v_or_b32_e32 v20, 0x800000, v3
	v_add_u32_e32 v2, 20, v27
	v_cndmask_b32_e64 v20, v20, v3, s[28:29]
	v_lshlrev_b64 v[2:3], v2, -1
	v_add_u32_e32 v22, 19, v27
	v_lshlrev_b64 v[22:23], v22, 1
	v_bfi_b32 v3, v3, 0, 0
	v_bfi_b32 v2, v2, 0, v20
	v_cmp_eq_u64_e64 s[40:41], v[2:3], v[22:23]
	v_lshrrev_b64 v[2:3], v27, v[20:21]
	v_mov_b32_e32 v23, v3
	v_mov_b32_e32 v22, v2
	s_and_saveexec_b64 s[50:51], s[40:41]
; %bb.2169:                             ;   in Loop: Header=BB6_2153 Depth=4
	v_bfe_u32 v3, v2, 20, 1
	v_add_co_u32_e64 v3, s[40:41], v2, v3
	v_add_co_u32_e64 v22, s[40:41], -1, v3
; %bb.2170:                             ;   in Loop: Header=BB6_2153 Depth=4
	s_or_b64 exec, exec, s[50:51]
	v_add_u32_e32 v3, 0xffffff81, v26
	v_mov_b32_e32 v20, 0xffffff82
	v_cndmask_b32_e64 v3, v3, v20, s[28:29]
	v_lshrrev_b32_e32 v20, 23, v2
	v_add3_u32 v26, v27, v3, v20
	v_add_u32_e32 v23, 6, v26
	v_and_b32_e32 v3, 0xfffff, v22
	v_add_u32_e32 v20, v3, v2
	v_cmp_ne_u32_e64 s[28:29], 0, v23
                                        ; implicit-def: $vgpr2_vgpr3
                                        ; implicit-def: $vgpr22
	s_and_saveexec_b64 s[40:41], s[28:29]
	s_xor_b64 s[40:41], exec, s[40:41]
; %bb.2171:                             ;   in Loop: Header=BB6_2153 Depth=4
	v_cmp_lt_u64_e64 s[28:29], s[88:89], v[20:21]
	v_add_u32_e32 v2, 7, v26
	v_cndmask_b32_e64 v22, v23, v2, s[28:29]
	v_cndmask_b32_e64 v2, 0, 1, s[28:29]
	v_lshrrev_b64 v[2:3], v2, v[20:21]
; %bb.2172:                             ;   in Loop: Header=BB6_2153 Depth=4
	s_andn2_saveexec_b64 s[28:29], s[40:41]
; %bb.2173:                             ;   in Loop: Header=BB6_2153 Depth=4
	v_mov_b32_e32 v2, v20
	v_bfe_u32 v22, v20, 23, 1
	v_mov_b32_e32 v3, v21
; %bb.2174:                             ;   in Loop: Header=BB6_2153 Depth=4
	s_or_b64 exec, exec, s[28:29]
	v_lshrrev_b64 v[2:3], 20, v[2:3]
	v_cmp_gt_i32_e64 s[28:29], 16, v22
	v_cndmask_b32_e64 v3, 0, v3, s[28:29]
	v_cndmask_b32_e64 v2, 7, v2, s[28:29]
	v_cmp_eq_u64_e64 s[40:41], 0, v[2:3]
	v_min_i32_e32 v3, 15, v22
	v_lshlrev_b32_e32 v3, 3, v3
	v_cmp_eq_u32_e64 s[28:29], 0, v22
	v_and_b32_e32 v3, 0xf8, v3
	v_and_or_b32 v2, v2, 7, v3
	s_and_b64 s[28:29], s[28:29], s[40:41]
	v_cndmask_b32_e64 v2, v2, 0, s[28:29]
	v_or_b32_e32 v29, v2, v7
.LBB6_2175:                             ;   in Loop: Header=BB6_2153 Depth=4
	s_or_b64 exec, exec, s[48:49]
                                        ; implicit-def: $vgpr7
.LBB6_2176:                             ;   in Loop: Header=BB6_2153 Depth=4
	s_andn2_saveexec_b64 s[28:29], s[38:39]
; %bb.2177:                             ;   in Loop: Header=BB6_2153 Depth=4
	v_or_b32_e32 v29, 0x7e, v7
; %bb.2178:                             ;   in Loop: Header=BB6_2153 Depth=4
	s_or_b64 exec, exec, s[28:29]
                                        ; implicit-def: $vgpr2
.LBB6_2179:                             ;   in Loop: Header=BB6_2153 Depth=4
	s_andn2_saveexec_b64 s[28:29], s[36:37]
; %bb.2180:                             ;   in Loop: Header=BB6_2153 Depth=4
	v_or_b32_sdwa v29, v2, s81 dst_sel:DWORD dst_unused:UNUSED_PAD src0_sel:BYTE_3 src1_sel:DWORD
; %bb.2181:                             ;   in Loop: Header=BB6_2153 Depth=4
	s_or_b64 exec, exec, s[28:29]
	v_lshrrev_b16_e32 v2, 8, v12
	v_cmp_ne_u16_e64 s[28:29], 0, v2
	v_mov_b32_e32 v3, 0
	s_and_saveexec_b64 s[40:41], s[28:29]
	s_cbranch_execz .LBB6_2187
; %bb.2182:                             ;   in Loop: Header=BB6_2153 Depth=4
	v_cmp_ne_u16_e64 s[28:29], s80, v2
	v_bfrev_b32_e32 v3, 1
	s_and_saveexec_b64 s[36:37], s[28:29]
	s_cbranch_execz .LBB6_2186
; %bb.2183:                             ;   in Loop: Header=BB6_2153 Depth=4
	v_and_b32_e32 v7, 0x7f, v2
	v_cmp_ne_u32_e64 s[28:29], s81, v7
	v_mov_b32_e32 v3, 0x7f800001
	s_and_saveexec_b64 s[38:39], s[28:29]
	s_cbranch_execz .LBB6_2185
; %bb.2184:                             ;   in Loop: Header=BB6_2153 Depth=4
	v_and_b32_e32 v20, 7, v2
	v_ffbh_u32_e32 v3, v20
	v_lshrrev_b32_e32 v22, 3, v7
	v_cmp_gt_u32_e64 s[28:29], 8, v7
	v_min_u32_e32 v7, 32, v3
	v_subrev_u32_e32 v3, 28, v7
	v_lshlrev_b64 v[2:3], v3, v[2:3]
	v_sub_u32_e32 v3, 29, v7
	v_and_b32_e32 v2, 7, v2
	v_cndmask_b32_e64 v3, v22, v3, s[28:29]
	v_cndmask_b32_e64 v2, v20, v2, s[28:29]
	v_lshlrev_b32_e32 v7, 16, v12
	v_bfrev_b32_e32 v20, 60
	v_lshlrev_b32_e32 v2, 20, v2
	v_and_b32_e32 v7, 0x80000000, v7
	v_lshl_add_u32 v3, v3, 23, v20
	v_or3_b32 v3, v7, v3, v2
.LBB6_2185:                             ;   in Loop: Header=BB6_2153 Depth=4
	s_or_b64 exec, exec, s[38:39]
.LBB6_2186:                             ;   in Loop: Header=BB6_2153 Depth=4
	s_or_b64 exec, exec, s[36:37]
.LBB6_2187:                             ;   in Loop: Header=BB6_2153 Depth=4
	s_or_b64 exec, exec, s[40:41]
	v_lshrrev_b16_e32 v20, 8, v8
	v_cmp_lt_i16_e64 s[28:29], s81, v20
	s_mov_b64 s[40:41], 0
	s_and_saveexec_b64 s[36:37], s[28:29]
	s_xor_b64 s[36:37], exec, s[36:37]
	s_cbranch_execz .LBB6_2583
; %bb.2188:                             ;   in Loop: Header=BB6_2153 Depth=4
	v_cmp_eq_u16_e64 s[28:29], s80, v20
	s_mov_b64 s[40:41], -1
	s_and_saveexec_b64 s[38:39], s[28:29]
; %bb.2189:                             ;   in Loop: Header=BB6_2153 Depth=4
	s_xor_b64 s[40:41], exec, -1
; %bb.2190:                             ;   in Loop: Header=BB6_2153 Depth=4
	s_or_b64 exec, exec, s[38:39]
	s_and_b64 s[40:41], s[40:41], exec
	s_or_saveexec_b64 s[36:37], s[36:37]
	v_bfrev_b32_e32 v2, 1
	s_xor_b64 exec, exec, s[36:37]
	s_cbranch_execnz .LBB6_2584
.LBB6_2191:                             ;   in Loop: Header=BB6_2153 Depth=4
	s_or_b64 exec, exec, s[36:37]
	s_and_saveexec_b64 s[36:37], s[40:41]
	s_cbranch_execz .LBB6_2193
.LBB6_2192:                             ;   in Loop: Header=BB6_2153 Depth=4
	v_and_b32_e32 v2, 7, v20
	v_ffbh_u32_e32 v22, v2
	v_min_u32_e32 v27, 32, v22
	v_subrev_u32_e32 v22, 28, v27
	v_lshlrev_b64 v[22:23], v22, v[20:21]
	v_and_b32_e32 v7, 0x7f, v20
	v_bfe_u32 v26, v20, 3, 4
	v_sub_u32_e32 v23, 29, v27
	v_and_b32_e32 v22, 7, v22
	v_cmp_gt_u32_e64 s[28:29], 8, v7
	v_cndmask_b32_e64 v23, v26, v23, s[28:29]
	v_cndmask_b32_e64 v2, v2, v22, s[28:29]
	v_lshlrev_b32_e32 v20, 24, v20
	v_bfrev_b32_e32 v22, 60
	v_lshlrev_b32_e32 v2, 20, v2
	v_and_b32_e32 v20, 0x80000000, v20
	v_lshl_add_u32 v22, v23, 23, v22
	v_or3_b32 v2, v20, v22, v2
	v_cmp_ne_u32_e64 s[28:29], s81, v7
	v_mov_b32_e32 v7, 0x7f800001
	v_cndmask_b32_e64 v2, v7, v2, s[28:29]
.LBB6_2193:                             ;   in Loop: Header=BB6_2153 Depth=4
	s_or_b64 exec, exec, s[36:37]
	v_mul_f32_e32 v2, v3, v2
	v_and_b32_e32 v20, 0x7f800000, v2
	v_cmp_ne_u64_e64 s[28:29], s[62:63], v[20:21]
                                        ; implicit-def: $vgpr30
	s_and_saveexec_b64 s[40:41], s[28:29]
	s_xor_b64 s[36:37], exec, s[40:41]
	s_cbranch_execz .LBB6_2207
; %bb.2194:                             ;   in Loop: Header=BB6_2153 Depth=4
	v_and_b32_e32 v20, 0x7fffffff, v2
	v_cmp_gt_u64_e64 s[28:29], s[78:79], v[20:21]
	v_and_b32_sdwa v7, v2, s80 dst_sel:DWORD dst_unused:UNUSED_PAD src0_sel:BYTE_3 src1_sel:DWORD
                                        ; implicit-def: $vgpr30
	s_and_saveexec_b64 s[40:41], s[28:29]
	s_xor_b64 s[38:39], exec, s[40:41]
	s_cbranch_execz .LBB6_2204
; %bb.2195:                             ;   in Loop: Header=BB6_2153 Depth=4
	v_mov_b32_e32 v30, 0
	v_cmp_ne_u32_e64 s[28:29], 0, v2
	s_and_saveexec_b64 s[48:49], s[28:29]
	s_cbranch_execz .LBB6_2203
; %bb.2196:                             ;   in Loop: Header=BB6_2153 Depth=4
	v_bfe_u32 v26, v2, 23, 8
	v_and_b32_e32 v3, 0x7fffff, v2
	v_cmp_gt_u32_e64 s[40:41], s47, v26
	v_sub_u32_e32 v2, 0x79, v26
	v_cmp_eq_u32_e64 s[28:29], 0, v26
	v_cndmask_b32_e64 v2, 0, v2, s[40:41]
	v_mov_b32_e32 v22, 0x78
	v_cndmask_b32_e64 v27, v2, v22, s[28:29]
	v_or_b32_e32 v20, 0x800000, v3
	v_add_u32_e32 v2, 20, v27
	v_cndmask_b32_e64 v20, v20, v3, s[28:29]
	v_lshlrev_b64 v[2:3], v2, -1
	v_add_u32_e32 v22, 19, v27
	v_lshlrev_b64 v[22:23], v22, 1
	v_bfi_b32 v3, v3, 0, 0
	v_bfi_b32 v2, v2, 0, v20
	v_cmp_eq_u64_e64 s[40:41], v[2:3], v[22:23]
	v_lshrrev_b64 v[2:3], v27, v[20:21]
	v_mov_b32_e32 v23, v3
	v_mov_b32_e32 v22, v2
	s_and_saveexec_b64 s[50:51], s[40:41]
; %bb.2197:                             ;   in Loop: Header=BB6_2153 Depth=4
	v_bfe_u32 v3, v2, 20, 1
	v_add_co_u32_e64 v3, s[40:41], v2, v3
	v_add_co_u32_e64 v22, s[40:41], -1, v3
; %bb.2198:                             ;   in Loop: Header=BB6_2153 Depth=4
	s_or_b64 exec, exec, s[50:51]
	v_add_u32_e32 v3, 0xffffff81, v26
	v_mov_b32_e32 v20, 0xffffff82
	v_cndmask_b32_e64 v3, v3, v20, s[28:29]
	v_lshrrev_b32_e32 v20, 23, v2
	v_add3_u32 v26, v27, v3, v20
	v_add_u32_e32 v23, 6, v26
	v_and_b32_e32 v3, 0xfffff, v22
	v_add_u32_e32 v20, v3, v2
	v_cmp_ne_u32_e64 s[28:29], 0, v23
                                        ; implicit-def: $vgpr2_vgpr3
                                        ; implicit-def: $vgpr22
	s_and_saveexec_b64 s[40:41], s[28:29]
	s_xor_b64 s[40:41], exec, s[40:41]
; %bb.2199:                             ;   in Loop: Header=BB6_2153 Depth=4
	v_cmp_lt_u64_e64 s[28:29], s[88:89], v[20:21]
	v_add_u32_e32 v2, 7, v26
	v_cndmask_b32_e64 v22, v23, v2, s[28:29]
	v_cndmask_b32_e64 v2, 0, 1, s[28:29]
	v_lshrrev_b64 v[2:3], v2, v[20:21]
; %bb.2200:                             ;   in Loop: Header=BB6_2153 Depth=4
	s_andn2_saveexec_b64 s[28:29], s[40:41]
; %bb.2201:                             ;   in Loop: Header=BB6_2153 Depth=4
	v_mov_b32_e32 v2, v20
	v_bfe_u32 v22, v20, 23, 1
	v_mov_b32_e32 v3, v21
; %bb.2202:                             ;   in Loop: Header=BB6_2153 Depth=4
	s_or_b64 exec, exec, s[28:29]
	v_lshrrev_b64 v[2:3], 20, v[2:3]
	v_cmp_gt_i32_e64 s[28:29], 16, v22
	v_cndmask_b32_e64 v3, 0, v3, s[28:29]
	v_cndmask_b32_e64 v2, 7, v2, s[28:29]
	v_cmp_eq_u64_e64 s[40:41], 0, v[2:3]
	v_min_i32_e32 v3, 15, v22
	v_lshlrev_b32_e32 v3, 3, v3
	v_cmp_eq_u32_e64 s[28:29], 0, v22
	v_and_b32_e32 v3, 0xf8, v3
	v_and_or_b32 v2, v2, 7, v3
	s_and_b64 s[28:29], s[28:29], s[40:41]
	v_cndmask_b32_e64 v2, v2, 0, s[28:29]
	v_or_b32_e32 v30, v2, v7
.LBB6_2203:                             ;   in Loop: Header=BB6_2153 Depth=4
	s_or_b64 exec, exec, s[48:49]
                                        ; implicit-def: $vgpr7
.LBB6_2204:                             ;   in Loop: Header=BB6_2153 Depth=4
	s_andn2_saveexec_b64 s[28:29], s[38:39]
; %bb.2205:                             ;   in Loop: Header=BB6_2153 Depth=4
	v_or_b32_e32 v30, 0x7e, v7
; %bb.2206:                             ;   in Loop: Header=BB6_2153 Depth=4
	s_or_b64 exec, exec, s[28:29]
                                        ; implicit-def: $vgpr2
.LBB6_2207:                             ;   in Loop: Header=BB6_2153 Depth=4
	s_andn2_saveexec_b64 s[28:29], s[36:37]
; %bb.2208:                             ;   in Loop: Header=BB6_2153 Depth=4
	v_or_b32_sdwa v30, v2, s81 dst_sel:DWORD dst_unused:UNUSED_PAD src0_sel:BYTE_3 src1_sel:DWORD
; %bb.2209:                             ;   in Loop: Header=BB6_2153 Depth=4
	s_or_b64 exec, exec, s[28:29]
	v_lshrrev_b32_e32 v2, 16, v12
	v_cmp_ne_u16_sdwa s[28:29], v2, v21 src0_sel:BYTE_0 src1_sel:DWORD
	v_mov_b32_e32 v3, 0
	s_and_saveexec_b64 s[40:41], s[28:29]
	s_cbranch_execz .LBB6_2215
; %bb.2210:                             ;   in Loop: Header=BB6_2153 Depth=4
	v_cmp_ne_u16_sdwa s[28:29], v2, s80 src0_sel:BYTE_0 src1_sel:DWORD
	v_bfrev_b32_e32 v3, 1
	s_and_saveexec_b64 s[36:37], s[28:29]
	s_cbranch_execz .LBB6_2214
; %bb.2211:                             ;   in Loop: Header=BB6_2153 Depth=4
	v_bfe_u32 v7, v12, 16, 7
	v_cmp_ne_u32_e64 s[28:29], s81, v7
	v_mov_b32_e32 v3, 0x7f800001
	s_and_saveexec_b64 s[38:39], s[28:29]
	s_cbranch_execz .LBB6_2213
; %bb.2212:                             ;   in Loop: Header=BB6_2153 Depth=4
	v_and_b32_e32 v3, 7, v2
	v_lshrrev_b32_e32 v20, 3, v7
	v_cmp_gt_u32_e64 s[28:29], 8, v7
	v_ffbh_u32_e32 v7, v3
	v_min_u32_e32 v7, 32, v7
	v_subrev_u32_e32 v22, 28, v7
	v_lshlrev_b64 v[22:23], v22, v[2:3]
	v_sub_u32_e32 v7, 29, v7
	v_and_b32_e32 v22, 7, v22
	v_cndmask_b32_e64 v7, v20, v7, s[28:29]
	v_cndmask_b32_e64 v3, v3, v22, s[28:29]
	v_lshlrev_b32_e32 v2, 24, v2
	v_bfrev_b32_e32 v20, 60
	v_lshlrev_b32_e32 v3, 20, v3
	v_and_b32_e32 v2, 0x80000000, v2
	v_lshl_add_u32 v7, v7, 23, v20
	v_or3_b32 v3, v2, v7, v3
.LBB6_2213:                             ;   in Loop: Header=BB6_2153 Depth=4
	s_or_b64 exec, exec, s[38:39]
.LBB6_2214:                             ;   in Loop: Header=BB6_2153 Depth=4
	s_or_b64 exec, exec, s[36:37]
.LBB6_2215:                             ;   in Loop: Header=BB6_2153 Depth=4
	s_or_b64 exec, exec, s[40:41]
	v_lshrrev_b32_e32 v2, 16, v8
	v_cmp_gt_i16_sdwa s[40:41], v2, s81 src0_sel:BYTE_0 src1_sel:DWORD
	s_mov_b64 s[28:29], 0
	s_and_saveexec_b64 s[36:37], s[40:41]
	s_xor_b64 s[40:41], exec, s[36:37]
	s_cbranch_execz .LBB6_2585
; %bb.2216:                             ;   in Loop: Header=BB6_2153 Depth=4
	v_cmp_eq_u16_sdwa s[38:39], v2, s80 src0_sel:BYTE_0 src1_sel:DWORD
	s_mov_b64 s[28:29], -1
	s_and_saveexec_b64 s[36:37], s[38:39]
; %bb.2217:                             ;   in Loop: Header=BB6_2153 Depth=4
	s_xor_b64 s[28:29], exec, -1
; %bb.2218:                             ;   in Loop: Header=BB6_2153 Depth=4
	s_or_b64 exec, exec, s[36:37]
	s_and_b64 s[28:29], s[28:29], exec
	s_or_saveexec_b64 s[40:41], s[40:41]
	v_bfrev_b32_e32 v7, 1
	s_xor_b64 exec, exec, s[40:41]
	s_cbranch_execnz .LBB6_2586
.LBB6_2219:                             ;   in Loop: Header=BB6_2153 Depth=4
	s_or_b64 exec, exec, s[40:41]
	s_and_saveexec_b64 s[40:41], s[28:29]
	s_cbranch_execz .LBB6_2221
.LBB6_2220:                             ;   in Loop: Header=BB6_2153 Depth=4
	v_and_b32_e32 v7, 7, v2
	v_ffbh_u32_e32 v22, v7
	v_min_u32_e32 v27, 32, v22
	v_subrev_u32_e32 v22, 28, v27
	v_lshlrev_b64 v[22:23], v22, v[2:3]
	v_and_b32_e32 v20, 0x7f, v2
	v_bfe_u32 v26, v2, 3, 4
	v_sub_u32_e32 v23, 29, v27
	v_and_b32_e32 v22, 7, v22
	v_cmp_gt_u32_e64 s[28:29], 8, v20
	v_cndmask_b32_e64 v23, v26, v23, s[28:29]
	v_cndmask_b32_e64 v7, v7, v22, s[28:29]
	v_lshlrev_b32_e32 v2, 24, v2
	v_bfrev_b32_e32 v22, 60
	v_lshlrev_b32_e32 v7, 20, v7
	v_and_b32_e32 v2, 0x80000000, v2
	v_lshl_add_u32 v22, v23, 23, v22
	v_or3_b32 v2, v2, v22, v7
	v_cmp_ne_u32_e64 s[28:29], s81, v20
	v_mov_b32_e32 v7, 0x7f800001
	v_cndmask_b32_e64 v7, v7, v2, s[28:29]
.LBB6_2221:                             ;   in Loop: Header=BB6_2153 Depth=4
	s_or_b64 exec, exec, s[40:41]
	v_mul_f32_e32 v2, v3, v7
	v_and_b32_e32 v20, 0x7f800000, v2
	v_cmp_ne_u64_e64 s[28:29], s[62:63], v[20:21]
                                        ; implicit-def: $vgpr31
	s_and_saveexec_b64 s[40:41], s[28:29]
	s_xor_b64 s[36:37], exec, s[40:41]
	s_cbranch_execz .LBB6_2235
; %bb.2222:                             ;   in Loop: Header=BB6_2153 Depth=4
	v_and_b32_e32 v20, 0x7fffffff, v2
	v_cmp_gt_u64_e64 s[28:29], s[78:79], v[20:21]
	v_and_b32_sdwa v7, v2, s80 dst_sel:DWORD dst_unused:UNUSED_PAD src0_sel:BYTE_3 src1_sel:DWORD
                                        ; implicit-def: $vgpr31
	s_and_saveexec_b64 s[40:41], s[28:29]
	s_xor_b64 s[38:39], exec, s[40:41]
	s_cbranch_execz .LBB6_2232
; %bb.2223:                             ;   in Loop: Header=BB6_2153 Depth=4
	v_mov_b32_e32 v31, 0
	v_cmp_ne_u32_e64 s[28:29], 0, v2
	s_and_saveexec_b64 s[48:49], s[28:29]
	s_cbranch_execz .LBB6_2231
; %bb.2224:                             ;   in Loop: Header=BB6_2153 Depth=4
	v_bfe_u32 v26, v2, 23, 8
	v_and_b32_e32 v3, 0x7fffff, v2
	v_cmp_gt_u32_e64 s[40:41], s47, v26
	v_sub_u32_e32 v2, 0x79, v26
	v_cmp_eq_u32_e64 s[28:29], 0, v26
	v_cndmask_b32_e64 v2, 0, v2, s[40:41]
	v_mov_b32_e32 v22, 0x78
	v_cndmask_b32_e64 v27, v2, v22, s[28:29]
	v_or_b32_e32 v20, 0x800000, v3
	v_add_u32_e32 v2, 20, v27
	v_cndmask_b32_e64 v20, v20, v3, s[28:29]
	v_lshlrev_b64 v[2:3], v2, -1
	v_add_u32_e32 v22, 19, v27
	v_lshlrev_b64 v[22:23], v22, 1
	v_bfi_b32 v3, v3, 0, 0
	v_bfi_b32 v2, v2, 0, v20
	v_cmp_eq_u64_e64 s[40:41], v[2:3], v[22:23]
	v_lshrrev_b64 v[2:3], v27, v[20:21]
	v_mov_b32_e32 v23, v3
	v_mov_b32_e32 v22, v2
	s_and_saveexec_b64 s[50:51], s[40:41]
; %bb.2225:                             ;   in Loop: Header=BB6_2153 Depth=4
	v_bfe_u32 v3, v2, 20, 1
	v_add_co_u32_e64 v3, s[40:41], v2, v3
	v_add_co_u32_e64 v22, s[40:41], -1, v3
; %bb.2226:                             ;   in Loop: Header=BB6_2153 Depth=4
	s_or_b64 exec, exec, s[50:51]
	v_add_u32_e32 v3, 0xffffff81, v26
	v_mov_b32_e32 v20, 0xffffff82
	v_cndmask_b32_e64 v3, v3, v20, s[28:29]
	v_lshrrev_b32_e32 v20, 23, v2
	v_add3_u32 v26, v27, v3, v20
	v_add_u32_e32 v23, 6, v26
	v_and_b32_e32 v3, 0xfffff, v22
	v_add_u32_e32 v20, v3, v2
	v_cmp_ne_u32_e64 s[28:29], 0, v23
                                        ; implicit-def: $vgpr2_vgpr3
                                        ; implicit-def: $vgpr22
	s_and_saveexec_b64 s[40:41], s[28:29]
	s_xor_b64 s[40:41], exec, s[40:41]
; %bb.2227:                             ;   in Loop: Header=BB6_2153 Depth=4
	v_cmp_lt_u64_e64 s[28:29], s[88:89], v[20:21]
	v_add_u32_e32 v2, 7, v26
	v_cndmask_b32_e64 v22, v23, v2, s[28:29]
	v_cndmask_b32_e64 v2, 0, 1, s[28:29]
	v_lshrrev_b64 v[2:3], v2, v[20:21]
; %bb.2228:                             ;   in Loop: Header=BB6_2153 Depth=4
	s_andn2_saveexec_b64 s[28:29], s[40:41]
; %bb.2229:                             ;   in Loop: Header=BB6_2153 Depth=4
	v_mov_b32_e32 v2, v20
	v_bfe_u32 v22, v20, 23, 1
	v_mov_b32_e32 v3, v21
; %bb.2230:                             ;   in Loop: Header=BB6_2153 Depth=4
	s_or_b64 exec, exec, s[28:29]
	v_lshrrev_b64 v[2:3], 20, v[2:3]
	v_cmp_gt_i32_e64 s[28:29], 16, v22
	v_cndmask_b32_e64 v3, 0, v3, s[28:29]
	v_cndmask_b32_e64 v2, 7, v2, s[28:29]
	v_cmp_eq_u64_e64 s[40:41], 0, v[2:3]
	v_min_i32_e32 v3, 15, v22
	v_lshlrev_b32_e32 v3, 3, v3
	v_cmp_eq_u32_e64 s[28:29], 0, v22
	v_and_b32_e32 v3, 0xf8, v3
	v_and_or_b32 v2, v2, 7, v3
	s_and_b64 s[28:29], s[28:29], s[40:41]
	v_cndmask_b32_e64 v2, v2, 0, s[28:29]
	v_or_b32_e32 v31, v2, v7
.LBB6_2231:                             ;   in Loop: Header=BB6_2153 Depth=4
	s_or_b64 exec, exec, s[48:49]
                                        ; implicit-def: $vgpr7
.LBB6_2232:                             ;   in Loop: Header=BB6_2153 Depth=4
	s_andn2_saveexec_b64 s[28:29], s[38:39]
; %bb.2233:                             ;   in Loop: Header=BB6_2153 Depth=4
	v_or_b32_e32 v31, 0x7e, v7
; %bb.2234:                             ;   in Loop: Header=BB6_2153 Depth=4
	s_or_b64 exec, exec, s[28:29]
                                        ; implicit-def: $vgpr2
.LBB6_2235:                             ;   in Loop: Header=BB6_2153 Depth=4
	s_andn2_saveexec_b64 s[28:29], s[36:37]
; %bb.2236:                             ;   in Loop: Header=BB6_2153 Depth=4
	v_or_b32_sdwa v31, v2, s81 dst_sel:DWORD dst_unused:UNUSED_PAD src0_sel:BYTE_3 src1_sel:DWORD
; %bb.2237:                             ;   in Loop: Header=BB6_2153 Depth=4
	s_or_b64 exec, exec, s[28:29]
	v_cmp_lt_u32_e64 s[28:29], s57, v12
	v_mov_b32_e32 v3, 0
	s_and_saveexec_b64 s[40:41], s[28:29]
	s_cbranch_execz .LBB6_2243
; %bb.2238:                             ;   in Loop: Header=BB6_2153 Depth=4
	v_lshrrev_b32_e32 v2, 24, v12
	v_cmp_ne_u32_e64 s[28:29], s80, v2
	v_bfrev_b32_e32 v3, 1
	s_and_saveexec_b64 s[36:37], s[28:29]
	s_cbranch_execz .LBB6_2242
; %bb.2239:                             ;   in Loop: Header=BB6_2153 Depth=4
	v_bfe_u32 v7, v12, 24, 7
	v_cmp_ne_u32_e64 s[28:29], s81, v7
	v_mov_b32_e32 v3, 0x7f800001
	s_and_saveexec_b64 s[38:39], s[28:29]
	s_cbranch_execz .LBB6_2241
; %bb.2240:                             ;   in Loop: Header=BB6_2153 Depth=4
	v_and_b32_e32 v3, 7, v2
	v_lshrrev_b32_e32 v20, 3, v7
	v_cmp_gt_u32_e64 s[28:29], 8, v7
	v_ffbh_u32_e32 v7, v3
	v_min_u32_e32 v7, 32, v7
	v_subrev_u32_e32 v22, 28, v7
	v_lshlrev_b64 v[22:23], v22, v[2:3]
	v_sub_u32_e32 v7, 29, v7
	v_and_b32_e32 v22, 7, v22
	v_cndmask_b32_e64 v7, v20, v7, s[28:29]
	v_cndmask_b32_e64 v3, v3, v22, s[28:29]
	v_lshlrev_b32_e32 v2, 24, v2
	v_bfrev_b32_e32 v20, 60
	v_lshlrev_b32_e32 v3, 20, v3
	v_and_b32_e32 v2, 0x80000000, v2
	v_lshl_add_u32 v7, v7, 23, v20
	v_or3_b32 v3, v2, v7, v3
.LBB6_2241:                             ;   in Loop: Header=BB6_2153 Depth=4
	s_or_b64 exec, exec, s[38:39]
.LBB6_2242:                             ;   in Loop: Header=BB6_2153 Depth=4
	s_or_b64 exec, exec, s[36:37]
.LBB6_2243:                             ;   in Loop: Header=BB6_2153 Depth=4
	s_or_b64 exec, exec, s[40:41]
	v_bfe_u32 v7, v8, 24, 3
	v_ffbh_u32_e32 v22, v7
	v_min_u32_e32 v27, 32, v22
	v_lshrrev_b32_e32 v2, 24, v8
	v_subrev_u32_e32 v22, 28, v27
	v_lshlrev_b64 v[22:23], v22, v[2:3]
	v_bfe_u32 v20, v8, 24, 7
	v_bfe_u32 v26, v2, 3, 4
	v_sub_u32_e32 v23, 29, v27
	v_and_b32_e32 v22, 7, v22
	v_cmp_gt_u32_e64 s[28:29], 8, v20
	v_cndmask_b32_e64 v23, v26, v23, s[28:29]
	v_cndmask_b32_e64 v7, v7, v22, s[28:29]
	v_bfrev_b32_e32 v26, 60
	v_lshlrev_b32_e32 v7, 20, v7
	v_and_b32_e32 v22, 0x80000000, v8
	v_lshl_add_u32 v23, v23, 23, v26
	v_or3_b32 v7, v22, v23, v7
	v_cmp_ne_u32_e64 s[28:29], s81, v20
	v_mov_b32_e32 v20, 0x7f800001
	v_cndmask_b32_e64 v7, v20, v7, s[28:29]
	v_cmp_ne_u32_e64 s[28:29], s80, v2
	v_bfrev_b32_e32 v2, 1
	v_cndmask_b32_e64 v2, v2, v7, s[28:29]
	v_cmp_lt_u32_e64 s[28:29], s57, v8
	v_cndmask_b32_e64 v2, 0, v2, s[28:29]
	v_mul_f32_e32 v2, v2, v3
	v_and_b32_e32 v20, 0x7f800000, v2
	v_cmp_ne_u64_e64 s[28:29], s[62:63], v[20:21]
                                        ; implicit-def: $vgpr32
	s_and_saveexec_b64 s[40:41], s[28:29]
	s_xor_b64 s[36:37], exec, s[40:41]
	s_cbranch_execz .LBB6_2257
; %bb.2244:                             ;   in Loop: Header=BB6_2153 Depth=4
	v_and_b32_e32 v20, 0x7fffffff, v2
	v_cmp_gt_u64_e64 s[28:29], s[78:79], v[20:21]
	v_and_b32_sdwa v7, v2, s80 dst_sel:DWORD dst_unused:UNUSED_PAD src0_sel:BYTE_3 src1_sel:DWORD
                                        ; implicit-def: $vgpr32
	s_and_saveexec_b64 s[40:41], s[28:29]
	s_xor_b64 s[38:39], exec, s[40:41]
	s_cbranch_execz .LBB6_2254
; %bb.2245:                             ;   in Loop: Header=BB6_2153 Depth=4
	v_mov_b32_e32 v32, 0
	v_cmp_ne_u32_e64 s[28:29], 0, v2
	s_and_saveexec_b64 s[48:49], s[28:29]
	s_cbranch_execz .LBB6_2253
; %bb.2246:                             ;   in Loop: Header=BB6_2153 Depth=4
	v_bfe_u32 v26, v2, 23, 8
	v_and_b32_e32 v3, 0x7fffff, v2
	v_cmp_gt_u32_e64 s[40:41], s47, v26
	v_sub_u32_e32 v2, 0x79, v26
	v_cmp_eq_u32_e64 s[28:29], 0, v26
	v_cndmask_b32_e64 v2, 0, v2, s[40:41]
	v_mov_b32_e32 v22, 0x78
	v_cndmask_b32_e64 v27, v2, v22, s[28:29]
	v_or_b32_e32 v20, 0x800000, v3
	v_add_u32_e32 v2, 20, v27
	v_cndmask_b32_e64 v20, v20, v3, s[28:29]
	v_lshlrev_b64 v[2:3], v2, -1
	v_add_u32_e32 v22, 19, v27
	v_lshlrev_b64 v[22:23], v22, 1
	v_bfi_b32 v3, v3, 0, 0
	v_bfi_b32 v2, v2, 0, v20
	v_cmp_eq_u64_e64 s[40:41], v[2:3], v[22:23]
	v_lshrrev_b64 v[2:3], v27, v[20:21]
	v_mov_b32_e32 v23, v3
	v_mov_b32_e32 v22, v2
	s_and_saveexec_b64 s[50:51], s[40:41]
; %bb.2247:                             ;   in Loop: Header=BB6_2153 Depth=4
	v_bfe_u32 v3, v2, 20, 1
	v_add_co_u32_e64 v3, s[40:41], v2, v3
	v_add_co_u32_e64 v22, s[40:41], -1, v3
; %bb.2248:                             ;   in Loop: Header=BB6_2153 Depth=4
	s_or_b64 exec, exec, s[50:51]
	v_add_u32_e32 v3, 0xffffff81, v26
	v_mov_b32_e32 v20, 0xffffff82
	v_cndmask_b32_e64 v3, v3, v20, s[28:29]
	v_lshrrev_b32_e32 v20, 23, v2
	v_add3_u32 v26, v27, v3, v20
	v_add_u32_e32 v23, 6, v26
	v_and_b32_e32 v3, 0xfffff, v22
	v_add_u32_e32 v20, v3, v2
	v_cmp_ne_u32_e64 s[28:29], 0, v23
                                        ; implicit-def: $vgpr2_vgpr3
                                        ; implicit-def: $vgpr22
	s_and_saveexec_b64 s[40:41], s[28:29]
	s_xor_b64 s[40:41], exec, s[40:41]
; %bb.2249:                             ;   in Loop: Header=BB6_2153 Depth=4
	v_cmp_lt_u64_e64 s[28:29], s[88:89], v[20:21]
	v_add_u32_e32 v2, 7, v26
	v_cndmask_b32_e64 v22, v23, v2, s[28:29]
	v_cndmask_b32_e64 v2, 0, 1, s[28:29]
	v_lshrrev_b64 v[2:3], v2, v[20:21]
; %bb.2250:                             ;   in Loop: Header=BB6_2153 Depth=4
	s_andn2_saveexec_b64 s[28:29], s[40:41]
; %bb.2251:                             ;   in Loop: Header=BB6_2153 Depth=4
	v_mov_b32_e32 v2, v20
	v_bfe_u32 v22, v20, 23, 1
	v_mov_b32_e32 v3, v21
; %bb.2252:                             ;   in Loop: Header=BB6_2153 Depth=4
	s_or_b64 exec, exec, s[28:29]
	v_lshrrev_b64 v[2:3], 20, v[2:3]
	v_cmp_gt_i32_e64 s[28:29], 16, v22
	v_cndmask_b32_e64 v3, 0, v3, s[28:29]
	v_cndmask_b32_e64 v2, 7, v2, s[28:29]
	v_cmp_eq_u64_e64 s[40:41], 0, v[2:3]
	v_min_i32_e32 v3, 15, v22
	v_lshlrev_b32_e32 v3, 3, v3
	v_cmp_eq_u32_e64 s[28:29], 0, v22
	v_and_b32_e32 v3, 0xf8, v3
	v_and_or_b32 v2, v2, 7, v3
	s_and_b64 s[28:29], s[28:29], s[40:41]
	v_cndmask_b32_e64 v2, v2, 0, s[28:29]
	v_or_b32_e32 v32, v2, v7
.LBB6_2253:                             ;   in Loop: Header=BB6_2153 Depth=4
	s_or_b64 exec, exec, s[48:49]
                                        ; implicit-def: $vgpr7
.LBB6_2254:                             ;   in Loop: Header=BB6_2153 Depth=4
	s_andn2_saveexec_b64 s[28:29], s[38:39]
; %bb.2255:                             ;   in Loop: Header=BB6_2153 Depth=4
	v_or_b32_e32 v32, 0x7e, v7
; %bb.2256:                             ;   in Loop: Header=BB6_2153 Depth=4
	s_or_b64 exec, exec, s[28:29]
                                        ; implicit-def: $vgpr2
.LBB6_2257:                             ;   in Loop: Header=BB6_2153 Depth=4
	s_andn2_saveexec_b64 s[28:29], s[36:37]
; %bb.2258:                             ;   in Loop: Header=BB6_2153 Depth=4
	v_or_b32_sdwa v32, v2, s81 dst_sel:DWORD dst_unused:UNUSED_PAD src0_sel:BYTE_3 src1_sel:DWORD
; %bb.2259:                             ;   in Loop: Header=BB6_2153 Depth=4
	s_or_b64 exec, exec, s[28:29]
	v_mov_b32_e32 v20, v13
	v_cmp_ne_u16_sdwa s[28:29], v13, v21 src0_sel:BYTE_0 src1_sel:DWORD
	v_mov_b32_e32 v2, 0
	s_and_saveexec_b64 s[40:41], s[28:29]
	s_cbranch_execz .LBB6_2265
; %bb.2260:                             ;   in Loop: Header=BB6_2153 Depth=4
	v_cmp_ne_u16_sdwa s[28:29], v13, s80 src0_sel:BYTE_0 src1_sel:DWORD
	v_bfrev_b32_e32 v2, 1
	s_and_saveexec_b64 s[36:37], s[28:29]
	s_cbranch_execz .LBB6_2264
; %bb.2261:                             ;   in Loop: Header=BB6_2153 Depth=4
	v_and_b32_e32 v3, 0x7f, v13
	v_cmp_ne_u32_e64 s[28:29], s81, v3
	v_mov_b32_e32 v2, 0x7f800001
	s_and_saveexec_b64 s[38:39], s[28:29]
	s_cbranch_execz .LBB6_2263
; %bb.2262:                             ;   in Loop: Header=BB6_2153 Depth=4
	v_and_b32_e32 v2, 7, v13
	v_ffbh_u32_e32 v2, v2
	v_min_u32_e32 v2, 32, v2
	v_lshrrev_b32_e32 v7, 3, v3
	v_cmp_gt_u32_e64 s[28:29], 8, v3
	v_subrev_u32_e32 v3, 28, v2
	v_sub_u32_e32 v2, 29, v2
	v_cndmask_b32_e64 v7, v7, v2, s[28:29]
	v_cndmask_b32_e64 v2, 0, v3, s[28:29]
	v_lshlrev_b64 v[2:3], v2, v[20:21]
	v_lshlrev_b32_e32 v3, 24, v20
	v_lshlrev_b32_e32 v2, 20, v2
	v_bfrev_b32_e32 v22, 60
	v_and_b32_e32 v2, 0x700000, v2
	v_and_b32_e32 v3, 0x80000000, v3
	v_lshl_add_u32 v7, v7, 23, v22
	v_or3_b32 v2, v3, v7, v2
.LBB6_2263:                             ;   in Loop: Header=BB6_2153 Depth=4
	s_or_b64 exec, exec, s[38:39]
.LBB6_2264:                             ;   in Loop: Header=BB6_2153 Depth=4
	s_or_b64 exec, exec, s[36:37]
.LBB6_2265:                             ;   in Loop: Header=BB6_2153 Depth=4
	s_or_b64 exec, exec, s[40:41]
	v_cmp_gt_i16_sdwa s[40:41], v9, s81 src0_sel:BYTE_0 src1_sel:DWORD
	s_mov_b64 s[28:29], 0
	s_and_saveexec_b64 s[36:37], s[40:41]
	s_xor_b64 s[40:41], exec, s[36:37]
	s_cbranch_execz .LBB6_2269
; %bb.2266:                             ;   in Loop: Header=BB6_2153 Depth=4
	v_cmp_eq_u16_sdwa s[38:39], v9, s80 src0_sel:BYTE_0 src1_sel:DWORD
	s_mov_b64 s[28:29], -1
	s_and_saveexec_b64 s[36:37], s[38:39]
; %bb.2267:                             ;   in Loop: Header=BB6_2153 Depth=4
	s_xor_b64 s[28:29], exec, -1
; %bb.2268:                             ;   in Loop: Header=BB6_2153 Depth=4
	s_or_b64 exec, exec, s[36:37]
	s_and_b64 s[28:29], s[28:29], exec
.LBB6_2269:                             ;   in Loop: Header=BB6_2153 Depth=4
	s_or_saveexec_b64 s[40:41], s[40:41]
	v_bfrev_b32_e32 v3, 1
	s_xor_b64 exec, exec, s[40:41]
; %bb.2270:                             ;   in Loop: Header=BB6_2153 Depth=4
	v_cmp_ne_u16_sdwa s[36:37], v9, v21 src0_sel:BYTE_0 src1_sel:DWORD
	s_andn2_b64 s[28:29], s[28:29], exec
	s_and_b64 s[36:37], s[36:37], exec
	v_mov_b32_e32 v3, 0
	s_or_b64 s[28:29], s[28:29], s[36:37]
; %bb.2271:                             ;   in Loop: Header=BB6_2153 Depth=4
	s_or_b64 exec, exec, s[40:41]
	v_mov_b32_e32 v22, v9
	v_mov_b32_e32 v23, v21
	s_and_saveexec_b64 s[40:41], s[28:29]
	s_cbranch_execz .LBB6_2273
; %bb.2272:                             ;   in Loop: Header=BB6_2153 Depth=4
	v_and_b32_e32 v3, 7, v9
	v_ffbh_u32_e32 v3, v3
	v_and_b32_e32 v7, 0x7f, v9
	v_min_u32_e32 v3, 32, v3
	v_bfe_u32 v26, v9, 3, 4
	v_subrev_u32_e32 v27, 28, v3
	v_sub_u32_e32 v3, 29, v3
	v_cmp_gt_u32_e64 s[28:29], 8, v7
	v_cndmask_b32_e64 v3, v26, v3, s[28:29]
	v_cndmask_b32_e64 v26, 0, v27, s[28:29]
	v_lshlrev_b64 v[26:27], v26, v[22:23]
	v_bfrev_b32_e32 v27, 60
	v_lshlrev_b32_e32 v23, 20, v26
	v_lshlrev_b32_e32 v26, 24, v22
	v_and_b32_e32 v23, 0x700000, v23
	v_and_b32_e32 v26, 0x80000000, v26
	v_lshl_add_u32 v3, v3, 23, v27
	v_or3_b32 v3, v26, v3, v23
	v_cmp_ne_u32_e64 s[28:29], s81, v7
	v_mov_b32_e32 v7, 0x7f800001
	v_cndmask_b32_e64 v3, v7, v3, s[28:29]
.LBB6_2273:                             ;   in Loop: Header=BB6_2153 Depth=4
	s_or_b64 exec, exec, s[40:41]
	v_mul_f32_e32 v2, v2, v3
	v_and_b32_e32 v26, 0x7f800000, v2
	v_mov_b32_e32 v27, v21
	v_cmp_ne_u64_e64 s[28:29], s[62:63], v[26:27]
                                        ; implicit-def: $vgpr26
	s_and_saveexec_b64 s[40:41], s[28:29]
	s_xor_b64 s[36:37], exec, s[40:41]
	s_cbranch_execz .LBB6_2287
; %bb.2274:                             ;   in Loop: Header=BB6_2153 Depth=4
	v_and_b32_e32 v26, 0x7fffffff, v2
	v_mov_b32_e32 v27, v21
	v_cmp_gt_u64_e64 s[28:29], s[78:79], v[26:27]
	v_and_b32_sdwa v7, v2, s80 dst_sel:DWORD dst_unused:UNUSED_PAD src0_sel:BYTE_3 src1_sel:DWORD
                                        ; implicit-def: $vgpr26
	s_and_saveexec_b64 s[40:41], s[28:29]
	s_xor_b64 s[38:39], exec, s[40:41]
	s_cbranch_execz .LBB6_2284
; %bb.2275:                             ;   in Loop: Header=BB6_2153 Depth=4
	v_mov_b32_e32 v26, 0
	v_cmp_ne_u32_e64 s[28:29], 0, v2
	s_and_saveexec_b64 s[48:49], s[28:29]
	s_cbranch_execz .LBB6_2283
; %bb.2276:                             ;   in Loop: Header=BB6_2153 Depth=4
	v_bfe_u32 v23, v2, 23, 8
	v_and_b32_e32 v3, 0x7fffff, v2
	v_cmp_gt_u32_e64 s[40:41], s47, v23
	v_sub_u32_e32 v2, 0x79, v23
	v_cmp_eq_u32_e64 s[28:29], 0, v23
	v_cndmask_b32_e64 v2, 0, v2, s[40:41]
	v_mov_b32_e32 v27, 0x78
	v_or_b32_e32 v26, 0x800000, v3
	v_cndmask_b32_e64 v33, v2, v27, s[28:29]
	v_cndmask_b32_e64 v2, v26, v3, s[28:29]
	v_add_u32_e32 v26, 20, v33
	v_lshlrev_b64 v[26:27], v26, -1
	v_mov_b32_e32 v3, v21
	v_add_u32_e32 v34, 19, v33
	v_bfi_b32 v26, v26, 0, v2
	v_lshlrev_b64 v[34:35], v34, 1
	v_lshrrev_b64 v[2:3], v33, v[2:3]
	v_bfi_b32 v27, v27, 0, 0
	v_cmp_eq_u64_e64 s[40:41], v[26:27], v[34:35]
	v_mov_b32_e32 v27, v3
	v_mov_b32_e32 v26, v2
	s_and_saveexec_b64 s[50:51], s[40:41]
; %bb.2277:                             ;   in Loop: Header=BB6_2153 Depth=4
	v_bfe_u32 v3, v2, 20, 1
	v_add_co_u32_e64 v3, s[40:41], v2, v3
	v_add_co_u32_e64 v26, s[40:41], -1, v3
; %bb.2278:                             ;   in Loop: Header=BB6_2153 Depth=4
	s_or_b64 exec, exec, s[50:51]
	v_add_u32_e32 v3, 0xffffff81, v23
	v_mov_b32_e32 v23, 0xffffff82
	v_cndmask_b32_e64 v3, v3, v23, s[28:29]
	v_lshrrev_b32_e32 v23, 23, v2
	v_add3_u32 v33, v33, v3, v23
	v_add_u32_e32 v27, 6, v33
	v_and_b32_e32 v3, 0xfffff, v26
	v_add_u32_e32 v2, v3, v2
	v_mov_b32_e32 v3, v21
	v_cmp_ne_u32_e64 s[28:29], 0, v27
                                        ; implicit-def: $vgpr23
	s_and_saveexec_b64 s[40:41], s[28:29]
	s_xor_b64 s[40:41], exec, s[40:41]
; %bb.2279:                             ;   in Loop: Header=BB6_2153 Depth=4
	v_cmp_lt_u64_e64 s[28:29], s[88:89], v[2:3]
	v_add_u32_e32 v23, 7, v33
	v_cndmask_b32_e64 v26, 0, 1, s[28:29]
	v_cndmask_b32_e64 v23, v27, v23, s[28:29]
	v_lshrrev_b64 v[2:3], v26, v[2:3]
; %bb.2280:                             ;   in Loop: Header=BB6_2153 Depth=4
	s_andn2_saveexec_b64 s[28:29], s[40:41]
; %bb.2281:                             ;   in Loop: Header=BB6_2153 Depth=4
	v_bfe_u32 v23, v2, 23, 1
; %bb.2282:                             ;   in Loop: Header=BB6_2153 Depth=4
	s_or_b64 exec, exec, s[28:29]
	v_lshrrev_b64 v[2:3], 20, v[2:3]
	v_cmp_gt_i32_e64 s[28:29], 16, v23
	v_cndmask_b32_e64 v3, 0, v3, s[28:29]
	v_cndmask_b32_e64 v2, 7, v2, s[28:29]
	v_cmp_eq_u64_e64 s[40:41], 0, v[2:3]
	v_min_i32_e32 v3, 15, v23
	v_lshlrev_b32_e32 v3, 3, v3
	v_cmp_eq_u32_e64 s[28:29], 0, v23
	v_and_b32_e32 v3, 0xf8, v3
	v_and_or_b32 v2, v2, 7, v3
	s_and_b64 s[28:29], s[28:29], s[40:41]
	v_cndmask_b32_e64 v2, v2, 0, s[28:29]
	v_or_b32_e32 v26, v2, v7
.LBB6_2283:                             ;   in Loop: Header=BB6_2153 Depth=4
	s_or_b64 exec, exec, s[48:49]
                                        ; implicit-def: $vgpr7
.LBB6_2284:                             ;   in Loop: Header=BB6_2153 Depth=4
	s_andn2_saveexec_b64 s[28:29], s[38:39]
; %bb.2285:                             ;   in Loop: Header=BB6_2153 Depth=4
	v_or_b32_e32 v26, 0x7e, v7
; %bb.2286:                             ;   in Loop: Header=BB6_2153 Depth=4
	s_or_b64 exec, exec, s[28:29]
                                        ; implicit-def: $vgpr2
.LBB6_2287:                             ;   in Loop: Header=BB6_2153 Depth=4
	s_andn2_saveexec_b64 s[28:29], s[36:37]
; %bb.2288:                             ;   in Loop: Header=BB6_2153 Depth=4
	v_or_b32_sdwa v26, v2, s81 dst_sel:DWORD dst_unused:UNUSED_PAD src0_sel:BYTE_3 src1_sel:DWORD
; %bb.2289:                             ;   in Loop: Header=BB6_2153 Depth=4
	s_or_b64 exec, exec, s[28:29]
	v_lshrrev_b16_e32 v2, 8, v20
	v_cmp_ne_u16_e64 s[28:29], 0, v2
	v_mov_b32_e32 v3, 0
	s_and_saveexec_b64 s[40:41], s[28:29]
	s_cbranch_execz .LBB6_2295
; %bb.2290:                             ;   in Loop: Header=BB6_2153 Depth=4
	v_cmp_ne_u16_e64 s[28:29], s80, v2
	v_bfrev_b32_e32 v3, 1
	s_and_saveexec_b64 s[36:37], s[28:29]
	s_cbranch_execz .LBB6_2294
; %bb.2291:                             ;   in Loop: Header=BB6_2153 Depth=4
	v_and_b32_e32 v7, 0x7f, v2
	v_cmp_ne_u32_e64 s[28:29], s81, v7
	v_mov_b32_e32 v3, 0x7f800001
	s_and_saveexec_b64 s[38:39], s[28:29]
	s_cbranch_execz .LBB6_2293
; %bb.2292:                             ;   in Loop: Header=BB6_2153 Depth=4
	v_and_b32_e32 v23, 7, v2
	v_ffbh_u32_e32 v3, v23
	v_lshrrev_b32_e32 v27, 3, v7
	v_cmp_gt_u32_e64 s[28:29], 8, v7
	v_min_u32_e32 v7, 32, v3
	v_subrev_u32_e32 v3, 28, v7
	v_lshlrev_b64 v[2:3], v3, v[2:3]
	v_sub_u32_e32 v3, 29, v7
	v_and_b32_e32 v2, 7, v2
	v_cndmask_b32_e64 v3, v27, v3, s[28:29]
	v_cndmask_b32_e64 v2, v23, v2, s[28:29]
	v_lshlrev_b32_e32 v7, 16, v20
	v_bfrev_b32_e32 v20, 60
	v_lshlrev_b32_e32 v2, 20, v2
	v_and_b32_e32 v7, 0x80000000, v7
	v_lshl_add_u32 v3, v3, 23, v20
	v_or3_b32 v3, v7, v3, v2
.LBB6_2293:                             ;   in Loop: Header=BB6_2153 Depth=4
	s_or_b64 exec, exec, s[38:39]
.LBB6_2294:                             ;   in Loop: Header=BB6_2153 Depth=4
	s_or_b64 exec, exec, s[36:37]
.LBB6_2295:                             ;   in Loop: Header=BB6_2153 Depth=4
	s_or_b64 exec, exec, s[40:41]
	v_lshrrev_b16_e32 v20, 8, v22
	v_cmp_lt_i16_e64 s[28:29], s81, v20
	s_mov_b64 s[40:41], 0
	s_and_saveexec_b64 s[36:37], s[28:29]
	s_xor_b64 s[36:37], exec, s[36:37]
	s_cbranch_execz .LBB6_2587
; %bb.2296:                             ;   in Loop: Header=BB6_2153 Depth=4
	v_cmp_eq_u16_e64 s[28:29], s80, v20
	s_mov_b64 s[40:41], -1
	s_and_saveexec_b64 s[38:39], s[28:29]
; %bb.2297:                             ;   in Loop: Header=BB6_2153 Depth=4
	s_xor_b64 s[40:41], exec, -1
; %bb.2298:                             ;   in Loop: Header=BB6_2153 Depth=4
	s_or_b64 exec, exec, s[38:39]
	s_and_b64 s[40:41], s[40:41], exec
	s_or_saveexec_b64 s[36:37], s[36:37]
	v_bfrev_b32_e32 v2, 1
	s_xor_b64 exec, exec, s[36:37]
	s_cbranch_execnz .LBB6_2588
.LBB6_2299:                             ;   in Loop: Header=BB6_2153 Depth=4
	s_or_b64 exec, exec, s[36:37]
	s_and_saveexec_b64 s[36:37], s[40:41]
	s_cbranch_execz .LBB6_2301
.LBB6_2300:                             ;   in Loop: Header=BB6_2153 Depth=4
	v_and_b32_e32 v2, 7, v20
	v_ffbh_u32_e32 v22, v2
	v_min_u32_e32 v33, 32, v22
	v_subrev_u32_e32 v22, 28, v33
	v_lshlrev_b64 v[22:23], v22, v[20:21]
	v_and_b32_e32 v7, 0x7f, v20
	v_bfe_u32 v27, v20, 3, 4
	v_sub_u32_e32 v23, 29, v33
	v_and_b32_e32 v22, 7, v22
	v_cmp_gt_u32_e64 s[28:29], 8, v7
	v_cndmask_b32_e64 v23, v27, v23, s[28:29]
	v_cndmask_b32_e64 v2, v2, v22, s[28:29]
	v_lshlrev_b32_e32 v20, 24, v20
	v_bfrev_b32_e32 v22, 60
	v_lshlrev_b32_e32 v2, 20, v2
	v_and_b32_e32 v20, 0x80000000, v20
	v_lshl_add_u32 v22, v23, 23, v22
	v_or3_b32 v2, v20, v22, v2
	v_cmp_ne_u32_e64 s[28:29], s81, v7
	v_mov_b32_e32 v7, 0x7f800001
	v_cndmask_b32_e64 v2, v7, v2, s[28:29]
.LBB6_2301:                             ;   in Loop: Header=BB6_2153 Depth=4
	s_or_b64 exec, exec, s[36:37]
	v_mul_f32_e32 v2, v3, v2
	v_and_b32_e32 v20, 0x7f800000, v2
	v_cmp_ne_u64_e64 s[28:29], s[62:63], v[20:21]
                                        ; implicit-def: $vgpr27
	s_and_saveexec_b64 s[40:41], s[28:29]
	s_xor_b64 s[36:37], exec, s[40:41]
	s_cbranch_execz .LBB6_2315
; %bb.2302:                             ;   in Loop: Header=BB6_2153 Depth=4
	v_and_b32_e32 v20, 0x7fffffff, v2
	v_cmp_gt_u64_e64 s[28:29], s[78:79], v[20:21]
	v_and_b32_sdwa v7, v2, s80 dst_sel:DWORD dst_unused:UNUSED_PAD src0_sel:BYTE_3 src1_sel:DWORD
                                        ; implicit-def: $vgpr27
	s_and_saveexec_b64 s[40:41], s[28:29]
	s_xor_b64 s[38:39], exec, s[40:41]
	s_cbranch_execz .LBB6_2312
; %bb.2303:                             ;   in Loop: Header=BB6_2153 Depth=4
	v_mov_b32_e32 v27, 0
	v_cmp_ne_u32_e64 s[28:29], 0, v2
	s_and_saveexec_b64 s[48:49], s[28:29]
	s_cbranch_execz .LBB6_2311
; %bb.2304:                             ;   in Loop: Header=BB6_2153 Depth=4
	v_bfe_u32 v27, v2, 23, 8
	v_and_b32_e32 v3, 0x7fffff, v2
	v_cmp_gt_u32_e64 s[40:41], s47, v27
	v_sub_u32_e32 v2, 0x79, v27
	v_cmp_eq_u32_e64 s[28:29], 0, v27
	v_cndmask_b32_e64 v2, 0, v2, s[40:41]
	v_mov_b32_e32 v22, 0x78
	v_cndmask_b32_e64 v33, v2, v22, s[28:29]
	v_or_b32_e32 v20, 0x800000, v3
	v_add_u32_e32 v2, 20, v33
	v_cndmask_b32_e64 v20, v20, v3, s[28:29]
	v_lshlrev_b64 v[2:3], v2, -1
	v_add_u32_e32 v22, 19, v33
	v_lshlrev_b64 v[22:23], v22, 1
	v_bfi_b32 v3, v3, 0, 0
	v_bfi_b32 v2, v2, 0, v20
	v_cmp_eq_u64_e64 s[40:41], v[2:3], v[22:23]
	v_lshrrev_b64 v[2:3], v33, v[20:21]
	v_mov_b32_e32 v23, v3
	v_mov_b32_e32 v22, v2
	s_and_saveexec_b64 s[50:51], s[40:41]
; %bb.2305:                             ;   in Loop: Header=BB6_2153 Depth=4
	v_bfe_u32 v3, v2, 20, 1
	v_add_co_u32_e64 v3, s[40:41], v2, v3
	v_add_co_u32_e64 v22, s[40:41], -1, v3
; %bb.2306:                             ;   in Loop: Header=BB6_2153 Depth=4
	s_or_b64 exec, exec, s[50:51]
	v_add_u32_e32 v3, 0xffffff81, v27
	v_mov_b32_e32 v20, 0xffffff82
	v_cndmask_b32_e64 v3, v3, v20, s[28:29]
	v_lshrrev_b32_e32 v20, 23, v2
	v_add3_u32 v27, v33, v3, v20
	v_add_u32_e32 v23, 6, v27
	v_and_b32_e32 v3, 0xfffff, v22
	v_add_u32_e32 v20, v3, v2
	v_cmp_ne_u32_e64 s[28:29], 0, v23
                                        ; implicit-def: $vgpr2_vgpr3
                                        ; implicit-def: $vgpr22
	s_and_saveexec_b64 s[40:41], s[28:29]
	s_xor_b64 s[40:41], exec, s[40:41]
; %bb.2307:                             ;   in Loop: Header=BB6_2153 Depth=4
	v_cmp_lt_u64_e64 s[28:29], s[88:89], v[20:21]
	v_add_u32_e32 v2, 7, v27
	v_cndmask_b32_e64 v22, v23, v2, s[28:29]
	v_cndmask_b32_e64 v2, 0, 1, s[28:29]
	v_lshrrev_b64 v[2:3], v2, v[20:21]
; %bb.2308:                             ;   in Loop: Header=BB6_2153 Depth=4
	s_andn2_saveexec_b64 s[28:29], s[40:41]
; %bb.2309:                             ;   in Loop: Header=BB6_2153 Depth=4
	v_mov_b32_e32 v2, v20
	v_bfe_u32 v22, v20, 23, 1
	v_mov_b32_e32 v3, v21
; %bb.2310:                             ;   in Loop: Header=BB6_2153 Depth=4
	s_or_b64 exec, exec, s[28:29]
	v_lshrrev_b64 v[2:3], 20, v[2:3]
	v_cmp_gt_i32_e64 s[28:29], 16, v22
	v_cndmask_b32_e64 v3, 0, v3, s[28:29]
	v_cndmask_b32_e64 v2, 7, v2, s[28:29]
	v_cmp_eq_u64_e64 s[40:41], 0, v[2:3]
	v_min_i32_e32 v3, 15, v22
	v_lshlrev_b32_e32 v3, 3, v3
	v_cmp_eq_u32_e64 s[28:29], 0, v22
	v_and_b32_e32 v3, 0xf8, v3
	v_and_or_b32 v2, v2, 7, v3
	s_and_b64 s[28:29], s[28:29], s[40:41]
	v_cndmask_b32_e64 v2, v2, 0, s[28:29]
	v_or_b32_e32 v27, v2, v7
.LBB6_2311:                             ;   in Loop: Header=BB6_2153 Depth=4
	s_or_b64 exec, exec, s[48:49]
                                        ; implicit-def: $vgpr7
.LBB6_2312:                             ;   in Loop: Header=BB6_2153 Depth=4
	s_andn2_saveexec_b64 s[28:29], s[38:39]
; %bb.2313:                             ;   in Loop: Header=BB6_2153 Depth=4
	v_or_b32_e32 v27, 0x7e, v7
; %bb.2314:                             ;   in Loop: Header=BB6_2153 Depth=4
	s_or_b64 exec, exec, s[28:29]
                                        ; implicit-def: $vgpr2
.LBB6_2315:                             ;   in Loop: Header=BB6_2153 Depth=4
	s_andn2_saveexec_b64 s[28:29], s[36:37]
; %bb.2316:                             ;   in Loop: Header=BB6_2153 Depth=4
	v_or_b32_sdwa v27, v2, s81 dst_sel:DWORD dst_unused:UNUSED_PAD src0_sel:BYTE_3 src1_sel:DWORD
; %bb.2317:                             ;   in Loop: Header=BB6_2153 Depth=4
	s_or_b64 exec, exec, s[28:29]
	v_lshrrev_b32_e32 v2, 16, v13
	v_cmp_ne_u16_sdwa s[28:29], v2, v21 src0_sel:BYTE_0 src1_sel:DWORD
	v_mov_b32_e32 v3, 0
	s_and_saveexec_b64 s[40:41], s[28:29]
	s_cbranch_execz .LBB6_2323
; %bb.2318:                             ;   in Loop: Header=BB6_2153 Depth=4
	v_cmp_ne_u16_sdwa s[28:29], v2, s80 src0_sel:BYTE_0 src1_sel:DWORD
	v_bfrev_b32_e32 v3, 1
	s_and_saveexec_b64 s[36:37], s[28:29]
	s_cbranch_execz .LBB6_2322
; %bb.2319:                             ;   in Loop: Header=BB6_2153 Depth=4
	v_bfe_u32 v7, v13, 16, 7
	v_cmp_ne_u32_e64 s[28:29], s81, v7
	v_mov_b32_e32 v3, 0x7f800001
	s_and_saveexec_b64 s[38:39], s[28:29]
	s_cbranch_execz .LBB6_2321
; %bb.2320:                             ;   in Loop: Header=BB6_2153 Depth=4
	v_and_b32_e32 v3, 7, v2
	v_lshrrev_b32_e32 v20, 3, v7
	v_cmp_gt_u32_e64 s[28:29], 8, v7
	v_ffbh_u32_e32 v7, v3
	v_min_u32_e32 v7, 32, v7
	v_subrev_u32_e32 v22, 28, v7
	v_lshlrev_b64 v[22:23], v22, v[2:3]
	v_sub_u32_e32 v7, 29, v7
	v_and_b32_e32 v22, 7, v22
	v_cndmask_b32_e64 v7, v20, v7, s[28:29]
	v_cndmask_b32_e64 v3, v3, v22, s[28:29]
	v_lshlrev_b32_e32 v2, 24, v2
	v_bfrev_b32_e32 v20, 60
	v_lshlrev_b32_e32 v3, 20, v3
	v_and_b32_e32 v2, 0x80000000, v2
	v_lshl_add_u32 v7, v7, 23, v20
	v_or3_b32 v3, v2, v7, v3
.LBB6_2321:                             ;   in Loop: Header=BB6_2153 Depth=4
	s_or_b64 exec, exec, s[38:39]
.LBB6_2322:                             ;   in Loop: Header=BB6_2153 Depth=4
	s_or_b64 exec, exec, s[36:37]
.LBB6_2323:                             ;   in Loop: Header=BB6_2153 Depth=4
	s_or_b64 exec, exec, s[40:41]
	v_lshrrev_b32_e32 v2, 16, v9
	v_cmp_gt_i16_sdwa s[40:41], v2, s81 src0_sel:BYTE_0 src1_sel:DWORD
	s_mov_b64 s[28:29], 0
	s_and_saveexec_b64 s[36:37], s[40:41]
	s_xor_b64 s[40:41], exec, s[36:37]
	s_cbranch_execz .LBB6_2589
; %bb.2324:                             ;   in Loop: Header=BB6_2153 Depth=4
	v_cmp_eq_u16_sdwa s[38:39], v2, s80 src0_sel:BYTE_0 src1_sel:DWORD
	s_mov_b64 s[28:29], -1
	s_and_saveexec_b64 s[36:37], s[38:39]
; %bb.2325:                             ;   in Loop: Header=BB6_2153 Depth=4
	s_xor_b64 s[28:29], exec, -1
; %bb.2326:                             ;   in Loop: Header=BB6_2153 Depth=4
	s_or_b64 exec, exec, s[36:37]
	s_and_b64 s[28:29], s[28:29], exec
	s_or_saveexec_b64 s[40:41], s[40:41]
	v_bfrev_b32_e32 v7, 1
	s_xor_b64 exec, exec, s[40:41]
	s_cbranch_execnz .LBB6_2590
.LBB6_2327:                             ;   in Loop: Header=BB6_2153 Depth=4
	s_or_b64 exec, exec, s[40:41]
	s_and_saveexec_b64 s[40:41], s[28:29]
	s_cbranch_execz .LBB6_2329
.LBB6_2328:                             ;   in Loop: Header=BB6_2153 Depth=4
	v_and_b32_e32 v7, 7, v2
	v_ffbh_u32_e32 v22, v7
	v_min_u32_e32 v34, 32, v22
	v_subrev_u32_e32 v22, 28, v34
	v_lshlrev_b64 v[22:23], v22, v[2:3]
	v_and_b32_e32 v20, 0x7f, v2
	v_bfe_u32 v33, v2, 3, 4
	v_sub_u32_e32 v23, 29, v34
	v_and_b32_e32 v22, 7, v22
	v_cmp_gt_u32_e64 s[28:29], 8, v20
	v_cndmask_b32_e64 v23, v33, v23, s[28:29]
	v_cndmask_b32_e64 v7, v7, v22, s[28:29]
	v_lshlrev_b32_e32 v2, 24, v2
	v_bfrev_b32_e32 v22, 60
	v_lshlrev_b32_e32 v7, 20, v7
	v_and_b32_e32 v2, 0x80000000, v2
	v_lshl_add_u32 v22, v23, 23, v22
	v_or3_b32 v2, v2, v22, v7
	v_cmp_ne_u32_e64 s[28:29], s81, v20
	v_mov_b32_e32 v7, 0x7f800001
	v_cndmask_b32_e64 v7, v7, v2, s[28:29]
.LBB6_2329:                             ;   in Loop: Header=BB6_2153 Depth=4
	s_or_b64 exec, exec, s[40:41]
	v_mul_f32_e32 v2, v3, v7
	v_and_b32_e32 v20, 0x7f800000, v2
	v_cmp_ne_u64_e64 s[28:29], s[62:63], v[20:21]
                                        ; implicit-def: $vgpr22
	s_and_saveexec_b64 s[40:41], s[28:29]
	s_xor_b64 s[36:37], exec, s[40:41]
	s_cbranch_execz .LBB6_2343
; %bb.2330:                             ;   in Loop: Header=BB6_2153 Depth=4
	v_and_b32_e32 v20, 0x7fffffff, v2
	v_cmp_gt_u64_e64 s[28:29], s[78:79], v[20:21]
	v_and_b32_sdwa v7, v2, s80 dst_sel:DWORD dst_unused:UNUSED_PAD src0_sel:BYTE_3 src1_sel:DWORD
                                        ; implicit-def: $vgpr22
	s_and_saveexec_b64 s[40:41], s[28:29]
	s_xor_b64 s[38:39], exec, s[40:41]
	s_cbranch_execz .LBB6_2340
; %bb.2331:                             ;   in Loop: Header=BB6_2153 Depth=4
	v_mov_b32_e32 v22, 0
	v_cmp_ne_u32_e64 s[28:29], 0, v2
	s_and_saveexec_b64 s[48:49], s[28:29]
	s_cbranch_execz .LBB6_2339
; %bb.2332:                             ;   in Loop: Header=BB6_2153 Depth=4
	v_bfe_u32 v33, v2, 23, 8
	v_and_b32_e32 v3, 0x7fffff, v2
	v_cmp_gt_u32_e64 s[40:41], s47, v33
	v_sub_u32_e32 v2, 0x79, v33
	v_cmp_eq_u32_e64 s[28:29], 0, v33
	v_cndmask_b32_e64 v2, 0, v2, s[40:41]
	v_mov_b32_e32 v22, 0x78
	v_cndmask_b32_e64 v34, v2, v22, s[28:29]
	v_or_b32_e32 v20, 0x800000, v3
	v_add_u32_e32 v2, 20, v34
	v_cndmask_b32_e64 v20, v20, v3, s[28:29]
	v_lshlrev_b64 v[2:3], v2, -1
	v_add_u32_e32 v22, 19, v34
	v_lshlrev_b64 v[22:23], v22, 1
	v_bfi_b32 v3, v3, 0, 0
	v_bfi_b32 v2, v2, 0, v20
	v_cmp_eq_u64_e64 s[40:41], v[2:3], v[22:23]
	v_lshrrev_b64 v[2:3], v34, v[20:21]
	v_mov_b32_e32 v23, v3
	v_mov_b32_e32 v22, v2
	s_and_saveexec_b64 s[50:51], s[40:41]
; %bb.2333:                             ;   in Loop: Header=BB6_2153 Depth=4
	v_bfe_u32 v3, v2, 20, 1
	v_add_co_u32_e64 v3, s[40:41], v2, v3
	v_add_co_u32_e64 v22, s[40:41], -1, v3
; %bb.2334:                             ;   in Loop: Header=BB6_2153 Depth=4
	s_or_b64 exec, exec, s[50:51]
	v_add_u32_e32 v3, 0xffffff81, v33
	v_mov_b32_e32 v20, 0xffffff82
	v_cndmask_b32_e64 v3, v3, v20, s[28:29]
	v_lshrrev_b32_e32 v20, 23, v2
	v_add3_u32 v33, v34, v3, v20
	v_add_u32_e32 v23, 6, v33
	v_and_b32_e32 v3, 0xfffff, v22
	v_add_u32_e32 v20, v3, v2
	v_cmp_ne_u32_e64 s[28:29], 0, v23
                                        ; implicit-def: $vgpr2_vgpr3
                                        ; implicit-def: $vgpr22
	s_and_saveexec_b64 s[40:41], s[28:29]
	s_xor_b64 s[40:41], exec, s[40:41]
; %bb.2335:                             ;   in Loop: Header=BB6_2153 Depth=4
	v_cmp_lt_u64_e64 s[28:29], s[88:89], v[20:21]
	v_add_u32_e32 v2, 7, v33
	v_cndmask_b32_e64 v22, v23, v2, s[28:29]
	v_cndmask_b32_e64 v2, 0, 1, s[28:29]
	v_lshrrev_b64 v[2:3], v2, v[20:21]
; %bb.2336:                             ;   in Loop: Header=BB6_2153 Depth=4
	s_andn2_saveexec_b64 s[28:29], s[40:41]
; %bb.2337:                             ;   in Loop: Header=BB6_2153 Depth=4
	v_mov_b32_e32 v2, v20
	v_bfe_u32 v22, v20, 23, 1
	v_mov_b32_e32 v3, v21
; %bb.2338:                             ;   in Loop: Header=BB6_2153 Depth=4
	s_or_b64 exec, exec, s[28:29]
	v_lshrrev_b64 v[2:3], 20, v[2:3]
	v_cmp_gt_i32_e64 s[28:29], 16, v22
	v_cndmask_b32_e64 v3, 0, v3, s[28:29]
	v_cndmask_b32_e64 v2, 7, v2, s[28:29]
	v_cmp_eq_u64_e64 s[40:41], 0, v[2:3]
	v_min_i32_e32 v3, 15, v22
	v_lshlrev_b32_e32 v3, 3, v3
	v_cmp_eq_u32_e64 s[28:29], 0, v22
	v_and_b32_e32 v3, 0xf8, v3
	v_and_or_b32 v2, v2, 7, v3
	s_and_b64 s[28:29], s[28:29], s[40:41]
	v_cndmask_b32_e64 v2, v2, 0, s[28:29]
	v_or_b32_e32 v22, v2, v7
.LBB6_2339:                             ;   in Loop: Header=BB6_2153 Depth=4
	s_or_b64 exec, exec, s[48:49]
                                        ; implicit-def: $vgpr7
.LBB6_2340:                             ;   in Loop: Header=BB6_2153 Depth=4
	s_andn2_saveexec_b64 s[28:29], s[38:39]
; %bb.2341:                             ;   in Loop: Header=BB6_2153 Depth=4
	v_or_b32_e32 v22, 0x7e, v7
; %bb.2342:                             ;   in Loop: Header=BB6_2153 Depth=4
	s_or_b64 exec, exec, s[28:29]
                                        ; implicit-def: $vgpr2
.LBB6_2343:                             ;   in Loop: Header=BB6_2153 Depth=4
	s_andn2_saveexec_b64 s[28:29], s[36:37]
; %bb.2344:                             ;   in Loop: Header=BB6_2153 Depth=4
	v_or_b32_sdwa v22, v2, s81 dst_sel:DWORD dst_unused:UNUSED_PAD src0_sel:BYTE_3 src1_sel:DWORD
; %bb.2345:                             ;   in Loop: Header=BB6_2153 Depth=4
	s_or_b64 exec, exec, s[28:29]
	v_cmp_lt_u64_e64 s[28:29], s[56:57], v[12:13]
	v_mov_b32_e32 v3, 0
	s_and_saveexec_b64 s[40:41], s[28:29]
	s_cbranch_execz .LBB6_2351
; %bb.2346:                             ;   in Loop: Header=BB6_2153 Depth=4
	v_lshrrev_b32_e32 v2, 24, v13
	v_cmp_ne_u32_e64 s[28:29], s80, v2
	v_bfrev_b32_e32 v3, 1
	s_and_saveexec_b64 s[36:37], s[28:29]
	s_cbranch_execz .LBB6_2350
; %bb.2347:                             ;   in Loop: Header=BB6_2153 Depth=4
	v_bfe_u32 v7, v13, 24, 7
	v_cmp_ne_u32_e64 s[28:29], s81, v7
	v_mov_b32_e32 v3, 0x7f800001
	s_and_saveexec_b64 s[38:39], s[28:29]
	s_cbranch_execz .LBB6_2349
; %bb.2348:                             ;   in Loop: Header=BB6_2153 Depth=4
	v_and_b32_e32 v3, 7, v2
	v_lshrrev_b32_e32 v20, 3, v7
	v_cmp_gt_u32_e64 s[28:29], 8, v7
	v_ffbh_u32_e32 v7, v3
	v_min_u32_e32 v7, 32, v7
	v_subrev_u32_e32 v12, 28, v7
	v_lshlrev_b64 v[12:13], v12, v[2:3]
	v_sub_u32_e32 v7, 29, v7
	v_and_b32_e32 v12, 7, v12
	v_cndmask_b32_e64 v7, v20, v7, s[28:29]
	v_cndmask_b32_e64 v3, v3, v12, s[28:29]
	v_lshlrev_b32_e32 v2, 24, v2
	v_bfrev_b32_e32 v12, 60
	v_lshlrev_b32_e32 v3, 20, v3
	v_and_b32_e32 v2, 0x80000000, v2
	v_lshl_add_u32 v7, v7, 23, v12
	v_or3_b32 v3, v2, v7, v3
.LBB6_2349:                             ;   in Loop: Header=BB6_2153 Depth=4
	s_or_b64 exec, exec, s[38:39]
.LBB6_2350:                             ;   in Loop: Header=BB6_2153 Depth=4
	s_or_b64 exec, exec, s[36:37]
.LBB6_2351:                             ;   in Loop: Header=BB6_2153 Depth=4
	s_or_b64 exec, exec, s[40:41]
	v_bfe_u32 v7, v9, 24, 3
	v_ffbh_u32_e32 v12, v7
	v_min_u32_e32 v33, 32, v12
	v_lshrrev_b32_e32 v2, 24, v9
	v_subrev_u32_e32 v12, 28, v33
	v_lshlrev_b64 v[12:13], v12, v[2:3]
	v_bfe_u32 v20, v9, 24, 7
	v_bfe_u32 v23, v2, 3, 4
	v_sub_u32_e32 v13, 29, v33
	v_and_b32_e32 v12, 7, v12
	v_cmp_gt_u32_e64 s[28:29], 8, v20
	v_cndmask_b32_e64 v13, v23, v13, s[28:29]
	v_cndmask_b32_e64 v7, v7, v12, s[28:29]
	v_bfrev_b32_e32 v23, 60
	v_lshlrev_b32_e32 v7, 20, v7
	v_and_b32_e32 v12, 0x80000000, v9
	v_lshl_add_u32 v13, v13, 23, v23
	v_or3_b32 v7, v12, v13, v7
	v_cmp_ne_u32_e64 s[28:29], s81, v20
	v_mov_b32_e32 v12, 0x7f800001
	v_cndmask_b32_e64 v7, v12, v7, s[28:29]
	v_cmp_ne_u32_e64 s[28:29], s80, v2
	v_bfrev_b32_e32 v2, 1
	v_cndmask_b32_e64 v2, v2, v7, s[28:29]
	v_cmp_lt_u64_e64 s[28:29], s[56:57], v[8:9]
                                        ; implicit-def: $vgpr23
	v_cndmask_b32_e64 v2, 0, v2, s[28:29]
	v_mul_f32_e32 v2, v2, v3
	v_and_b32_e32 v20, 0x7f800000, v2
	v_cmp_ne_u64_e64 s[28:29], s[62:63], v[20:21]
	s_and_saveexec_b64 s[40:41], s[28:29]
	s_xor_b64 s[36:37], exec, s[40:41]
	s_cbranch_execz .LBB6_2365
; %bb.2352:                             ;   in Loop: Header=BB6_2153 Depth=4
	v_and_b32_e32 v20, 0x7fffffff, v2
	v_cmp_gt_u64_e64 s[28:29], s[78:79], v[20:21]
	v_and_b32_sdwa v9, v2, s80 dst_sel:DWORD dst_unused:UNUSED_PAD src0_sel:BYTE_3 src1_sel:DWORD
                                        ; implicit-def: $vgpr23
	s_and_saveexec_b64 s[40:41], s[28:29]
	s_xor_b64 s[38:39], exec, s[40:41]
	s_cbranch_execz .LBB6_2362
; %bb.2353:                             ;   in Loop: Header=BB6_2153 Depth=4
	v_mov_b32_e32 v23, 0
	v_cmp_ne_u32_e64 s[28:29], 0, v2
	s_and_saveexec_b64 s[48:49], s[28:29]
	s_cbranch_execz .LBB6_2361
; %bb.2354:                             ;   in Loop: Header=BB6_2153 Depth=4
	v_bfe_u32 v12, v2, 23, 8
	v_and_b32_e32 v3, 0x7fffff, v2
	v_cmp_gt_u32_e64 s[40:41], s47, v12
	v_sub_u32_e32 v2, 0x79, v12
	v_cmp_eq_u32_e64 s[28:29], 0, v12
	v_cndmask_b32_e64 v2, 0, v2, s[40:41]
	v_mov_b32_e32 v8, 0x78
	v_cndmask_b32_e64 v13, v2, v8, s[28:29]
	v_or_b32_e32 v7, 0x800000, v3
	v_add_u32_e32 v2, 20, v13
	v_cndmask_b32_e64 v20, v7, v3, s[28:29]
	v_lshlrev_b64 v[2:3], v2, -1
	v_add_u32_e32 v7, 19, v13
	v_lshlrev_b64 v[7:8], v7, 1
	v_bfi_b32 v3, v3, 0, 0
	v_bfi_b32 v2, v2, 0, v20
	v_cmp_eq_u64_e64 s[40:41], v[2:3], v[7:8]
	v_lshrrev_b64 v[2:3], v13, v[20:21]
	v_mov_b32_e32 v8, v3
	v_mov_b32_e32 v7, v2
	s_and_saveexec_b64 s[50:51], s[40:41]
; %bb.2355:                             ;   in Loop: Header=BB6_2153 Depth=4
	v_bfe_u32 v3, v2, 20, 1
	v_add_co_u32_e64 v3, s[40:41], v2, v3
	v_add_co_u32_e64 v7, s[40:41], -1, v3
; %bb.2356:                             ;   in Loop: Header=BB6_2153 Depth=4
	s_or_b64 exec, exec, s[50:51]
	v_add_u32_e32 v3, 0xffffff81, v12
	v_mov_b32_e32 v8, 0xffffff82
	v_cndmask_b32_e64 v3, v3, v8, s[28:29]
	v_lshrrev_b32_e32 v8, 23, v2
	v_add3_u32 v12, v13, v3, v8
	v_add_u32_e32 v8, 6, v12
	v_and_b32_e32 v3, 0xfffff, v7
	v_add_u32_e32 v20, v3, v2
	v_cmp_ne_u32_e64 s[28:29], 0, v8
                                        ; implicit-def: $vgpr2_vgpr3
                                        ; implicit-def: $vgpr7
	s_and_saveexec_b64 s[40:41], s[28:29]
	s_xor_b64 s[40:41], exec, s[40:41]
; %bb.2357:                             ;   in Loop: Header=BB6_2153 Depth=4
	v_cmp_lt_u64_e64 s[28:29], s[88:89], v[20:21]
	v_add_u32_e32 v2, 7, v12
	v_cndmask_b32_e64 v7, v8, v2, s[28:29]
	v_cndmask_b32_e64 v2, 0, 1, s[28:29]
	v_lshrrev_b64 v[2:3], v2, v[20:21]
; %bb.2358:                             ;   in Loop: Header=BB6_2153 Depth=4
	s_andn2_saveexec_b64 s[28:29], s[40:41]
; %bb.2359:                             ;   in Loop: Header=BB6_2153 Depth=4
	v_mov_b32_e32 v2, v20
	v_bfe_u32 v7, v20, 23, 1
	v_mov_b32_e32 v3, v21
; %bb.2360:                             ;   in Loop: Header=BB6_2153 Depth=4
	s_or_b64 exec, exec, s[28:29]
	v_lshrrev_b64 v[2:3], 20, v[2:3]
	v_cmp_gt_i32_e64 s[28:29], 16, v7
	v_cndmask_b32_e64 v3, 0, v3, s[28:29]
	v_cndmask_b32_e64 v2, 7, v2, s[28:29]
	v_cmp_eq_u64_e64 s[40:41], 0, v[2:3]
	v_min_i32_e32 v3, 15, v7
	v_lshlrev_b32_e32 v3, 3, v3
	v_cmp_eq_u32_e64 s[28:29], 0, v7
	v_and_b32_e32 v3, 0xf8, v3
	v_and_or_b32 v2, v2, 7, v3
	s_and_b64 s[28:29], s[28:29], s[40:41]
	v_cndmask_b32_e64 v2, v2, 0, s[28:29]
	v_or_b32_e32 v23, v2, v9
.LBB6_2361:                             ;   in Loop: Header=BB6_2153 Depth=4
	s_or_b64 exec, exec, s[48:49]
                                        ; implicit-def: $vgpr9
.LBB6_2362:                             ;   in Loop: Header=BB6_2153 Depth=4
	s_andn2_saveexec_b64 s[28:29], s[38:39]
; %bb.2363:                             ;   in Loop: Header=BB6_2153 Depth=4
	v_or_b32_e32 v23, 0x7e, v9
; %bb.2364:                             ;   in Loop: Header=BB6_2153 Depth=4
	s_or_b64 exec, exec, s[28:29]
                                        ; implicit-def: $vgpr2
.LBB6_2365:                             ;   in Loop: Header=BB6_2153 Depth=4
	s_andn2_saveexec_b64 s[28:29], s[36:37]
; %bb.2366:                             ;   in Loop: Header=BB6_2153 Depth=4
	v_or_b32_sdwa v23, v2, s81 dst_sel:DWORD dst_unused:UNUSED_PAD src0_sel:BYTE_3 src1_sel:DWORD
; %bb.2367:                             ;   in Loop: Header=BB6_2153 Depth=4
	s_or_b64 exec, exec, s[28:29]
	v_cmp_ne_u16_sdwa s[28:29], v14, v21 src0_sel:BYTE_0 src1_sel:DWORD
	v_mov_b32_e32 v2, 0
	s_and_saveexec_b64 s[40:41], s[28:29]
	s_cbranch_execz .LBB6_2373
; %bb.2368:                             ;   in Loop: Header=BB6_2153 Depth=4
	v_cmp_ne_u16_sdwa s[28:29], v14, s80 src0_sel:BYTE_0 src1_sel:DWORD
	v_bfrev_b32_e32 v2, 1
	s_and_saveexec_b64 s[36:37], s[28:29]
	s_cbranch_execz .LBB6_2372
; %bb.2369:                             ;   in Loop: Header=BB6_2153 Depth=4
	v_and_b32_e32 v3, 0x7f, v14
	v_cmp_ne_u32_e64 s[28:29], s81, v3
	v_mov_b32_e32 v2, 0x7f800001
	s_and_saveexec_b64 s[38:39], s[28:29]
	s_cbranch_execz .LBB6_2371
; %bb.2370:                             ;   in Loop: Header=BB6_2153 Depth=4
	v_and_b32_e32 v2, 7, v14
	v_ffbh_u32_e32 v2, v2
	v_min_u32_e32 v2, 32, v2
	v_lshrrev_b32_e32 v7, 3, v3
	v_cmp_gt_u32_e64 s[28:29], 8, v3
	v_subrev_u32_e32 v3, 28, v2
	v_sub_u32_e32 v2, 29, v2
	v_cndmask_b32_e64 v7, v7, v2, s[28:29]
	v_cndmask_b32_e64 v2, 0, v3, s[28:29]
	v_lshlrev_b64 v[2:3], v2, v[14:15]
	v_lshlrev_b32_e32 v3, 24, v14
	v_lshlrev_b32_e32 v2, 20, v2
	v_bfrev_b32_e32 v8, 60
	v_and_b32_e32 v2, 0x700000, v2
	v_and_b32_e32 v3, 0x80000000, v3
	v_lshl_add_u32 v7, v7, 23, v8
	v_or3_b32 v2, v3, v7, v2
.LBB6_2371:                             ;   in Loop: Header=BB6_2153 Depth=4
	s_or_b64 exec, exec, s[38:39]
.LBB6_2372:                             ;   in Loop: Header=BB6_2153 Depth=4
	s_or_b64 exec, exec, s[36:37]
.LBB6_2373:                             ;   in Loop: Header=BB6_2153 Depth=4
	s_or_b64 exec, exec, s[40:41]
	v_cmp_gt_i16_sdwa s[40:41], v10, s81 src0_sel:BYTE_0 src1_sel:DWORD
	s_mov_b64 s[28:29], 0
	s_and_saveexec_b64 s[36:37], s[40:41]
	s_xor_b64 s[40:41], exec, s[36:37]
	s_cbranch_execz .LBB6_2591
; %bb.2374:                             ;   in Loop: Header=BB6_2153 Depth=4
	v_cmp_eq_u16_sdwa s[38:39], v10, s80 src0_sel:BYTE_0 src1_sel:DWORD
	s_mov_b64 s[28:29], -1
	s_and_saveexec_b64 s[36:37], s[38:39]
; %bb.2375:                             ;   in Loop: Header=BB6_2153 Depth=4
	s_xor_b64 s[28:29], exec, -1
; %bb.2376:                             ;   in Loop: Header=BB6_2153 Depth=4
	s_or_b64 exec, exec, s[36:37]
	s_and_b64 s[28:29], s[28:29], exec
	s_or_saveexec_b64 s[40:41], s[40:41]
	v_bfrev_b32_e32 v3, 1
	s_xor_b64 exec, exec, s[40:41]
	s_cbranch_execnz .LBB6_2592
.LBB6_2377:                             ;   in Loop: Header=BB6_2153 Depth=4
	s_or_b64 exec, exec, s[40:41]
	s_and_saveexec_b64 s[40:41], s[28:29]
	s_cbranch_execz .LBB6_2379
.LBB6_2378:                             ;   in Loop: Header=BB6_2153 Depth=4
	v_and_b32_e32 v3, 7, v10
	v_ffbh_u32_e32 v3, v3
	v_and_b32_e32 v9, 0x7f, v10
	v_min_u32_e32 v3, 32, v3
	v_bfe_u32 v7, v10, 3, 4
	v_subrev_u32_e32 v8, 28, v3
	v_sub_u32_e32 v3, 29, v3
	v_cmp_gt_u32_e64 s[28:29], 8, v9
	v_cndmask_b32_e64 v3, v7, v3, s[28:29]
	v_cndmask_b32_e64 v7, 0, v8, s[28:29]
	v_lshlrev_b64 v[7:8], v7, v[10:11]
	v_lshlrev_b32_e32 v8, 24, v10
	v_lshlrev_b32_e32 v7, 20, v7
	v_bfrev_b32_e32 v12, 60
	v_and_b32_e32 v7, 0x700000, v7
	v_and_b32_e32 v8, 0x80000000, v8
	v_lshl_add_u32 v3, v3, 23, v12
	v_or3_b32 v3, v8, v3, v7
	v_cmp_ne_u32_e64 s[28:29], s81, v9
	v_mov_b32_e32 v7, 0x7f800001
	v_cndmask_b32_e64 v3, v7, v3, s[28:29]
.LBB6_2379:                             ;   in Loop: Header=BB6_2153 Depth=4
	s_or_b64 exec, exec, s[40:41]
	v_mul_f32_e32 v2, v2, v3
	v_and_b32_e32 v20, 0x7f800000, v2
	v_cmp_ne_u64_e64 s[28:29], s[62:63], v[20:21]
                                        ; implicit-def: $vgpr33
	s_and_saveexec_b64 s[40:41], s[28:29]
	s_xor_b64 s[36:37], exec, s[40:41]
	s_cbranch_execz .LBB6_2393
; %bb.2380:                             ;   in Loop: Header=BB6_2153 Depth=4
	v_and_b32_e32 v20, 0x7fffffff, v2
	v_cmp_gt_u64_e64 s[28:29], s[78:79], v[20:21]
	v_and_b32_sdwa v9, v2, s80 dst_sel:DWORD dst_unused:UNUSED_PAD src0_sel:BYTE_3 src1_sel:DWORD
                                        ; implicit-def: $vgpr33
	s_and_saveexec_b64 s[40:41], s[28:29]
	s_xor_b64 s[38:39], exec, s[40:41]
	s_cbranch_execz .LBB6_2390
; %bb.2381:                             ;   in Loop: Header=BB6_2153 Depth=4
	v_mov_b32_e32 v33, 0
	v_cmp_ne_u32_e64 s[28:29], 0, v2
	s_and_saveexec_b64 s[48:49], s[28:29]
	s_cbranch_execz .LBB6_2389
; %bb.2382:                             ;   in Loop: Header=BB6_2153 Depth=4
	v_bfe_u32 v12, v2, 23, 8
	v_and_b32_e32 v3, 0x7fffff, v2
	v_cmp_gt_u32_e64 s[40:41], s47, v12
	v_sub_u32_e32 v2, 0x79, v12
	v_cmp_eq_u32_e64 s[28:29], 0, v12
	v_cndmask_b32_e64 v2, 0, v2, s[40:41]
	v_mov_b32_e32 v8, 0x78
	v_cndmask_b32_e64 v13, v2, v8, s[28:29]
	v_or_b32_e32 v7, 0x800000, v3
	v_add_u32_e32 v2, 20, v13
	v_cndmask_b32_e64 v20, v7, v3, s[28:29]
	v_lshlrev_b64 v[2:3], v2, -1
	v_add_u32_e32 v7, 19, v13
	v_lshlrev_b64 v[7:8], v7, 1
	v_bfi_b32 v3, v3, 0, 0
	v_bfi_b32 v2, v2, 0, v20
	v_cmp_eq_u64_e64 s[40:41], v[2:3], v[7:8]
	v_lshrrev_b64 v[2:3], v13, v[20:21]
	v_mov_b32_e32 v8, v3
	v_mov_b32_e32 v7, v2
	s_and_saveexec_b64 s[50:51], s[40:41]
; %bb.2383:                             ;   in Loop: Header=BB6_2153 Depth=4
	v_bfe_u32 v3, v2, 20, 1
	v_add_co_u32_e64 v3, s[40:41], v2, v3
	v_add_co_u32_e64 v7, s[40:41], -1, v3
; %bb.2384:                             ;   in Loop: Header=BB6_2153 Depth=4
	s_or_b64 exec, exec, s[50:51]
	v_add_u32_e32 v3, 0xffffff81, v12
	v_mov_b32_e32 v8, 0xffffff82
	v_cndmask_b32_e64 v3, v3, v8, s[28:29]
	v_lshrrev_b32_e32 v8, 23, v2
	v_add3_u32 v12, v13, v3, v8
	v_add_u32_e32 v8, 6, v12
	v_and_b32_e32 v3, 0xfffff, v7
	v_add_u32_e32 v20, v3, v2
	v_cmp_ne_u32_e64 s[28:29], 0, v8
                                        ; implicit-def: $vgpr2_vgpr3
                                        ; implicit-def: $vgpr7
	s_and_saveexec_b64 s[40:41], s[28:29]
	s_xor_b64 s[40:41], exec, s[40:41]
; %bb.2385:                             ;   in Loop: Header=BB6_2153 Depth=4
	v_cmp_lt_u64_e64 s[28:29], s[88:89], v[20:21]
	v_add_u32_e32 v2, 7, v12
	v_cndmask_b32_e64 v7, v8, v2, s[28:29]
	v_cndmask_b32_e64 v2, 0, 1, s[28:29]
	v_lshrrev_b64 v[2:3], v2, v[20:21]
; %bb.2386:                             ;   in Loop: Header=BB6_2153 Depth=4
	s_andn2_saveexec_b64 s[28:29], s[40:41]
; %bb.2387:                             ;   in Loop: Header=BB6_2153 Depth=4
	v_mov_b32_e32 v2, v20
	v_bfe_u32 v7, v20, 23, 1
	v_mov_b32_e32 v3, v21
; %bb.2388:                             ;   in Loop: Header=BB6_2153 Depth=4
	s_or_b64 exec, exec, s[28:29]
	v_lshrrev_b64 v[2:3], 20, v[2:3]
	v_cmp_gt_i32_e64 s[28:29], 16, v7
	v_cndmask_b32_e64 v3, 0, v3, s[28:29]
	v_cndmask_b32_e64 v2, 7, v2, s[28:29]
	v_cmp_eq_u64_e64 s[40:41], 0, v[2:3]
	v_min_i32_e32 v3, 15, v7
	v_lshlrev_b32_e32 v3, 3, v3
	v_cmp_eq_u32_e64 s[28:29], 0, v7
	v_and_b32_e32 v3, 0xf8, v3
	v_and_or_b32 v2, v2, 7, v3
	s_and_b64 s[28:29], s[28:29], s[40:41]
	v_cndmask_b32_e64 v2, v2, 0, s[28:29]
	v_or_b32_e32 v33, v2, v9
.LBB6_2389:                             ;   in Loop: Header=BB6_2153 Depth=4
	s_or_b64 exec, exec, s[48:49]
                                        ; implicit-def: $vgpr9
.LBB6_2390:                             ;   in Loop: Header=BB6_2153 Depth=4
	s_andn2_saveexec_b64 s[28:29], s[38:39]
; %bb.2391:                             ;   in Loop: Header=BB6_2153 Depth=4
	v_or_b32_e32 v33, 0x7e, v9
; %bb.2392:                             ;   in Loop: Header=BB6_2153 Depth=4
	s_or_b64 exec, exec, s[28:29]
                                        ; implicit-def: $vgpr2
.LBB6_2393:                             ;   in Loop: Header=BB6_2153 Depth=4
	s_andn2_saveexec_b64 s[28:29], s[36:37]
; %bb.2394:                             ;   in Loop: Header=BB6_2153 Depth=4
	v_or_b32_sdwa v33, v2, s81 dst_sel:DWORD dst_unused:UNUSED_PAD src0_sel:BYTE_3 src1_sel:DWORD
; %bb.2395:                             ;   in Loop: Header=BB6_2153 Depth=4
	s_or_b64 exec, exec, s[28:29]
	v_lshrrev_b16_e32 v2, 8, v14
	v_cmp_ne_u16_e64 s[28:29], 0, v2
	v_mov_b32_e32 v3, 0
	s_and_saveexec_b64 s[40:41], s[28:29]
	s_cbranch_execz .LBB6_2401
; %bb.2396:                             ;   in Loop: Header=BB6_2153 Depth=4
	v_cmp_ne_u16_e64 s[28:29], s80, v2
	v_bfrev_b32_e32 v3, 1
	s_and_saveexec_b64 s[36:37], s[28:29]
	s_cbranch_execz .LBB6_2400
; %bb.2397:                             ;   in Loop: Header=BB6_2153 Depth=4
	v_and_b32_e32 v7, 0x7f, v2
	v_cmp_ne_u32_e64 s[28:29], s81, v7
	v_mov_b32_e32 v3, 0x7f800001
	s_and_saveexec_b64 s[38:39], s[28:29]
	s_cbranch_execz .LBB6_2399
; %bb.2398:                             ;   in Loop: Header=BB6_2153 Depth=4
	v_and_b32_e32 v8, 7, v2
	v_ffbh_u32_e32 v3, v8
	v_lshrrev_b32_e32 v9, 3, v7
	v_cmp_gt_u32_e64 s[28:29], 8, v7
	v_min_u32_e32 v7, 32, v3
	v_subrev_u32_e32 v3, 28, v7
	v_lshlrev_b64 v[2:3], v3, v[2:3]
	v_sub_u32_e32 v3, 29, v7
	v_and_b32_e32 v2, 7, v2
	v_cndmask_b32_e64 v3, v9, v3, s[28:29]
	v_cndmask_b32_e64 v2, v8, v2, s[28:29]
	v_lshlrev_b32_e32 v7, 16, v14
	v_bfrev_b32_e32 v8, 60
	v_lshlrev_b32_e32 v2, 20, v2
	v_and_b32_e32 v7, 0x80000000, v7
	v_lshl_add_u32 v3, v3, 23, v8
	v_or3_b32 v3, v7, v3, v2
.LBB6_2399:                             ;   in Loop: Header=BB6_2153 Depth=4
	s_or_b64 exec, exec, s[38:39]
.LBB6_2400:                             ;   in Loop: Header=BB6_2153 Depth=4
	s_or_b64 exec, exec, s[36:37]
.LBB6_2401:                             ;   in Loop: Header=BB6_2153 Depth=4
	s_or_b64 exec, exec, s[40:41]
	v_lshrrev_b16_e32 v20, 8, v10
	v_cmp_lt_i16_e64 s[28:29], s81, v20
	s_mov_b64 s[40:41], 0
	s_and_saveexec_b64 s[36:37], s[28:29]
	s_xor_b64 s[36:37], exec, s[36:37]
	s_cbranch_execz .LBB6_2593
; %bb.2402:                             ;   in Loop: Header=BB6_2153 Depth=4
	v_cmp_eq_u16_e64 s[28:29], s80, v20
	s_mov_b64 s[40:41], -1
	s_and_saveexec_b64 s[38:39], s[28:29]
; %bb.2403:                             ;   in Loop: Header=BB6_2153 Depth=4
	s_xor_b64 s[40:41], exec, -1
; %bb.2404:                             ;   in Loop: Header=BB6_2153 Depth=4
	s_or_b64 exec, exec, s[38:39]
	s_and_b64 s[40:41], s[40:41], exec
	s_or_saveexec_b64 s[36:37], s[36:37]
	v_bfrev_b32_e32 v2, 1
	s_xor_b64 exec, exec, s[36:37]
	s_cbranch_execnz .LBB6_2594
.LBB6_2405:                             ;   in Loop: Header=BB6_2153 Depth=4
	s_or_b64 exec, exec, s[36:37]
	s_and_saveexec_b64 s[36:37], s[40:41]
	s_cbranch_execz .LBB6_2407
.LBB6_2406:                             ;   in Loop: Header=BB6_2153 Depth=4
	v_and_b32_e32 v2, 7, v20
	v_ffbh_u32_e32 v7, v2
	v_min_u32_e32 v13, 32, v7
	v_subrev_u32_e32 v7, 28, v13
	v_lshlrev_b64 v[7:8], v7, v[20:21]
	v_and_b32_e32 v9, 0x7f, v20
	v_bfe_u32 v12, v20, 3, 4
	v_sub_u32_e32 v8, 29, v13
	v_and_b32_e32 v7, 7, v7
	v_cmp_gt_u32_e64 s[28:29], 8, v9
	v_cndmask_b32_e64 v8, v12, v8, s[28:29]
	v_cndmask_b32_e64 v2, v2, v7, s[28:29]
	v_lshlrev_b32_e32 v7, 24, v20
	v_bfrev_b32_e32 v12, 60
	v_lshlrev_b32_e32 v2, 20, v2
	v_and_b32_e32 v7, 0x80000000, v7
	v_lshl_add_u32 v8, v8, 23, v12
	v_or3_b32 v2, v7, v8, v2
	v_cmp_ne_u32_e64 s[28:29], s81, v9
	v_mov_b32_e32 v7, 0x7f800001
	v_cndmask_b32_e64 v2, v7, v2, s[28:29]
.LBB6_2407:                             ;   in Loop: Header=BB6_2153 Depth=4
	s_or_b64 exec, exec, s[36:37]
	v_mul_f32_e32 v2, v3, v2
	v_and_b32_e32 v20, 0x7f800000, v2
	v_cmp_ne_u64_e64 s[28:29], s[62:63], v[20:21]
                                        ; implicit-def: $vgpr34
	s_and_saveexec_b64 s[40:41], s[28:29]
	s_xor_b64 s[36:37], exec, s[40:41]
	s_cbranch_execz .LBB6_2421
; %bb.2408:                             ;   in Loop: Header=BB6_2153 Depth=4
	v_and_b32_e32 v20, 0x7fffffff, v2
	v_cmp_gt_u64_e64 s[28:29], s[78:79], v[20:21]
	v_and_b32_sdwa v9, v2, s80 dst_sel:DWORD dst_unused:UNUSED_PAD src0_sel:BYTE_3 src1_sel:DWORD
                                        ; implicit-def: $vgpr34
	s_and_saveexec_b64 s[40:41], s[28:29]
	s_xor_b64 s[38:39], exec, s[40:41]
	s_cbranch_execz .LBB6_2418
; %bb.2409:                             ;   in Loop: Header=BB6_2153 Depth=4
	v_mov_b32_e32 v34, 0
	v_cmp_ne_u32_e64 s[28:29], 0, v2
	s_and_saveexec_b64 s[48:49], s[28:29]
	s_cbranch_execz .LBB6_2417
; %bb.2410:                             ;   in Loop: Header=BB6_2153 Depth=4
	v_bfe_u32 v12, v2, 23, 8
	v_and_b32_e32 v3, 0x7fffff, v2
	v_cmp_gt_u32_e64 s[40:41], s47, v12
	v_sub_u32_e32 v2, 0x79, v12
	v_cmp_eq_u32_e64 s[28:29], 0, v12
	v_cndmask_b32_e64 v2, 0, v2, s[40:41]
	v_mov_b32_e32 v8, 0x78
	v_cndmask_b32_e64 v13, v2, v8, s[28:29]
	v_or_b32_e32 v7, 0x800000, v3
	v_add_u32_e32 v2, 20, v13
	v_cndmask_b32_e64 v20, v7, v3, s[28:29]
	v_lshlrev_b64 v[2:3], v2, -1
	v_add_u32_e32 v7, 19, v13
	v_lshlrev_b64 v[7:8], v7, 1
	v_bfi_b32 v3, v3, 0, 0
	v_bfi_b32 v2, v2, 0, v20
	v_cmp_eq_u64_e64 s[40:41], v[2:3], v[7:8]
	v_lshrrev_b64 v[2:3], v13, v[20:21]
	v_mov_b32_e32 v8, v3
	v_mov_b32_e32 v7, v2
	s_and_saveexec_b64 s[50:51], s[40:41]
; %bb.2411:                             ;   in Loop: Header=BB6_2153 Depth=4
	v_bfe_u32 v3, v2, 20, 1
	v_add_co_u32_e64 v3, s[40:41], v2, v3
	v_add_co_u32_e64 v7, s[40:41], -1, v3
; %bb.2412:                             ;   in Loop: Header=BB6_2153 Depth=4
	s_or_b64 exec, exec, s[50:51]
	v_add_u32_e32 v3, 0xffffff81, v12
	v_mov_b32_e32 v8, 0xffffff82
	v_cndmask_b32_e64 v3, v3, v8, s[28:29]
	v_lshrrev_b32_e32 v8, 23, v2
	v_add3_u32 v12, v13, v3, v8
	v_add_u32_e32 v8, 6, v12
	v_and_b32_e32 v3, 0xfffff, v7
	v_add_u32_e32 v20, v3, v2
	v_cmp_ne_u32_e64 s[28:29], 0, v8
                                        ; implicit-def: $vgpr2_vgpr3
                                        ; implicit-def: $vgpr7
	s_and_saveexec_b64 s[40:41], s[28:29]
	s_xor_b64 s[40:41], exec, s[40:41]
; %bb.2413:                             ;   in Loop: Header=BB6_2153 Depth=4
	v_cmp_lt_u64_e64 s[28:29], s[88:89], v[20:21]
	v_add_u32_e32 v2, 7, v12
	v_cndmask_b32_e64 v7, v8, v2, s[28:29]
	v_cndmask_b32_e64 v2, 0, 1, s[28:29]
	v_lshrrev_b64 v[2:3], v2, v[20:21]
; %bb.2414:                             ;   in Loop: Header=BB6_2153 Depth=4
	s_andn2_saveexec_b64 s[28:29], s[40:41]
; %bb.2415:                             ;   in Loop: Header=BB6_2153 Depth=4
	v_mov_b32_e32 v2, v20
	v_bfe_u32 v7, v20, 23, 1
	v_mov_b32_e32 v3, v21
; %bb.2416:                             ;   in Loop: Header=BB6_2153 Depth=4
	s_or_b64 exec, exec, s[28:29]
	v_lshrrev_b64 v[2:3], 20, v[2:3]
	v_cmp_gt_i32_e64 s[28:29], 16, v7
	v_cndmask_b32_e64 v3, 0, v3, s[28:29]
	v_cndmask_b32_e64 v2, 7, v2, s[28:29]
	v_cmp_eq_u64_e64 s[40:41], 0, v[2:3]
	v_min_i32_e32 v3, 15, v7
	v_lshlrev_b32_e32 v3, 3, v3
	v_cmp_eq_u32_e64 s[28:29], 0, v7
	v_and_b32_e32 v3, 0xf8, v3
	v_and_or_b32 v2, v2, 7, v3
	s_and_b64 s[28:29], s[28:29], s[40:41]
	v_cndmask_b32_e64 v2, v2, 0, s[28:29]
	v_or_b32_e32 v34, v2, v9
.LBB6_2417:                             ;   in Loop: Header=BB6_2153 Depth=4
	s_or_b64 exec, exec, s[48:49]
                                        ; implicit-def: $vgpr9
.LBB6_2418:                             ;   in Loop: Header=BB6_2153 Depth=4
	s_andn2_saveexec_b64 s[28:29], s[38:39]
; %bb.2419:                             ;   in Loop: Header=BB6_2153 Depth=4
	v_or_b32_e32 v34, 0x7e, v9
; %bb.2420:                             ;   in Loop: Header=BB6_2153 Depth=4
	s_or_b64 exec, exec, s[28:29]
                                        ; implicit-def: $vgpr2
.LBB6_2421:                             ;   in Loop: Header=BB6_2153 Depth=4
	s_andn2_saveexec_b64 s[28:29], s[36:37]
; %bb.2422:                             ;   in Loop: Header=BB6_2153 Depth=4
	v_or_b32_sdwa v34, v2, s81 dst_sel:DWORD dst_unused:UNUSED_PAD src0_sel:BYTE_3 src1_sel:DWORD
; %bb.2423:                             ;   in Loop: Header=BB6_2153 Depth=4
	s_or_b64 exec, exec, s[28:29]
	v_lshrrev_b32_e32 v2, 16, v14
	v_cmp_ne_u16_sdwa s[28:29], v2, v21 src0_sel:BYTE_0 src1_sel:DWORD
	v_mov_b32_e32 v3, 0
	s_and_saveexec_b64 s[40:41], s[28:29]
	s_cbranch_execz .LBB6_2429
; %bb.2424:                             ;   in Loop: Header=BB6_2153 Depth=4
	v_cmp_ne_u16_sdwa s[28:29], v2, s80 src0_sel:BYTE_0 src1_sel:DWORD
	v_bfrev_b32_e32 v3, 1
	s_and_saveexec_b64 s[36:37], s[28:29]
	s_cbranch_execz .LBB6_2428
; %bb.2425:                             ;   in Loop: Header=BB6_2153 Depth=4
	v_bfe_u32 v7, v14, 16, 7
	v_cmp_ne_u32_e64 s[28:29], s81, v7
	v_mov_b32_e32 v3, 0x7f800001
	s_and_saveexec_b64 s[38:39], s[28:29]
	s_cbranch_execz .LBB6_2427
; %bb.2426:                             ;   in Loop: Header=BB6_2153 Depth=4
	v_and_b32_e32 v3, 7, v2
	v_lshrrev_b32_e32 v9, 3, v7
	v_cmp_gt_u32_e64 s[28:29], 8, v7
	v_ffbh_u32_e32 v7, v3
	v_min_u32_e32 v12, 32, v7
	v_subrev_u32_e32 v7, 28, v12
	v_lshlrev_b64 v[7:8], v7, v[2:3]
	v_sub_u32_e32 v8, 29, v12
	v_and_b32_e32 v7, 7, v7
	v_cndmask_b32_e64 v8, v9, v8, s[28:29]
	v_cndmask_b32_e64 v3, v3, v7, s[28:29]
	v_lshlrev_b32_e32 v2, 24, v2
	v_bfrev_b32_e32 v7, 60
	v_lshlrev_b32_e32 v3, 20, v3
	v_and_b32_e32 v2, 0x80000000, v2
	v_lshl_add_u32 v7, v8, 23, v7
	v_or3_b32 v3, v2, v7, v3
.LBB6_2427:                             ;   in Loop: Header=BB6_2153 Depth=4
	s_or_b64 exec, exec, s[38:39]
.LBB6_2428:                             ;   in Loop: Header=BB6_2153 Depth=4
	s_or_b64 exec, exec, s[36:37]
.LBB6_2429:                             ;   in Loop: Header=BB6_2153 Depth=4
	s_or_b64 exec, exec, s[40:41]
	v_lshrrev_b32_e32 v2, 16, v10
	v_cmp_gt_i16_sdwa s[40:41], v2, s81 src0_sel:BYTE_0 src1_sel:DWORD
	s_mov_b64 s[28:29], 0
	s_and_saveexec_b64 s[36:37], s[40:41]
	s_xor_b64 s[40:41], exec, s[36:37]
	s_cbranch_execz .LBB6_2595
; %bb.2430:                             ;   in Loop: Header=BB6_2153 Depth=4
	v_cmp_eq_u16_sdwa s[38:39], v2, s80 src0_sel:BYTE_0 src1_sel:DWORD
	s_mov_b64 s[28:29], -1
	s_and_saveexec_b64 s[36:37], s[38:39]
; %bb.2431:                             ;   in Loop: Header=BB6_2153 Depth=4
	s_xor_b64 s[28:29], exec, -1
; %bb.2432:                             ;   in Loop: Header=BB6_2153 Depth=4
	s_or_b64 exec, exec, s[36:37]
	s_and_b64 s[28:29], s[28:29], exec
	s_or_saveexec_b64 s[40:41], s[40:41]
	v_bfrev_b32_e32 v7, 1
	s_xor_b64 exec, exec, s[40:41]
	s_cbranch_execnz .LBB6_2596
.LBB6_2433:                             ;   in Loop: Header=BB6_2153 Depth=4
	s_or_b64 exec, exec, s[40:41]
	s_and_saveexec_b64 s[40:41], s[28:29]
	s_cbranch_execz .LBB6_2435
.LBB6_2434:                             ;   in Loop: Header=BB6_2153 Depth=4
	v_and_b32_e32 v9, 7, v2
	v_ffbh_u32_e32 v7, v9
	v_min_u32_e32 v20, 32, v7
	v_subrev_u32_e32 v7, 28, v20
	v_lshlrev_b64 v[7:8], v7, v[2:3]
	v_and_b32_e32 v12, 0x7f, v2
	v_bfe_u32 v13, v2, 3, 4
	v_sub_u32_e32 v8, 29, v20
	v_and_b32_e32 v7, 7, v7
	v_cmp_gt_u32_e64 s[28:29], 8, v12
	v_cndmask_b32_e64 v8, v13, v8, s[28:29]
	v_cndmask_b32_e64 v7, v9, v7, s[28:29]
	v_lshlrev_b32_e32 v2, 24, v2
	v_bfrev_b32_e32 v9, 60
	v_lshlrev_b32_e32 v7, 20, v7
	v_and_b32_e32 v2, 0x80000000, v2
	v_lshl_add_u32 v8, v8, 23, v9
	v_or3_b32 v2, v2, v8, v7
	v_cmp_ne_u32_e64 s[28:29], s81, v12
	v_mov_b32_e32 v7, 0x7f800001
	v_cndmask_b32_e64 v7, v7, v2, s[28:29]
.LBB6_2435:                             ;   in Loop: Header=BB6_2153 Depth=4
	s_or_b64 exec, exec, s[40:41]
	v_mul_f32_e32 v2, v3, v7
	v_and_b32_e32 v20, 0x7f800000, v2
	v_cmp_ne_u64_e64 s[28:29], s[62:63], v[20:21]
                                        ; implicit-def: $vgpr35
	s_and_saveexec_b64 s[40:41], s[28:29]
	s_xor_b64 s[36:37], exec, s[40:41]
	s_cbranch_execz .LBB6_2449
; %bb.2436:                             ;   in Loop: Header=BB6_2153 Depth=4
	v_and_b32_e32 v20, 0x7fffffff, v2
	v_cmp_gt_u64_e64 s[28:29], s[78:79], v[20:21]
	v_and_b32_sdwa v9, v2, s80 dst_sel:DWORD dst_unused:UNUSED_PAD src0_sel:BYTE_3 src1_sel:DWORD
                                        ; implicit-def: $vgpr35
	s_and_saveexec_b64 s[40:41], s[28:29]
	s_xor_b64 s[38:39], exec, s[40:41]
	s_cbranch_execz .LBB6_2446
; %bb.2437:                             ;   in Loop: Header=BB6_2153 Depth=4
	v_mov_b32_e32 v35, 0
	v_cmp_ne_u32_e64 s[28:29], 0, v2
	s_and_saveexec_b64 s[48:49], s[28:29]
	s_cbranch_execz .LBB6_2445
; %bb.2438:                             ;   in Loop: Header=BB6_2153 Depth=4
	v_bfe_u32 v12, v2, 23, 8
	v_and_b32_e32 v3, 0x7fffff, v2
	v_cmp_gt_u32_e64 s[40:41], s47, v12
	v_sub_u32_e32 v2, 0x79, v12
	v_cmp_eq_u32_e64 s[28:29], 0, v12
	v_cndmask_b32_e64 v2, 0, v2, s[40:41]
	v_mov_b32_e32 v8, 0x78
	v_cndmask_b32_e64 v13, v2, v8, s[28:29]
	v_or_b32_e32 v7, 0x800000, v3
	v_add_u32_e32 v2, 20, v13
	v_cndmask_b32_e64 v20, v7, v3, s[28:29]
	v_lshlrev_b64 v[2:3], v2, -1
	v_add_u32_e32 v7, 19, v13
	v_lshlrev_b64 v[7:8], v7, 1
	v_bfi_b32 v3, v3, 0, 0
	v_bfi_b32 v2, v2, 0, v20
	v_cmp_eq_u64_e64 s[40:41], v[2:3], v[7:8]
	v_lshrrev_b64 v[2:3], v13, v[20:21]
	v_mov_b32_e32 v8, v3
	v_mov_b32_e32 v7, v2
	s_and_saveexec_b64 s[50:51], s[40:41]
; %bb.2439:                             ;   in Loop: Header=BB6_2153 Depth=4
	v_bfe_u32 v3, v2, 20, 1
	v_add_co_u32_e64 v3, s[40:41], v2, v3
	v_add_co_u32_e64 v7, s[40:41], -1, v3
; %bb.2440:                             ;   in Loop: Header=BB6_2153 Depth=4
	s_or_b64 exec, exec, s[50:51]
	v_add_u32_e32 v3, 0xffffff81, v12
	v_mov_b32_e32 v8, 0xffffff82
	v_cndmask_b32_e64 v3, v3, v8, s[28:29]
	v_lshrrev_b32_e32 v8, 23, v2
	v_add3_u32 v12, v13, v3, v8
	v_add_u32_e32 v8, 6, v12
	v_and_b32_e32 v3, 0xfffff, v7
	v_add_u32_e32 v20, v3, v2
	v_cmp_ne_u32_e64 s[28:29], 0, v8
                                        ; implicit-def: $vgpr2_vgpr3
                                        ; implicit-def: $vgpr7
	s_and_saveexec_b64 s[40:41], s[28:29]
	s_xor_b64 s[40:41], exec, s[40:41]
; %bb.2441:                             ;   in Loop: Header=BB6_2153 Depth=4
	v_cmp_lt_u64_e64 s[28:29], s[88:89], v[20:21]
	v_add_u32_e32 v2, 7, v12
	v_cndmask_b32_e64 v7, v8, v2, s[28:29]
	v_cndmask_b32_e64 v2, 0, 1, s[28:29]
	v_lshrrev_b64 v[2:3], v2, v[20:21]
; %bb.2442:                             ;   in Loop: Header=BB6_2153 Depth=4
	s_andn2_saveexec_b64 s[28:29], s[40:41]
; %bb.2443:                             ;   in Loop: Header=BB6_2153 Depth=4
	v_mov_b32_e32 v2, v20
	v_bfe_u32 v7, v20, 23, 1
	v_mov_b32_e32 v3, v21
; %bb.2444:                             ;   in Loop: Header=BB6_2153 Depth=4
	s_or_b64 exec, exec, s[28:29]
	v_lshrrev_b64 v[2:3], 20, v[2:3]
	v_cmp_gt_i32_e64 s[28:29], 16, v7
	v_cndmask_b32_e64 v3, 0, v3, s[28:29]
	v_cndmask_b32_e64 v2, 7, v2, s[28:29]
	v_cmp_eq_u64_e64 s[40:41], 0, v[2:3]
	v_min_i32_e32 v3, 15, v7
	v_lshlrev_b32_e32 v3, 3, v3
	v_cmp_eq_u32_e64 s[28:29], 0, v7
	v_and_b32_e32 v3, 0xf8, v3
	v_and_or_b32 v2, v2, 7, v3
	s_and_b64 s[28:29], s[28:29], s[40:41]
	v_cndmask_b32_e64 v2, v2, 0, s[28:29]
	v_or_b32_e32 v35, v2, v9
.LBB6_2445:                             ;   in Loop: Header=BB6_2153 Depth=4
	s_or_b64 exec, exec, s[48:49]
                                        ; implicit-def: $vgpr9
.LBB6_2446:                             ;   in Loop: Header=BB6_2153 Depth=4
	s_andn2_saveexec_b64 s[28:29], s[38:39]
; %bb.2447:                             ;   in Loop: Header=BB6_2153 Depth=4
	v_or_b32_e32 v35, 0x7e, v9
; %bb.2448:                             ;   in Loop: Header=BB6_2153 Depth=4
	s_or_b64 exec, exec, s[28:29]
                                        ; implicit-def: $vgpr2
.LBB6_2449:                             ;   in Loop: Header=BB6_2153 Depth=4
	s_andn2_saveexec_b64 s[28:29], s[36:37]
; %bb.2450:                             ;   in Loop: Header=BB6_2153 Depth=4
	v_or_b32_sdwa v35, v2, s81 dst_sel:DWORD dst_unused:UNUSED_PAD src0_sel:BYTE_3 src1_sel:DWORD
; %bb.2451:                             ;   in Loop: Header=BB6_2153 Depth=4
	s_or_b64 exec, exec, s[28:29]
	v_cmp_lt_u32_e64 s[28:29], s57, v14
	v_mov_b32_e32 v3, 0
	s_and_saveexec_b64 s[40:41], s[28:29]
	s_cbranch_execz .LBB6_2457
; %bb.2452:                             ;   in Loop: Header=BB6_2153 Depth=4
	v_lshrrev_b32_e32 v2, 24, v14
	v_cmp_ne_u32_e64 s[28:29], s80, v2
	v_bfrev_b32_e32 v3, 1
	s_and_saveexec_b64 s[36:37], s[28:29]
	s_cbranch_execz .LBB6_2456
; %bb.2453:                             ;   in Loop: Header=BB6_2153 Depth=4
	v_bfe_u32 v7, v14, 24, 7
	v_cmp_ne_u32_e64 s[28:29], s81, v7
	v_mov_b32_e32 v3, 0x7f800001
	s_and_saveexec_b64 s[38:39], s[28:29]
	s_cbranch_execz .LBB6_2455
; %bb.2454:                             ;   in Loop: Header=BB6_2153 Depth=4
	v_and_b32_e32 v3, 7, v2
	v_lshrrev_b32_e32 v9, 3, v7
	v_cmp_gt_u32_e64 s[28:29], 8, v7
	v_ffbh_u32_e32 v7, v3
	v_min_u32_e32 v12, 32, v7
	v_subrev_u32_e32 v7, 28, v12
	v_lshlrev_b64 v[7:8], v7, v[2:3]
	v_sub_u32_e32 v8, 29, v12
	v_and_b32_e32 v7, 7, v7
	v_cndmask_b32_e64 v8, v9, v8, s[28:29]
	v_cndmask_b32_e64 v3, v3, v7, s[28:29]
	v_lshlrev_b32_e32 v2, 24, v2
	v_bfrev_b32_e32 v7, 60
	v_lshlrev_b32_e32 v3, 20, v3
	v_and_b32_e32 v2, 0x80000000, v2
	v_lshl_add_u32 v7, v8, 23, v7
	v_or3_b32 v3, v2, v7, v3
.LBB6_2455:                             ;   in Loop: Header=BB6_2153 Depth=4
	s_or_b64 exec, exec, s[38:39]
.LBB6_2456:                             ;   in Loop: Header=BB6_2153 Depth=4
	s_or_b64 exec, exec, s[36:37]
.LBB6_2457:                             ;   in Loop: Header=BB6_2153 Depth=4
	s_or_b64 exec, exec, s[40:41]
	v_bfe_u32 v9, v10, 24, 3
	v_ffbh_u32_e32 v7, v9
	v_min_u32_e32 v20, 32, v7
	v_lshrrev_b32_e32 v2, 24, v10
	v_subrev_u32_e32 v7, 28, v20
	v_lshlrev_b64 v[7:8], v7, v[2:3]
	v_bfe_u32 v12, v10, 24, 7
	v_bfe_u32 v13, v2, 3, 4
	v_sub_u32_e32 v8, 29, v20
	v_and_b32_e32 v7, 7, v7
	v_cmp_gt_u32_e64 s[28:29], 8, v12
	v_cndmask_b32_e64 v8, v13, v8, s[28:29]
	v_cndmask_b32_e64 v7, v9, v7, s[28:29]
	v_bfrev_b32_e32 v13, 60
	v_lshlrev_b32_e32 v7, 20, v7
	v_and_b32_e32 v9, 0x80000000, v10
	v_lshl_add_u32 v8, v8, 23, v13
	v_or3_b32 v7, v9, v8, v7
	v_cmp_ne_u32_e64 s[28:29], s81, v12
	v_mov_b32_e32 v8, 0x7f800001
	v_cndmask_b32_e64 v7, v8, v7, s[28:29]
	v_cmp_ne_u32_e64 s[28:29], s80, v2
	v_bfrev_b32_e32 v2, 1
	v_cndmask_b32_e64 v2, v2, v7, s[28:29]
	v_cmp_lt_u32_e64 s[28:29], s57, v10
	v_cndmask_b32_e64 v2, 0, v2, s[28:29]
	v_mul_f32_e32 v2, v2, v3
	v_and_b32_e32 v20, 0x7f800000, v2
	v_cmp_ne_u64_e64 s[28:29], s[62:63], v[20:21]
                                        ; implicit-def: $vgpr36
	s_and_saveexec_b64 s[40:41], s[28:29]
	s_xor_b64 s[36:37], exec, s[40:41]
	s_cbranch_execz .LBB6_2471
; %bb.2458:                             ;   in Loop: Header=BB6_2153 Depth=4
	v_and_b32_e32 v20, 0x7fffffff, v2
	v_cmp_gt_u64_e64 s[28:29], s[78:79], v[20:21]
	v_and_b32_sdwa v9, v2, s80 dst_sel:DWORD dst_unused:UNUSED_PAD src0_sel:BYTE_3 src1_sel:DWORD
                                        ; implicit-def: $vgpr36
	s_and_saveexec_b64 s[40:41], s[28:29]
	s_xor_b64 s[38:39], exec, s[40:41]
	s_cbranch_execz .LBB6_2468
; %bb.2459:                             ;   in Loop: Header=BB6_2153 Depth=4
	v_mov_b32_e32 v36, 0
	v_cmp_ne_u32_e64 s[28:29], 0, v2
	s_and_saveexec_b64 s[48:49], s[28:29]
	s_cbranch_execz .LBB6_2467
; %bb.2460:                             ;   in Loop: Header=BB6_2153 Depth=4
	v_bfe_u32 v12, v2, 23, 8
	v_and_b32_e32 v3, 0x7fffff, v2
	v_cmp_gt_u32_e64 s[40:41], s47, v12
	v_sub_u32_e32 v2, 0x79, v12
	v_cmp_eq_u32_e64 s[28:29], 0, v12
	v_cndmask_b32_e64 v2, 0, v2, s[40:41]
	v_mov_b32_e32 v8, 0x78
	v_cndmask_b32_e64 v13, v2, v8, s[28:29]
	v_or_b32_e32 v7, 0x800000, v3
	v_add_u32_e32 v2, 20, v13
	v_cndmask_b32_e64 v20, v7, v3, s[28:29]
	v_lshlrev_b64 v[2:3], v2, -1
	v_add_u32_e32 v7, 19, v13
	v_lshlrev_b64 v[7:8], v7, 1
	v_bfi_b32 v3, v3, 0, 0
	v_bfi_b32 v2, v2, 0, v20
	v_cmp_eq_u64_e64 s[40:41], v[2:3], v[7:8]
	v_lshrrev_b64 v[2:3], v13, v[20:21]
	v_mov_b32_e32 v8, v3
	v_mov_b32_e32 v7, v2
	s_and_saveexec_b64 s[50:51], s[40:41]
; %bb.2461:                             ;   in Loop: Header=BB6_2153 Depth=4
	v_bfe_u32 v3, v2, 20, 1
	v_add_co_u32_e64 v3, s[40:41], v2, v3
	v_add_co_u32_e64 v7, s[40:41], -1, v3
; %bb.2462:                             ;   in Loop: Header=BB6_2153 Depth=4
	s_or_b64 exec, exec, s[50:51]
	v_add_u32_e32 v3, 0xffffff81, v12
	v_mov_b32_e32 v8, 0xffffff82
	v_cndmask_b32_e64 v3, v3, v8, s[28:29]
	v_lshrrev_b32_e32 v8, 23, v2
	v_add3_u32 v12, v13, v3, v8
	v_add_u32_e32 v8, 6, v12
	v_and_b32_e32 v3, 0xfffff, v7
	v_add_u32_e32 v20, v3, v2
	v_cmp_ne_u32_e64 s[28:29], 0, v8
                                        ; implicit-def: $vgpr2_vgpr3
                                        ; implicit-def: $vgpr7
	s_and_saveexec_b64 s[40:41], s[28:29]
	s_xor_b64 s[40:41], exec, s[40:41]
; %bb.2463:                             ;   in Loop: Header=BB6_2153 Depth=4
	v_cmp_lt_u64_e64 s[28:29], s[88:89], v[20:21]
	v_add_u32_e32 v2, 7, v12
	v_cndmask_b32_e64 v7, v8, v2, s[28:29]
	v_cndmask_b32_e64 v2, 0, 1, s[28:29]
	v_lshrrev_b64 v[2:3], v2, v[20:21]
; %bb.2464:                             ;   in Loop: Header=BB6_2153 Depth=4
	s_andn2_saveexec_b64 s[28:29], s[40:41]
; %bb.2465:                             ;   in Loop: Header=BB6_2153 Depth=4
	v_mov_b32_e32 v2, v20
	v_bfe_u32 v7, v20, 23, 1
	v_mov_b32_e32 v3, v21
; %bb.2466:                             ;   in Loop: Header=BB6_2153 Depth=4
	s_or_b64 exec, exec, s[28:29]
	v_lshrrev_b64 v[2:3], 20, v[2:3]
	v_cmp_gt_i32_e64 s[28:29], 16, v7
	v_cndmask_b32_e64 v3, 0, v3, s[28:29]
	v_cndmask_b32_e64 v2, 7, v2, s[28:29]
	v_cmp_eq_u64_e64 s[40:41], 0, v[2:3]
	v_min_i32_e32 v3, 15, v7
	v_lshlrev_b32_e32 v3, 3, v3
	v_cmp_eq_u32_e64 s[28:29], 0, v7
	v_and_b32_e32 v3, 0xf8, v3
	v_and_or_b32 v2, v2, 7, v3
	s_and_b64 s[28:29], s[28:29], s[40:41]
	v_cndmask_b32_e64 v2, v2, 0, s[28:29]
	v_or_b32_e32 v36, v2, v9
.LBB6_2467:                             ;   in Loop: Header=BB6_2153 Depth=4
	s_or_b64 exec, exec, s[48:49]
                                        ; implicit-def: $vgpr9
.LBB6_2468:                             ;   in Loop: Header=BB6_2153 Depth=4
	s_andn2_saveexec_b64 s[28:29], s[38:39]
; %bb.2469:                             ;   in Loop: Header=BB6_2153 Depth=4
	v_or_b32_e32 v36, 0x7e, v9
; %bb.2470:                             ;   in Loop: Header=BB6_2153 Depth=4
	s_or_b64 exec, exec, s[28:29]
                                        ; implicit-def: $vgpr2
.LBB6_2471:                             ;   in Loop: Header=BB6_2153 Depth=4
	s_andn2_saveexec_b64 s[28:29], s[36:37]
; %bb.2472:                             ;   in Loop: Header=BB6_2153 Depth=4
	v_or_b32_sdwa v36, v2, s81 dst_sel:DWORD dst_unused:UNUSED_PAD src0_sel:BYTE_3 src1_sel:DWORD
; %bb.2473:                             ;   in Loop: Header=BB6_2153 Depth=4
	s_or_b64 exec, exec, s[28:29]
	v_mov_b32_e32 v20, v15
	v_cmp_ne_u16_sdwa s[28:29], v15, v21 src0_sel:BYTE_0 src1_sel:DWORD
	v_mov_b32_e32 v2, 0
	s_and_saveexec_b64 s[40:41], s[28:29]
	s_cbranch_execz .LBB6_2479
; %bb.2474:                             ;   in Loop: Header=BB6_2153 Depth=4
	v_cmp_ne_u16_sdwa s[28:29], v15, s80 src0_sel:BYTE_0 src1_sel:DWORD
	v_bfrev_b32_e32 v2, 1
	s_and_saveexec_b64 s[36:37], s[28:29]
	s_cbranch_execz .LBB6_2478
; %bb.2475:                             ;   in Loop: Header=BB6_2153 Depth=4
	v_and_b32_e32 v3, 0x7f, v15
	v_cmp_ne_u32_e64 s[28:29], s81, v3
	v_mov_b32_e32 v2, 0x7f800001
	s_and_saveexec_b64 s[38:39], s[28:29]
	s_cbranch_execz .LBB6_2477
; %bb.2476:                             ;   in Loop: Header=BB6_2153 Depth=4
	v_and_b32_e32 v2, 7, v15
	v_ffbh_u32_e32 v2, v2
	v_min_u32_e32 v2, 32, v2
	v_lshrrev_b32_e32 v7, 3, v3
	v_cmp_gt_u32_e64 s[28:29], 8, v3
	v_subrev_u32_e32 v3, 28, v2
	v_sub_u32_e32 v2, 29, v2
	v_cndmask_b32_e64 v7, v7, v2, s[28:29]
	v_cndmask_b32_e64 v2, 0, v3, s[28:29]
	v_lshlrev_b64 v[2:3], v2, v[20:21]
	v_lshlrev_b32_e32 v3, 24, v20
	v_lshlrev_b32_e32 v2, 20, v2
	v_bfrev_b32_e32 v8, 60
	v_and_b32_e32 v2, 0x700000, v2
	v_and_b32_e32 v3, 0x80000000, v3
	v_lshl_add_u32 v7, v7, 23, v8
	v_or3_b32 v2, v3, v7, v2
.LBB6_2477:                             ;   in Loop: Header=BB6_2153 Depth=4
	s_or_b64 exec, exec, s[38:39]
.LBB6_2478:                             ;   in Loop: Header=BB6_2153 Depth=4
	s_or_b64 exec, exec, s[36:37]
.LBB6_2479:                             ;   in Loop: Header=BB6_2153 Depth=4
	s_or_b64 exec, exec, s[40:41]
	v_cmp_gt_i16_sdwa s[40:41], v11, s81 src0_sel:BYTE_0 src1_sel:DWORD
	s_mov_b64 s[28:29], 0
	s_and_saveexec_b64 s[36:37], s[40:41]
	s_xor_b64 s[40:41], exec, s[36:37]
	s_cbranch_execz .LBB6_2483
; %bb.2480:                             ;   in Loop: Header=BB6_2153 Depth=4
	v_cmp_eq_u16_sdwa s[38:39], v11, s80 src0_sel:BYTE_0 src1_sel:DWORD
	s_mov_b64 s[28:29], -1
	s_and_saveexec_b64 s[36:37], s[38:39]
; %bb.2481:                             ;   in Loop: Header=BB6_2153 Depth=4
	s_xor_b64 s[28:29], exec, -1
; %bb.2482:                             ;   in Loop: Header=BB6_2153 Depth=4
	s_or_b64 exec, exec, s[36:37]
	s_and_b64 s[28:29], s[28:29], exec
.LBB6_2483:                             ;   in Loop: Header=BB6_2153 Depth=4
	s_or_saveexec_b64 s[40:41], s[40:41]
	v_bfrev_b32_e32 v3, 1
	s_xor_b64 exec, exec, s[40:41]
; %bb.2484:                             ;   in Loop: Header=BB6_2153 Depth=4
	v_cmp_ne_u16_sdwa s[36:37], v11, v21 src0_sel:BYTE_0 src1_sel:DWORD
	s_andn2_b64 s[28:29], s[28:29], exec
	s_and_b64 s[36:37], s[36:37], exec
	v_mov_b32_e32 v3, 0
	s_or_b64 s[28:29], s[28:29], s[36:37]
; %bb.2485:                             ;   in Loop: Header=BB6_2153 Depth=4
	s_or_b64 exec, exec, s[40:41]
	v_mov_b32_e32 v8, v11
	v_mov_b32_e32 v9, v21
	s_and_saveexec_b64 s[40:41], s[28:29]
	s_cbranch_execz .LBB6_2487
; %bb.2486:                             ;   in Loop: Header=BB6_2153 Depth=4
	v_and_b32_e32 v3, 7, v11
	v_ffbh_u32_e32 v3, v3
	v_and_b32_e32 v7, 0x7f, v11
	v_min_u32_e32 v3, 32, v3
	v_bfe_u32 v12, v11, 3, 4
	v_subrev_u32_e32 v13, 28, v3
	v_sub_u32_e32 v3, 29, v3
	v_cmp_gt_u32_e64 s[28:29], 8, v7
	v_cndmask_b32_e64 v3, v12, v3, s[28:29]
	v_cndmask_b32_e64 v12, 0, v13, s[28:29]
	v_lshlrev_b64 v[12:13], v12, v[8:9]
	v_bfrev_b32_e32 v13, 60
	v_lshlrev_b32_e32 v9, 20, v12
	v_lshlrev_b32_e32 v12, 24, v8
	v_and_b32_e32 v9, 0x700000, v9
	v_and_b32_e32 v12, 0x80000000, v12
	v_lshl_add_u32 v3, v3, 23, v13
	v_or3_b32 v3, v12, v3, v9
	v_cmp_ne_u32_e64 s[28:29], s81, v7
	v_mov_b32_e32 v7, 0x7f800001
	v_cndmask_b32_e64 v3, v7, v3, s[28:29]
.LBB6_2487:                             ;   in Loop: Header=BB6_2153 Depth=4
	s_or_b64 exec, exec, s[40:41]
	v_mul_f32_e32 v2, v2, v3
	v_and_b32_e32 v12, 0x7f800000, v2
	v_mov_b32_e32 v13, v21
	v_cmp_ne_u64_e64 s[28:29], s[62:63], v[12:13]
                                        ; implicit-def: $vgpr9
	s_and_saveexec_b64 s[40:41], s[28:29]
	s_xor_b64 s[36:37], exec, s[40:41]
	s_cbranch_execz .LBB6_2501
; %bb.2488:                             ;   in Loop: Header=BB6_2153 Depth=4
	v_and_b32_e32 v12, 0x7fffffff, v2
	v_mov_b32_e32 v13, v21
	v_cmp_gt_u64_e64 s[28:29], s[78:79], v[12:13]
	v_and_b32_sdwa v7, v2, s80 dst_sel:DWORD dst_unused:UNUSED_PAD src0_sel:BYTE_3 src1_sel:DWORD
                                        ; implicit-def: $vgpr9
	s_and_saveexec_b64 s[40:41], s[28:29]
	s_xor_b64 s[38:39], exec, s[40:41]
	s_cbranch_execz .LBB6_2498
; %bb.2489:                             ;   in Loop: Header=BB6_2153 Depth=4
	v_mov_b32_e32 v9, 0
	v_cmp_ne_u32_e64 s[28:29], 0, v2
	s_and_saveexec_b64 s[48:49], s[28:29]
	s_cbranch_execz .LBB6_2497
; %bb.2490:                             ;   in Loop: Header=BB6_2153 Depth=4
	v_bfe_u32 v9, v2, 23, 8
	v_and_b32_e32 v3, 0x7fffff, v2
	v_cmp_gt_u32_e64 s[40:41], s47, v9
	v_sub_u32_e32 v2, 0x79, v9
	v_cmp_eq_u32_e64 s[28:29], 0, v9
	v_cndmask_b32_e64 v2, 0, v2, s[40:41]
	v_mov_b32_e32 v13, 0x78
	v_or_b32_e32 v12, 0x800000, v3
	v_cndmask_b32_e64 v37, v2, v13, s[28:29]
	v_cndmask_b32_e64 v2, v12, v3, s[28:29]
	v_add_u32_e32 v12, 20, v37
	v_lshlrev_b64 v[12:13], v12, -1
	v_mov_b32_e32 v3, v21
	v_add_u32_e32 v38, 19, v37
	v_bfi_b32 v12, v12, 0, v2
	v_lshlrev_b64 v[38:39], v38, 1
	v_lshrrev_b64 v[2:3], v37, v[2:3]
	v_bfi_b32 v13, v13, 0, 0
	v_cmp_eq_u64_e64 s[40:41], v[12:13], v[38:39]
	v_mov_b32_e32 v13, v3
	v_mov_b32_e32 v12, v2
	s_and_saveexec_b64 s[50:51], s[40:41]
; %bb.2491:                             ;   in Loop: Header=BB6_2153 Depth=4
	v_bfe_u32 v3, v2, 20, 1
	v_add_co_u32_e64 v3, s[40:41], v2, v3
	v_add_co_u32_e64 v12, s[40:41], -1, v3
; %bb.2492:                             ;   in Loop: Header=BB6_2153 Depth=4
	s_or_b64 exec, exec, s[50:51]
	v_add_u32_e32 v3, 0xffffff81, v9
	v_mov_b32_e32 v9, 0xffffff82
	v_cndmask_b32_e64 v3, v3, v9, s[28:29]
	v_lshrrev_b32_e32 v9, 23, v2
	v_add3_u32 v37, v37, v3, v9
	v_add_u32_e32 v13, 6, v37
	v_and_b32_e32 v3, 0xfffff, v12
	v_add_u32_e32 v2, v3, v2
	v_mov_b32_e32 v3, v21
	v_cmp_ne_u32_e64 s[28:29], 0, v13
                                        ; implicit-def: $vgpr9
	s_and_saveexec_b64 s[40:41], s[28:29]
	s_xor_b64 s[40:41], exec, s[40:41]
; %bb.2493:                             ;   in Loop: Header=BB6_2153 Depth=4
	v_cmp_lt_u64_e64 s[28:29], s[88:89], v[2:3]
	v_add_u32_e32 v9, 7, v37
	v_cndmask_b32_e64 v12, 0, 1, s[28:29]
	v_cndmask_b32_e64 v9, v13, v9, s[28:29]
	v_lshrrev_b64 v[2:3], v12, v[2:3]
; %bb.2494:                             ;   in Loop: Header=BB6_2153 Depth=4
	s_andn2_saveexec_b64 s[28:29], s[40:41]
; %bb.2495:                             ;   in Loop: Header=BB6_2153 Depth=4
	v_bfe_u32 v9, v2, 23, 1
; %bb.2496:                             ;   in Loop: Header=BB6_2153 Depth=4
	s_or_b64 exec, exec, s[28:29]
	v_lshrrev_b64 v[2:3], 20, v[2:3]
	v_cmp_gt_i32_e64 s[28:29], 16, v9
	v_cndmask_b32_e64 v3, 0, v3, s[28:29]
	v_cndmask_b32_e64 v2, 7, v2, s[28:29]
	v_cmp_eq_u64_e64 s[40:41], 0, v[2:3]
	v_min_i32_e32 v3, 15, v9
	v_lshlrev_b32_e32 v3, 3, v3
	v_cmp_eq_u32_e64 s[28:29], 0, v9
	v_and_b32_e32 v3, 0xf8, v3
	v_and_or_b32 v2, v2, 7, v3
	s_and_b64 s[28:29], s[28:29], s[40:41]
	v_cndmask_b32_e64 v2, v2, 0, s[28:29]
	v_or_b32_e32 v9, v2, v7
.LBB6_2497:                             ;   in Loop: Header=BB6_2153 Depth=4
	s_or_b64 exec, exec, s[48:49]
                                        ; implicit-def: $vgpr7
.LBB6_2498:                             ;   in Loop: Header=BB6_2153 Depth=4
	s_andn2_saveexec_b64 s[28:29], s[38:39]
; %bb.2499:                             ;   in Loop: Header=BB6_2153 Depth=4
	v_or_b32_e32 v9, 0x7e, v7
; %bb.2500:                             ;   in Loop: Header=BB6_2153 Depth=4
	s_or_b64 exec, exec, s[28:29]
                                        ; implicit-def: $vgpr2
.LBB6_2501:                             ;   in Loop: Header=BB6_2153 Depth=4
	s_andn2_saveexec_b64 s[28:29], s[36:37]
; %bb.2502:                             ;   in Loop: Header=BB6_2153 Depth=4
	v_or_b32_sdwa v9, v2, s81 dst_sel:DWORD dst_unused:UNUSED_PAD src0_sel:BYTE_3 src1_sel:DWORD
; %bb.2503:                             ;   in Loop: Header=BB6_2153 Depth=4
	s_or_b64 exec, exec, s[28:29]
	v_lshrrev_b16_e32 v2, 8, v20
	v_cmp_ne_u16_e64 s[28:29], 0, v2
	v_mov_b32_e32 v3, 0
	s_and_saveexec_b64 s[40:41], s[28:29]
	s_cbranch_execz .LBB6_2509
; %bb.2504:                             ;   in Loop: Header=BB6_2153 Depth=4
	v_cmp_ne_u16_e64 s[28:29], s80, v2
	v_bfrev_b32_e32 v3, 1
	s_and_saveexec_b64 s[36:37], s[28:29]
	s_cbranch_execz .LBB6_2508
; %bb.2505:                             ;   in Loop: Header=BB6_2153 Depth=4
	v_and_b32_e32 v7, 0x7f, v2
	v_cmp_ne_u32_e64 s[28:29], s81, v7
	v_mov_b32_e32 v3, 0x7f800001
	s_and_saveexec_b64 s[38:39], s[28:29]
	s_cbranch_execz .LBB6_2507
; %bb.2506:                             ;   in Loop: Header=BB6_2153 Depth=4
	v_and_b32_e32 v12, 7, v2
	v_ffbh_u32_e32 v3, v12
	v_lshrrev_b32_e32 v13, 3, v7
	v_cmp_gt_u32_e64 s[28:29], 8, v7
	v_min_u32_e32 v7, 32, v3
	v_subrev_u32_e32 v3, 28, v7
	v_lshlrev_b64 v[2:3], v3, v[2:3]
	v_sub_u32_e32 v3, 29, v7
	v_and_b32_e32 v2, 7, v2
	v_cndmask_b32_e64 v3, v13, v3, s[28:29]
	v_cndmask_b32_e64 v2, v12, v2, s[28:29]
	v_lshlrev_b32_e32 v7, 16, v20
	v_bfrev_b32_e32 v12, 60
	v_lshlrev_b32_e32 v2, 20, v2
	v_and_b32_e32 v7, 0x80000000, v7
	v_lshl_add_u32 v3, v3, 23, v12
	v_or3_b32 v3, v7, v3, v2
.LBB6_2507:                             ;   in Loop: Header=BB6_2153 Depth=4
	s_or_b64 exec, exec, s[38:39]
.LBB6_2508:                             ;   in Loop: Header=BB6_2153 Depth=4
	s_or_b64 exec, exec, s[36:37]
.LBB6_2509:                             ;   in Loop: Header=BB6_2153 Depth=4
	s_or_b64 exec, exec, s[40:41]
	v_lshrrev_b16_e32 v20, 8, v8
	v_cmp_lt_i16_e64 s[28:29], s81, v20
	s_mov_b64 s[40:41], 0
	s_and_saveexec_b64 s[36:37], s[28:29]
	s_xor_b64 s[36:37], exec, s[36:37]
	s_cbranch_execz .LBB6_2597
; %bb.2510:                             ;   in Loop: Header=BB6_2153 Depth=4
	v_cmp_eq_u16_e64 s[28:29], s80, v20
	s_mov_b64 s[40:41], -1
	s_and_saveexec_b64 s[38:39], s[28:29]
; %bb.2511:                             ;   in Loop: Header=BB6_2153 Depth=4
	s_xor_b64 s[40:41], exec, -1
; %bb.2512:                             ;   in Loop: Header=BB6_2153 Depth=4
	s_or_b64 exec, exec, s[38:39]
	s_and_b64 s[40:41], s[40:41], exec
	s_or_saveexec_b64 s[36:37], s[36:37]
	v_bfrev_b32_e32 v2, 1
	s_xor_b64 exec, exec, s[36:37]
	s_cbranch_execnz .LBB6_2598
.LBB6_2513:                             ;   in Loop: Header=BB6_2153 Depth=4
	s_or_b64 exec, exec, s[36:37]
	s_and_saveexec_b64 s[36:37], s[40:41]
	s_cbranch_execz .LBB6_2515
.LBB6_2514:                             ;   in Loop: Header=BB6_2153 Depth=4
	v_and_b32_e32 v2, 7, v20
	v_ffbh_u32_e32 v7, v2
	v_min_u32_e32 v37, 32, v7
	v_subrev_u32_e32 v7, 28, v37
	v_lshlrev_b64 v[7:8], v7, v[20:21]
	v_and_b32_e32 v12, 0x7f, v20
	v_bfe_u32 v13, v20, 3, 4
	v_sub_u32_e32 v8, 29, v37
	v_and_b32_e32 v7, 7, v7
	v_cmp_gt_u32_e64 s[28:29], 8, v12
	v_cndmask_b32_e64 v8, v13, v8, s[28:29]
	v_cndmask_b32_e64 v2, v2, v7, s[28:29]
	v_lshlrev_b32_e32 v7, 24, v20
	v_bfrev_b32_e32 v13, 60
	v_lshlrev_b32_e32 v2, 20, v2
	v_and_b32_e32 v7, 0x80000000, v7
	v_lshl_add_u32 v8, v8, 23, v13
	v_or3_b32 v2, v7, v8, v2
	v_cmp_ne_u32_e64 s[28:29], s81, v12
	v_mov_b32_e32 v7, 0x7f800001
	v_cndmask_b32_e64 v2, v7, v2, s[28:29]
.LBB6_2515:                             ;   in Loop: Header=BB6_2153 Depth=4
	s_or_b64 exec, exec, s[36:37]
	v_mul_f32_e32 v2, v3, v2
	v_and_b32_e32 v20, 0x7f800000, v2
	v_cmp_ne_u64_e64 s[28:29], s[62:63], v[20:21]
                                        ; implicit-def: $vgpr12
	s_and_saveexec_b64 s[40:41], s[28:29]
	s_xor_b64 s[36:37], exec, s[40:41]
	s_cbranch_execz .LBB6_2529
; %bb.2516:                             ;   in Loop: Header=BB6_2153 Depth=4
	v_and_b32_e32 v20, 0x7fffffff, v2
	v_cmp_gt_u64_e64 s[28:29], s[78:79], v[20:21]
	v_and_b32_sdwa v13, v2, s80 dst_sel:DWORD dst_unused:UNUSED_PAD src0_sel:BYTE_3 src1_sel:DWORD
                                        ; implicit-def: $vgpr12
	s_and_saveexec_b64 s[40:41], s[28:29]
	s_xor_b64 s[38:39], exec, s[40:41]
	s_cbranch_execz .LBB6_2526
; %bb.2517:                             ;   in Loop: Header=BB6_2153 Depth=4
	v_mov_b32_e32 v12, 0
	v_cmp_ne_u32_e64 s[28:29], 0, v2
	s_and_saveexec_b64 s[48:49], s[28:29]
	s_cbranch_execz .LBB6_2525
; %bb.2518:                             ;   in Loop: Header=BB6_2153 Depth=4
	v_bfe_u32 v12, v2, 23, 8
	v_and_b32_e32 v3, 0x7fffff, v2
	v_cmp_gt_u32_e64 s[40:41], s47, v12
	v_sub_u32_e32 v2, 0x79, v12
	v_cmp_eq_u32_e64 s[28:29], 0, v12
	v_cndmask_b32_e64 v2, 0, v2, s[40:41]
	v_mov_b32_e32 v8, 0x78
	v_cndmask_b32_e64 v37, v2, v8, s[28:29]
	v_or_b32_e32 v7, 0x800000, v3
	v_add_u32_e32 v2, 20, v37
	v_cndmask_b32_e64 v20, v7, v3, s[28:29]
	v_lshlrev_b64 v[2:3], v2, -1
	v_add_u32_e32 v7, 19, v37
	v_lshlrev_b64 v[7:8], v7, 1
	v_bfi_b32 v3, v3, 0, 0
	v_bfi_b32 v2, v2, 0, v20
	v_cmp_eq_u64_e64 s[40:41], v[2:3], v[7:8]
	v_lshrrev_b64 v[2:3], v37, v[20:21]
	v_mov_b32_e32 v8, v3
	v_mov_b32_e32 v7, v2
	s_and_saveexec_b64 s[50:51], s[40:41]
; %bb.2519:                             ;   in Loop: Header=BB6_2153 Depth=4
	v_bfe_u32 v3, v2, 20, 1
	v_add_co_u32_e64 v3, s[40:41], v2, v3
	v_add_co_u32_e64 v7, s[40:41], -1, v3
; %bb.2520:                             ;   in Loop: Header=BB6_2153 Depth=4
	s_or_b64 exec, exec, s[50:51]
	v_add_u32_e32 v3, 0xffffff81, v12
	v_mov_b32_e32 v8, 0xffffff82
	v_cndmask_b32_e64 v3, v3, v8, s[28:29]
	v_lshrrev_b32_e32 v8, 23, v2
	v_add3_u32 v12, v37, v3, v8
	v_add_u32_e32 v8, 6, v12
	v_and_b32_e32 v3, 0xfffff, v7
	v_add_u32_e32 v20, v3, v2
	v_cmp_ne_u32_e64 s[28:29], 0, v8
                                        ; implicit-def: $vgpr2_vgpr3
                                        ; implicit-def: $vgpr7
	s_and_saveexec_b64 s[40:41], s[28:29]
	s_xor_b64 s[40:41], exec, s[40:41]
; %bb.2521:                             ;   in Loop: Header=BB6_2153 Depth=4
	v_cmp_lt_u64_e64 s[28:29], s[88:89], v[20:21]
	v_add_u32_e32 v2, 7, v12
	v_cndmask_b32_e64 v7, v8, v2, s[28:29]
	v_cndmask_b32_e64 v2, 0, 1, s[28:29]
	v_lshrrev_b64 v[2:3], v2, v[20:21]
; %bb.2522:                             ;   in Loop: Header=BB6_2153 Depth=4
	s_andn2_saveexec_b64 s[28:29], s[40:41]
; %bb.2523:                             ;   in Loop: Header=BB6_2153 Depth=4
	v_mov_b32_e32 v2, v20
	v_bfe_u32 v7, v20, 23, 1
	v_mov_b32_e32 v3, v21
; %bb.2524:                             ;   in Loop: Header=BB6_2153 Depth=4
	s_or_b64 exec, exec, s[28:29]
	v_lshrrev_b64 v[2:3], 20, v[2:3]
	v_cmp_gt_i32_e64 s[28:29], 16, v7
	v_cndmask_b32_e64 v3, 0, v3, s[28:29]
	v_cndmask_b32_e64 v2, 7, v2, s[28:29]
	v_cmp_eq_u64_e64 s[40:41], 0, v[2:3]
	v_min_i32_e32 v3, 15, v7
	v_lshlrev_b32_e32 v3, 3, v3
	v_cmp_eq_u32_e64 s[28:29], 0, v7
	v_and_b32_e32 v3, 0xf8, v3
	v_and_or_b32 v2, v2, 7, v3
	s_and_b64 s[28:29], s[28:29], s[40:41]
	v_cndmask_b32_e64 v2, v2, 0, s[28:29]
	v_or_b32_e32 v12, v2, v13
.LBB6_2525:                             ;   in Loop: Header=BB6_2153 Depth=4
	s_or_b64 exec, exec, s[48:49]
                                        ; implicit-def: $vgpr13
.LBB6_2526:                             ;   in Loop: Header=BB6_2153 Depth=4
	s_andn2_saveexec_b64 s[28:29], s[38:39]
; %bb.2527:                             ;   in Loop: Header=BB6_2153 Depth=4
	v_or_b32_e32 v12, 0x7e, v13
; %bb.2528:                             ;   in Loop: Header=BB6_2153 Depth=4
	s_or_b64 exec, exec, s[28:29]
                                        ; implicit-def: $vgpr2
.LBB6_2529:                             ;   in Loop: Header=BB6_2153 Depth=4
	s_andn2_saveexec_b64 s[28:29], s[36:37]
; %bb.2530:                             ;   in Loop: Header=BB6_2153 Depth=4
	v_or_b32_sdwa v12, v2, s81 dst_sel:DWORD dst_unused:UNUSED_PAD src0_sel:BYTE_3 src1_sel:DWORD
; %bb.2531:                             ;   in Loop: Header=BB6_2153 Depth=4
	s_or_b64 exec, exec, s[28:29]
	v_lshrrev_b32_e32 v2, 16, v15
	v_cmp_ne_u16_sdwa s[28:29], v2, v21 src0_sel:BYTE_0 src1_sel:DWORD
	v_mov_b32_e32 v3, 0
	s_and_saveexec_b64 s[40:41], s[28:29]
	s_cbranch_execz .LBB6_2537
; %bb.2532:                             ;   in Loop: Header=BB6_2153 Depth=4
	v_cmp_ne_u16_sdwa s[28:29], v2, s80 src0_sel:BYTE_0 src1_sel:DWORD
	v_bfrev_b32_e32 v3, 1
	s_and_saveexec_b64 s[36:37], s[28:29]
	s_cbranch_execz .LBB6_2536
; %bb.2533:                             ;   in Loop: Header=BB6_2153 Depth=4
	v_bfe_u32 v7, v15, 16, 7
	v_cmp_ne_u32_e64 s[28:29], s81, v7
	v_mov_b32_e32 v3, 0x7f800001
	s_and_saveexec_b64 s[38:39], s[28:29]
	s_cbranch_execz .LBB6_2535
; %bb.2534:                             ;   in Loop: Header=BB6_2153 Depth=4
	v_and_b32_e32 v3, 7, v2
	v_lshrrev_b32_e32 v13, 3, v7
	v_cmp_gt_u32_e64 s[28:29], 8, v7
	v_ffbh_u32_e32 v7, v3
	v_min_u32_e32 v20, 32, v7
	v_subrev_u32_e32 v7, 28, v20
	v_lshlrev_b64 v[7:8], v7, v[2:3]
	v_sub_u32_e32 v8, 29, v20
	v_and_b32_e32 v7, 7, v7
	v_cndmask_b32_e64 v8, v13, v8, s[28:29]
	v_cndmask_b32_e64 v3, v3, v7, s[28:29]
	v_lshlrev_b32_e32 v2, 24, v2
	v_bfrev_b32_e32 v7, 60
	v_lshlrev_b32_e32 v3, 20, v3
	v_and_b32_e32 v2, 0x80000000, v2
	v_lshl_add_u32 v7, v8, 23, v7
	v_or3_b32 v3, v2, v7, v3
.LBB6_2535:                             ;   in Loop: Header=BB6_2153 Depth=4
	s_or_b64 exec, exec, s[38:39]
.LBB6_2536:                             ;   in Loop: Header=BB6_2153 Depth=4
	s_or_b64 exec, exec, s[36:37]
.LBB6_2537:                             ;   in Loop: Header=BB6_2153 Depth=4
	s_or_b64 exec, exec, s[40:41]
	v_lshrrev_b32_e32 v2, 16, v11
	v_cmp_gt_i16_sdwa s[40:41], v2, s81 src0_sel:BYTE_0 src1_sel:DWORD
	s_mov_b64 s[28:29], 0
	s_and_saveexec_b64 s[36:37], s[40:41]
	s_xor_b64 s[40:41], exec, s[36:37]
	s_cbranch_execz .LBB6_2599
; %bb.2538:                             ;   in Loop: Header=BB6_2153 Depth=4
	v_cmp_eq_u16_sdwa s[38:39], v2, s80 src0_sel:BYTE_0 src1_sel:DWORD
	s_mov_b64 s[28:29], -1
	s_and_saveexec_b64 s[36:37], s[38:39]
; %bb.2539:                             ;   in Loop: Header=BB6_2153 Depth=4
	s_xor_b64 s[28:29], exec, -1
; %bb.2540:                             ;   in Loop: Header=BB6_2153 Depth=4
	s_or_b64 exec, exec, s[36:37]
	s_and_b64 s[28:29], s[28:29], exec
	s_or_saveexec_b64 s[40:41], s[40:41]
	v_bfrev_b32_e32 v7, 1
	s_xor_b64 exec, exec, s[40:41]
	s_cbranch_execnz .LBB6_2600
.LBB6_2541:                             ;   in Loop: Header=BB6_2153 Depth=4
	s_or_b64 exec, exec, s[40:41]
	s_and_saveexec_b64 s[40:41], s[28:29]
	s_cbranch_execz .LBB6_2543
.LBB6_2542:                             ;   in Loop: Header=BB6_2153 Depth=4
	v_and_b32_e32 v13, 7, v2
	v_ffbh_u32_e32 v7, v13
	v_min_u32_e32 v38, 32, v7
	v_subrev_u32_e32 v7, 28, v38
	v_lshlrev_b64 v[7:8], v7, v[2:3]
	v_and_b32_e32 v20, 0x7f, v2
	v_bfe_u32 v37, v2, 3, 4
	v_sub_u32_e32 v8, 29, v38
	v_and_b32_e32 v7, 7, v7
	v_cmp_gt_u32_e64 s[28:29], 8, v20
	v_cndmask_b32_e64 v8, v37, v8, s[28:29]
	v_cndmask_b32_e64 v7, v13, v7, s[28:29]
	v_lshlrev_b32_e32 v2, 24, v2
	v_bfrev_b32_e32 v13, 60
	v_lshlrev_b32_e32 v7, 20, v7
	v_and_b32_e32 v2, 0x80000000, v2
	v_lshl_add_u32 v8, v8, 23, v13
	v_or3_b32 v2, v2, v8, v7
	v_cmp_ne_u32_e64 s[28:29], s81, v20
	v_mov_b32_e32 v7, 0x7f800001
	v_cndmask_b32_e64 v7, v7, v2, s[28:29]
.LBB6_2543:                             ;   in Loop: Header=BB6_2153 Depth=4
	s_or_b64 exec, exec, s[40:41]
	v_mul_f32_e32 v2, v3, v7
	v_and_b32_e32 v20, 0x7f800000, v2
	v_cmp_ne_u64_e64 s[28:29], s[62:63], v[20:21]
                                        ; implicit-def: $vgpr13
	s_and_saveexec_b64 s[40:41], s[28:29]
	s_xor_b64 s[36:37], exec, s[40:41]
	s_cbranch_execz .LBB6_2557
; %bb.2544:                             ;   in Loop: Header=BB6_2153 Depth=4
	v_and_b32_e32 v20, 0x7fffffff, v2
	v_cmp_gt_u64_e64 s[28:29], s[78:79], v[20:21]
	v_and_b32_sdwa v37, v2, s80 dst_sel:DWORD dst_unused:UNUSED_PAD src0_sel:BYTE_3 src1_sel:DWORD
                                        ; implicit-def: $vgpr13
	s_and_saveexec_b64 s[40:41], s[28:29]
	s_xor_b64 s[38:39], exec, s[40:41]
	s_cbranch_execz .LBB6_2554
; %bb.2545:                             ;   in Loop: Header=BB6_2153 Depth=4
	v_mov_b32_e32 v13, 0
	v_cmp_ne_u32_e64 s[28:29], 0, v2
	s_and_saveexec_b64 s[48:49], s[28:29]
	s_cbranch_execz .LBB6_2553
; %bb.2546:                             ;   in Loop: Header=BB6_2153 Depth=4
	v_bfe_u32 v13, v2, 23, 8
	v_and_b32_e32 v3, 0x7fffff, v2
	v_cmp_gt_u32_e64 s[40:41], s47, v13
	v_sub_u32_e32 v2, 0x79, v13
	v_cmp_eq_u32_e64 s[28:29], 0, v13
	v_cndmask_b32_e64 v2, 0, v2, s[40:41]
	v_mov_b32_e32 v8, 0x78
	v_cndmask_b32_e64 v38, v2, v8, s[28:29]
	v_or_b32_e32 v7, 0x800000, v3
	v_add_u32_e32 v2, 20, v38
	v_cndmask_b32_e64 v20, v7, v3, s[28:29]
	v_lshlrev_b64 v[2:3], v2, -1
	v_add_u32_e32 v7, 19, v38
	v_lshlrev_b64 v[7:8], v7, 1
	v_bfi_b32 v3, v3, 0, 0
	v_bfi_b32 v2, v2, 0, v20
	v_cmp_eq_u64_e64 s[40:41], v[2:3], v[7:8]
	v_lshrrev_b64 v[2:3], v38, v[20:21]
	v_mov_b32_e32 v8, v3
	v_mov_b32_e32 v7, v2
	s_and_saveexec_b64 s[50:51], s[40:41]
; %bb.2547:                             ;   in Loop: Header=BB6_2153 Depth=4
	v_bfe_u32 v3, v2, 20, 1
	v_add_co_u32_e64 v3, s[40:41], v2, v3
	v_add_co_u32_e64 v7, s[40:41], -1, v3
; %bb.2548:                             ;   in Loop: Header=BB6_2153 Depth=4
	s_or_b64 exec, exec, s[50:51]
	v_add_u32_e32 v3, 0xffffff81, v13
	v_mov_b32_e32 v8, 0xffffff82
	v_cndmask_b32_e64 v3, v3, v8, s[28:29]
	v_lshrrev_b32_e32 v8, 23, v2
	v_add3_u32 v13, v38, v3, v8
	v_add_u32_e32 v8, 6, v13
	v_and_b32_e32 v3, 0xfffff, v7
	v_add_u32_e32 v20, v3, v2
	v_cmp_ne_u32_e64 s[28:29], 0, v8
                                        ; implicit-def: $vgpr2_vgpr3
                                        ; implicit-def: $vgpr7
	s_and_saveexec_b64 s[40:41], s[28:29]
	s_xor_b64 s[40:41], exec, s[40:41]
; %bb.2549:                             ;   in Loop: Header=BB6_2153 Depth=4
	v_cmp_lt_u64_e64 s[28:29], s[88:89], v[20:21]
	v_add_u32_e32 v2, 7, v13
	v_cndmask_b32_e64 v7, v8, v2, s[28:29]
	v_cndmask_b32_e64 v2, 0, 1, s[28:29]
	v_lshrrev_b64 v[2:3], v2, v[20:21]
; %bb.2550:                             ;   in Loop: Header=BB6_2153 Depth=4
	s_andn2_saveexec_b64 s[28:29], s[40:41]
; %bb.2551:                             ;   in Loop: Header=BB6_2153 Depth=4
	v_mov_b32_e32 v2, v20
	v_bfe_u32 v7, v20, 23, 1
	v_mov_b32_e32 v3, v21
; %bb.2552:                             ;   in Loop: Header=BB6_2153 Depth=4
	s_or_b64 exec, exec, s[28:29]
	v_lshrrev_b64 v[2:3], 20, v[2:3]
	v_cmp_gt_i32_e64 s[28:29], 16, v7
	v_cndmask_b32_e64 v3, 0, v3, s[28:29]
	v_cndmask_b32_e64 v2, 7, v2, s[28:29]
	v_cmp_eq_u64_e64 s[40:41], 0, v[2:3]
	v_min_i32_e32 v3, 15, v7
	v_lshlrev_b32_e32 v3, 3, v3
	v_cmp_eq_u32_e64 s[28:29], 0, v7
	v_and_b32_e32 v3, 0xf8, v3
	v_and_or_b32 v2, v2, 7, v3
	s_and_b64 s[28:29], s[28:29], s[40:41]
	v_cndmask_b32_e64 v2, v2, 0, s[28:29]
	v_or_b32_e32 v13, v2, v37
.LBB6_2553:                             ;   in Loop: Header=BB6_2153 Depth=4
	s_or_b64 exec, exec, s[48:49]
                                        ; implicit-def: $vgpr37
.LBB6_2554:                             ;   in Loop: Header=BB6_2153 Depth=4
	s_andn2_saveexec_b64 s[28:29], s[38:39]
; %bb.2555:                             ;   in Loop: Header=BB6_2153 Depth=4
	v_or_b32_e32 v13, 0x7e, v37
; %bb.2556:                             ;   in Loop: Header=BB6_2153 Depth=4
	s_or_b64 exec, exec, s[28:29]
                                        ; implicit-def: $vgpr2
.LBB6_2557:                             ;   in Loop: Header=BB6_2153 Depth=4
	s_andn2_saveexec_b64 s[28:29], s[36:37]
; %bb.2558:                             ;   in Loop: Header=BB6_2153 Depth=4
	v_or_b32_sdwa v13, v2, s81 dst_sel:DWORD dst_unused:UNUSED_PAD src0_sel:BYTE_3 src1_sel:DWORD
; %bb.2559:                             ;   in Loop: Header=BB6_2153 Depth=4
	s_or_b64 exec, exec, s[28:29]
	v_cmp_lt_u64_e64 s[28:29], s[56:57], v[14:15]
	v_mov_b32_e32 v3, 0
	s_and_saveexec_b64 s[40:41], s[28:29]
	s_cbranch_execz .LBB6_2565
; %bb.2560:                             ;   in Loop: Header=BB6_2153 Depth=4
	v_lshrrev_b32_e32 v2, 24, v15
	v_cmp_ne_u32_e64 s[28:29], s80, v2
	v_bfrev_b32_e32 v3, 1
	s_and_saveexec_b64 s[36:37], s[28:29]
	s_cbranch_execz .LBB6_2564
; %bb.2561:                             ;   in Loop: Header=BB6_2153 Depth=4
	v_bfe_u32 v7, v15, 24, 7
	v_cmp_ne_u32_e64 s[28:29], s81, v7
	v_mov_b32_e32 v3, 0x7f800001
	s_and_saveexec_b64 s[38:39], s[28:29]
	s_cbranch_execz .LBB6_2563
; %bb.2562:                             ;   in Loop: Header=BB6_2153 Depth=4
	v_and_b32_e32 v3, 7, v2
	v_lshrrev_b32_e32 v14, 3, v7
	v_cmp_gt_u32_e64 s[28:29], 8, v7
	v_ffbh_u32_e32 v7, v3
	v_min_u32_e32 v15, 32, v7
	v_subrev_u32_e32 v7, 28, v15
	v_lshlrev_b64 v[7:8], v7, v[2:3]
	v_sub_u32_e32 v8, 29, v15
	v_and_b32_e32 v7, 7, v7
	v_cndmask_b32_e64 v8, v14, v8, s[28:29]
	v_cndmask_b32_e64 v3, v3, v7, s[28:29]
	v_lshlrev_b32_e32 v2, 24, v2
	v_bfrev_b32_e32 v7, 60
	v_lshlrev_b32_e32 v3, 20, v3
	v_and_b32_e32 v2, 0x80000000, v2
	v_lshl_add_u32 v7, v8, 23, v7
	v_or3_b32 v3, v2, v7, v3
.LBB6_2563:                             ;   in Loop: Header=BB6_2153 Depth=4
	s_or_b64 exec, exec, s[38:39]
.LBB6_2564:                             ;   in Loop: Header=BB6_2153 Depth=4
	s_or_b64 exec, exec, s[36:37]
.LBB6_2565:                             ;   in Loop: Header=BB6_2153 Depth=4
	s_or_b64 exec, exec, s[40:41]
	v_bfe_u32 v14, v11, 24, 3
	v_ffbh_u32_e32 v7, v14
	v_min_u32_e32 v37, 32, v7
	v_lshrrev_b32_e32 v2, 24, v11
	v_subrev_u32_e32 v7, 28, v37
	v_lshlrev_b64 v[7:8], v7, v[2:3]
	v_bfe_u32 v15, v11, 24, 7
	v_bfe_u32 v20, v2, 3, 4
	v_sub_u32_e32 v8, 29, v37
	v_and_b32_e32 v7, 7, v7
	v_cmp_gt_u32_e64 s[28:29], 8, v15
	v_cndmask_b32_e64 v8, v20, v8, s[28:29]
	v_cndmask_b32_e64 v7, v14, v7, s[28:29]
	v_bfrev_b32_e32 v20, 60
	v_lshlrev_b32_e32 v7, 20, v7
	v_and_b32_e32 v14, 0x80000000, v11
	v_lshl_add_u32 v8, v8, 23, v20
	v_or3_b32 v7, v14, v8, v7
	v_cmp_ne_u32_e64 s[28:29], s81, v15
	v_mov_b32_e32 v8, 0x7f800001
	v_cndmask_b32_e64 v7, v8, v7, s[28:29]
	v_cmp_ne_u32_e64 s[28:29], s80, v2
	v_bfrev_b32_e32 v2, 1
	v_cndmask_b32_e64 v2, v2, v7, s[28:29]
	v_cmp_lt_u64_e64 s[28:29], s[56:57], v[10:11]
	v_cndmask_b32_e64 v2, 0, v2, s[28:29]
	v_mul_f32_e32 v3, v2, v3
	v_and_b32_e32 v20, 0x7f800000, v3
	v_cmp_ne_u64_e64 s[28:29], s[62:63], v[20:21]
                                        ; implicit-def: $vgpr2
	s_and_saveexec_b64 s[40:41], s[28:29]
	s_xor_b64 s[36:37], exec, s[40:41]
	s_cbranch_execz .LBB6_2579
; %bb.2566:                             ;   in Loop: Header=BB6_2153 Depth=4
	v_and_b32_e32 v20, 0x7fffffff, v3
	v_cmp_gt_u64_e64 s[28:29], s[78:79], v[20:21]
	v_and_b32_sdwa v10, v3, s80 dst_sel:DWORD dst_unused:UNUSED_PAD src0_sel:BYTE_3 src1_sel:DWORD
                                        ; implicit-def: $vgpr2
	s_and_saveexec_b64 s[40:41], s[28:29]
	s_xor_b64 s[38:39], exec, s[40:41]
	s_cbranch_execz .LBB6_2576
; %bb.2567:                             ;   in Loop: Header=BB6_2153 Depth=4
	v_mov_b32_e32 v2, 0
	v_cmp_ne_u32_e64 s[28:29], 0, v3
	s_and_saveexec_b64 s[48:49], s[28:29]
	s_cbranch_execz .LBB6_2575
; %bb.2568:                             ;   in Loop: Header=BB6_2153 Depth=4
	v_bfe_u32 v11, v3, 23, 8
	v_and_b32_e32 v2, 0x7fffff, v3
	v_cmp_gt_u32_e64 s[40:41], s47, v11
	v_sub_u32_e32 v3, 0x79, v11
	v_cmp_eq_u32_e64 s[28:29], 0, v11
	v_cndmask_b32_e64 v3, 0, v3, s[40:41]
	v_mov_b32_e32 v8, 0x78
	v_or_b32_e32 v7, 0x800000, v2
	v_cndmask_b32_e64 v14, v3, v8, s[28:29]
	v_cndmask_b32_e64 v20, v7, v2, s[28:29]
	v_add_u32_e32 v2, 20, v14
	v_lshlrev_b64 v[2:3], v2, -1
	v_add_u32_e32 v7, 19, v14
	v_lshlrev_b64 v[7:8], v7, 1
	v_bfi_b32 v3, v3, 0, 0
	v_bfi_b32 v2, v2, 0, v20
	v_cmp_eq_u64_e64 s[40:41], v[2:3], v[7:8]
	v_lshrrev_b64 v[2:3], v14, v[20:21]
	v_mov_b32_e32 v8, v3
	v_mov_b32_e32 v7, v2
	s_and_saveexec_b64 s[50:51], s[40:41]
; %bb.2569:                             ;   in Loop: Header=BB6_2153 Depth=4
	v_bfe_u32 v3, v2, 20, 1
	v_add_co_u32_e64 v3, s[40:41], v2, v3
	v_add_co_u32_e64 v7, s[40:41], -1, v3
; %bb.2570:                             ;   in Loop: Header=BB6_2153 Depth=4
	s_or_b64 exec, exec, s[50:51]
	v_add_u32_e32 v3, 0xffffff81, v11
	v_mov_b32_e32 v8, 0xffffff82
	v_cndmask_b32_e64 v3, v3, v8, s[28:29]
	v_lshrrev_b32_e32 v8, 23, v2
	v_add3_u32 v11, v14, v3, v8
	v_add_u32_e32 v8, 6, v11
	v_and_b32_e32 v3, 0xfffff, v7
	v_add_u32_e32 v20, v3, v2
	v_cmp_ne_u32_e64 s[28:29], 0, v8
                                        ; implicit-def: $vgpr2_vgpr3
                                        ; implicit-def: $vgpr7
	s_and_saveexec_b64 s[40:41], s[28:29]
	s_xor_b64 s[40:41], exec, s[40:41]
; %bb.2571:                             ;   in Loop: Header=BB6_2153 Depth=4
	v_cmp_lt_u64_e64 s[28:29], s[88:89], v[20:21]
	v_add_u32_e32 v2, 7, v11
	v_cndmask_b32_e64 v7, v8, v2, s[28:29]
	v_cndmask_b32_e64 v2, 0, 1, s[28:29]
	v_lshrrev_b64 v[2:3], v2, v[20:21]
; %bb.2572:                             ;   in Loop: Header=BB6_2153 Depth=4
	s_andn2_saveexec_b64 s[28:29], s[40:41]
; %bb.2573:                             ;   in Loop: Header=BB6_2153 Depth=4
	v_mov_b32_e32 v2, v20
	v_bfe_u32 v7, v20, 23, 1
	v_mov_b32_e32 v3, v21
; %bb.2574:                             ;   in Loop: Header=BB6_2153 Depth=4
	s_or_b64 exec, exec, s[28:29]
	v_lshrrev_b64 v[2:3], 20, v[2:3]
	v_cmp_gt_i32_e64 s[28:29], 16, v7
	v_cndmask_b32_e64 v3, 0, v3, s[28:29]
	v_cndmask_b32_e64 v2, 7, v2, s[28:29]
	v_cmp_eq_u64_e64 s[40:41], 0, v[2:3]
	v_min_i32_e32 v3, 15, v7
	v_lshlrev_b32_e32 v3, 3, v3
	v_cmp_eq_u32_e64 s[28:29], 0, v7
	v_and_b32_e32 v3, 0xf8, v3
	v_and_or_b32 v2, v2, 7, v3
	s_and_b64 s[28:29], s[28:29], s[40:41]
	v_cndmask_b32_e64 v2, v2, 0, s[28:29]
	v_or_b32_e32 v2, v2, v10
.LBB6_2575:                             ;   in Loop: Header=BB6_2153 Depth=4
	s_or_b64 exec, exec, s[48:49]
                                        ; implicit-def: $vgpr10
.LBB6_2576:                             ;   in Loop: Header=BB6_2153 Depth=4
	s_andn2_saveexec_b64 s[28:29], s[38:39]
; %bb.2577:                             ;   in Loop: Header=BB6_2153 Depth=4
	v_or_b32_e32 v2, 0x7e, v10
; %bb.2578:                             ;   in Loop: Header=BB6_2153 Depth=4
	s_or_b64 exec, exec, s[28:29]
                                        ; implicit-def: $vgpr3
.LBB6_2579:                             ;   in Loop: Header=BB6_2153 Depth=4
	s_andn2_saveexec_b64 s[28:29], s[36:37]
	s_cbranch_execz .LBB6_2152
; %bb.2580:                             ;   in Loop: Header=BB6_2153 Depth=4
	v_or_b32_sdwa v2, v3, s81 dst_sel:DWORD dst_unused:UNUSED_PAD src0_sel:BYTE_3 src1_sel:DWORD
	s_branch .LBB6_2152
.LBB6_2581:                             ;   in Loop: Header=BB6_2153 Depth=4
	s_or_saveexec_b64 s[40:41], s[40:41]
	v_bfrev_b32_e32 v3, 1
	s_xor_b64 exec, exec, s[40:41]
	s_cbranch_execz .LBB6_2163
.LBB6_2582:                             ;   in Loop: Header=BB6_2153 Depth=4
	v_cmp_ne_u16_sdwa s[36:37], v8, v21 src0_sel:BYTE_0 src1_sel:DWORD
	s_andn2_b64 s[28:29], s[28:29], exec
	s_and_b64 s[36:37], s[36:37], exec
	v_mov_b32_e32 v3, 0
	s_or_b64 s[28:29], s[28:29], s[36:37]
	s_or_b64 exec, exec, s[40:41]
	s_and_saveexec_b64 s[40:41], s[28:29]
	s_cbranch_execnz .LBB6_2164
	s_branch .LBB6_2165
.LBB6_2583:                             ;   in Loop: Header=BB6_2153 Depth=4
	s_or_saveexec_b64 s[36:37], s[36:37]
	v_bfrev_b32_e32 v2, 1
	s_xor_b64 exec, exec, s[36:37]
	s_cbranch_execz .LBB6_2191
.LBB6_2584:                             ;   in Loop: Header=BB6_2153 Depth=4
	v_cmp_ne_u16_e64 s[28:29], 0, v20
	s_andn2_b64 s[40:41], s[40:41], exec
	s_and_b64 s[28:29], s[28:29], exec
	v_mov_b32_e32 v2, 0
	s_or_b64 s[40:41], s[40:41], s[28:29]
	s_or_b64 exec, exec, s[36:37]
	s_and_saveexec_b64 s[36:37], s[40:41]
	s_cbranch_execnz .LBB6_2192
	s_branch .LBB6_2193
.LBB6_2585:                             ;   in Loop: Header=BB6_2153 Depth=4
	s_or_saveexec_b64 s[40:41], s[40:41]
	v_bfrev_b32_e32 v7, 1
	s_xor_b64 exec, exec, s[40:41]
	s_cbranch_execz .LBB6_2219
.LBB6_2586:                             ;   in Loop: Header=BB6_2153 Depth=4
	v_cmp_ne_u16_sdwa s[36:37], v2, v21 src0_sel:BYTE_0 src1_sel:DWORD
	s_andn2_b64 s[28:29], s[28:29], exec
	s_and_b64 s[36:37], s[36:37], exec
	v_mov_b32_e32 v7, 0
	s_or_b64 s[28:29], s[28:29], s[36:37]
	s_or_b64 exec, exec, s[40:41]
	s_and_saveexec_b64 s[40:41], s[28:29]
	s_cbranch_execnz .LBB6_2220
	s_branch .LBB6_2221
.LBB6_2587:                             ;   in Loop: Header=BB6_2153 Depth=4
	s_or_saveexec_b64 s[36:37], s[36:37]
	v_bfrev_b32_e32 v2, 1
	s_xor_b64 exec, exec, s[36:37]
	s_cbranch_execz .LBB6_2299
.LBB6_2588:                             ;   in Loop: Header=BB6_2153 Depth=4
	v_cmp_ne_u16_e64 s[28:29], 0, v20
	s_andn2_b64 s[40:41], s[40:41], exec
	s_and_b64 s[28:29], s[28:29], exec
	v_mov_b32_e32 v2, 0
	s_or_b64 s[40:41], s[40:41], s[28:29]
	s_or_b64 exec, exec, s[36:37]
	s_and_saveexec_b64 s[36:37], s[40:41]
	s_cbranch_execnz .LBB6_2300
	s_branch .LBB6_2301
.LBB6_2589:                             ;   in Loop: Header=BB6_2153 Depth=4
	s_or_saveexec_b64 s[40:41], s[40:41]
	v_bfrev_b32_e32 v7, 1
	s_xor_b64 exec, exec, s[40:41]
	s_cbranch_execz .LBB6_2327
.LBB6_2590:                             ;   in Loop: Header=BB6_2153 Depth=4
	v_cmp_ne_u16_sdwa s[36:37], v2, v21 src0_sel:BYTE_0 src1_sel:DWORD
	s_andn2_b64 s[28:29], s[28:29], exec
	s_and_b64 s[36:37], s[36:37], exec
	v_mov_b32_e32 v7, 0
	s_or_b64 s[28:29], s[28:29], s[36:37]
	s_or_b64 exec, exec, s[40:41]
	s_and_saveexec_b64 s[40:41], s[28:29]
	s_cbranch_execnz .LBB6_2328
	s_branch .LBB6_2329
.LBB6_2591:                             ;   in Loop: Header=BB6_2153 Depth=4
	s_or_saveexec_b64 s[40:41], s[40:41]
	v_bfrev_b32_e32 v3, 1
	s_xor_b64 exec, exec, s[40:41]
	s_cbranch_execz .LBB6_2377
.LBB6_2592:                             ;   in Loop: Header=BB6_2153 Depth=4
	v_cmp_ne_u16_sdwa s[36:37], v10, v21 src0_sel:BYTE_0 src1_sel:DWORD
	s_andn2_b64 s[28:29], s[28:29], exec
	s_and_b64 s[36:37], s[36:37], exec
	v_mov_b32_e32 v3, 0
	s_or_b64 s[28:29], s[28:29], s[36:37]
	s_or_b64 exec, exec, s[40:41]
	s_and_saveexec_b64 s[40:41], s[28:29]
	s_cbranch_execnz .LBB6_2378
	s_branch .LBB6_2379
.LBB6_2593:                             ;   in Loop: Header=BB6_2153 Depth=4
	s_or_saveexec_b64 s[36:37], s[36:37]
	v_bfrev_b32_e32 v2, 1
	s_xor_b64 exec, exec, s[36:37]
	s_cbranch_execz .LBB6_2405
.LBB6_2594:                             ;   in Loop: Header=BB6_2153 Depth=4
	v_cmp_ne_u16_e64 s[28:29], 0, v20
	s_andn2_b64 s[40:41], s[40:41], exec
	s_and_b64 s[28:29], s[28:29], exec
	v_mov_b32_e32 v2, 0
	s_or_b64 s[40:41], s[40:41], s[28:29]
	s_or_b64 exec, exec, s[36:37]
	s_and_saveexec_b64 s[36:37], s[40:41]
	s_cbranch_execnz .LBB6_2406
	s_branch .LBB6_2407
.LBB6_2595:                             ;   in Loop: Header=BB6_2153 Depth=4
	s_or_saveexec_b64 s[40:41], s[40:41]
	v_bfrev_b32_e32 v7, 1
	s_xor_b64 exec, exec, s[40:41]
	s_cbranch_execz .LBB6_2433
.LBB6_2596:                             ;   in Loop: Header=BB6_2153 Depth=4
	v_cmp_ne_u16_sdwa s[36:37], v2, v21 src0_sel:BYTE_0 src1_sel:DWORD
	s_andn2_b64 s[28:29], s[28:29], exec
	s_and_b64 s[36:37], s[36:37], exec
	v_mov_b32_e32 v7, 0
	s_or_b64 s[28:29], s[28:29], s[36:37]
	s_or_b64 exec, exec, s[40:41]
	s_and_saveexec_b64 s[40:41], s[28:29]
	s_cbranch_execnz .LBB6_2434
	s_branch .LBB6_2435
.LBB6_2597:                             ;   in Loop: Header=BB6_2153 Depth=4
	s_or_saveexec_b64 s[36:37], s[36:37]
	v_bfrev_b32_e32 v2, 1
	s_xor_b64 exec, exec, s[36:37]
	s_cbranch_execz .LBB6_2513
.LBB6_2598:                             ;   in Loop: Header=BB6_2153 Depth=4
	v_cmp_ne_u16_e64 s[28:29], 0, v20
	s_andn2_b64 s[40:41], s[40:41], exec
	s_and_b64 s[28:29], s[28:29], exec
	v_mov_b32_e32 v2, 0
	s_or_b64 s[40:41], s[40:41], s[28:29]
	s_or_b64 exec, exec, s[36:37]
	s_and_saveexec_b64 s[36:37], s[40:41]
	s_cbranch_execnz .LBB6_2514
	s_branch .LBB6_2515
.LBB6_2599:                             ;   in Loop: Header=BB6_2153 Depth=4
	s_or_saveexec_b64 s[40:41], s[40:41]
	v_bfrev_b32_e32 v7, 1
	s_xor_b64 exec, exec, s[40:41]
	s_cbranch_execz .LBB6_2541
.LBB6_2600:                             ;   in Loop: Header=BB6_2153 Depth=4
	v_cmp_ne_u16_sdwa s[36:37], v2, v21 src0_sel:BYTE_0 src1_sel:DWORD
	s_andn2_b64 s[28:29], s[28:29], exec
	s_and_b64 s[36:37], s[36:37], exec
	v_mov_b32_e32 v7, 0
	s_or_b64 s[28:29], s[28:29], s[36:37]
	s_or_b64 exec, exec, s[40:41]
	s_and_saveexec_b64 s[40:41], s[28:29]
	s_cbranch_execnz .LBB6_2542
	s_branch .LBB6_2543
.LBB6_2601:                             ;   in Loop: Header=BB6_274 Depth=3
	s_or_b64 exec, exec, s[34:35]
.LBB6_2602:                             ;   in Loop: Header=BB6_274 Depth=3
	s_or_b64 exec, exec, s[30:31]
	v_and_b32_e32 v3, 15, v54
	v_cndmask_b32_e32 v8, v6, v3, vcc
	v_mov_b32_e32 v7, 0
	v_cmp_ne_u32_e64 s[28:29], 0, v8
	s_mov_b64 s[30:31], 0
                                        ; implicit-def: $vgpr9
                                        ; implicit-def: $vgpr2
	s_and_saveexec_b64 s[40:41], s[28:29]
	s_cbranch_execz .LBB6_2604
; %bb.2603:                             ;   in Loop: Header=BB6_274 Depth=3
	v_sub_u32_e32 v2, v6, v3
	v_cndmask_b32_e32 v2, 0, v2, vcc
	v_cmp_lt_i32_e32 vcc, 0, v5
	v_add3_u32 v7, v4, v0, v2
	v_cndmask_b32_e32 v0, 0, v49, vcc
	v_sub_u32_e32 v0, v0, v5
	v_lshl_add_u32 v9, v0, 6, v1
	v_ashrrev_i32_e32 v0, 31, v9
	v_lshrrev_b32_e32 v0, 26, v0
	v_add_u32_e32 v0, v9, v0
	v_ashrrev_i32_e32 v2, 6, v0
	s_mov_b64 s[30:31], exec
.LBB6_2604:                             ;   in Loop: Header=BB6_274 Depth=3
	s_or_b64 exec, exec, s[40:41]
	s_and_b64 s[28:29], s[30:31], exec
.LBB6_2605:                             ;   in Loop: Header=BB6_274 Depth=3
	s_or_b64 exec, exec, s[94:95]
	s_and_saveexec_b64 s[40:41], s[28:29]
	s_cbranch_execz .LBB6_3670
.LBB6_2606:                             ;   in Loop: Header=BB6_274 Depth=3
	v_ashrrev_i32_e32 v0, 31, v8
	v_lshrrev_b32_e32 v0, 21, v0
	v_add_u32_e32 v0, v8, v0
	v_ashrrev_i32_e32 v3, 11, v0
	s_waitcnt vmcnt(0)
	v_sub_u32_e32 v5, v3, v2
	v_ashrrev_i32_e32 v0, 31, v9
	v_cmp_lt_i32_e32 vcc, 0, v5
	v_lshrrev_b32_e32 v1, 26, v0
	s_and_saveexec_b64 s[94:95], vcc
	s_cbranch_execz .LBB6_3634
; %bb.2607:                             ;   in Loop: Header=BB6_274 Depth=3
	v_add_u32_e32 v0, v9, v1
	v_and_b32_e32 v0, 0xffffffc0, v0
	buffer_store_dword v3, off, s[0:3], s33 offset:188 ; 4-byte Folded Spill
	buffer_store_dword v8, off, s[0:3], s33 offset:172 ; 4-byte Folded Spill
	;; [unrolled: 1-line block ×5, first 2 shown]
	s_nop 0
	buffer_store_dword v54, off, s[0:3], s33 offset:300 ; 4-byte Folded Spill
	buffer_store_dword v1, off, s[0:3], s33 offset:184 ; 4-byte Folded Spill
	v_sub_u32_e32 v0, v9, v0
	v_lshlrev_b32_e32 v1, 11, v2
	buffer_store_dword v9, off, s[0:3], s33 offset:180 ; 4-byte Folded Spill
	buffer_store_dword v7, off, s[0:3], s33 offset:168 ; 4-byte Folded Spill
	v_add3_u32 v2, v7, v0, v1
	s_trap 2
	ds_read_b64 v[0:1], v0
	v_ashrrev_i32_e32 v3, 31, v2
	v_add_co_u32_e32 v8, vcc, v2, v44
	v_addc_co_u32_e32 v9, vcc, v3, v45, vcc
	s_waitcnt lgkmcnt(0)
	v_add_co_u32_e32 v10, vcc, v0, v2
	v_addc_co_u32_e32 v11, vcc, v1, v3, vcc
	v_add_co_u32_e32 v0, vcc, 0x7c0, v42
	v_addc_co_u32_e32 v1, vcc, 0, v43, vcc
	;; [unrolled: 2-line block ×3, first 2 shown]
	s_mov_b64 s[30:31], 0
	s_branch .LBB6_2609
.LBB6_2608:                             ;   in Loop: Header=BB6_2609 Depth=4
	s_or_b64 exec, exec, s[28:29]
	v_add_co_u32_e32 v29, vcc, 0xfffff840, v12
	v_addc_co_u32_e32 v30, vcc, -1, v13, vcc
	flat_store_byte v[29:30], v54 glc slc
	v_add_co_u32_e32 v29, vcc, 0xfffff880, v12
	v_addc_co_u32_e32 v30, vcc, -1, v13, vcc
	flat_store_byte v[29:30], v48 glc slc
	;; [unrolled: 3-line block ×17, first 2 shown]
	v_add_co_u32_e32 v29, vcc, 0xfffffc80, v12
	v_addc_co_u32_e32 v30, vcc, -1, v13, vcc
	v_add_co_u32_e32 v2, vcc, 0xfffffcc0, v12
	flat_store_byte v[29:30], v3 glc slc
	v_addc_co_u32_e32 v3, vcc, -1, v13, vcc
	flat_store_byte v[2:3], v7 glc slc
	v_add_co_u32_e32 v2, vcc, 0xfffffd00, v12
	v_addc_co_u32_e32 v3, vcc, -1, v13, vcc
	flat_store_byte v[2:3], v14 glc slc
	v_add_co_u32_e32 v2, vcc, 0xfffffd40, v12
	;; [unrolled: 3-line block ×12, first 2 shown]
	v_addc_co_u32_e32 v3, vcc, -1, v13, vcc
	flat_store_byte v[2:3], v28 glc slc
	flat_store_byte v[12:13], v1 glc slc
	buffer_load_dword v0, off, s[0:3], s33 offset:192 ; 4-byte Folded Reload
	v_sub_u32_e32 v5, v5, v49
	s_waitcnt vmcnt(0)
	v_add_co_u32_e32 v8, vcc, v8, v0
	v_addc_co_u32_e32 v9, vcc, 0, v9, vcc
	v_add_co_u32_e32 v10, vcc, v10, v0
	v_addc_co_u32_e32 v11, vcc, 0, v11, vcc
	v_cmp_gt_i32_e32 vcc, 1, v5
	s_or_b64 s[30:31], vcc, s[30:31]
	v_add_co_u32_e32 v12, vcc, v12, v0
	v_addc_co_u32_e32 v13, vcc, 0, v13, vcc
	s_andn2_b64 exec, exec, s[30:31]
	s_cbranch_execz .LBB6_3633
.LBB6_2609:                             ;   Parent Loop BB6_47 Depth=1
                                        ;     Parent Loop BB6_271 Depth=2
                                        ;       Parent Loop BB6_274 Depth=3
                                        ; =>      This Inner Loop Header: Depth=4
	flat_load_ubyte v2, v[8:9] glc slc
	flat_load_ubyte v35, v[8:9] offset:64 glc slc
	flat_load_ubyte v32, v[8:9] offset:128 glc slc
	;; [unrolled: 1-line block ×22, first 2 shown]
	v_mov_b32_e32 v20, 0
	v_mov_b32_e32 v37, 0
	s_waitcnt vmcnt(0) lgkmcnt(0)
	v_cmp_ne_u16_e32 vcc, 0, v2
	buffer_store_dword v0, off, s[0:3], s33 offset:164 ; 4-byte Folded Spill
	flat_load_ubyte v0, v[8:9] offset:1472 glc slc
	s_waitcnt vmcnt(0) lgkmcnt(0)
	buffer_store_dword v0, off, s[0:3], s33 offset:156 ; 4-byte Folded Spill
	flat_load_ubyte v0, v[8:9] offset:1536 glc slc
	s_waitcnt vmcnt(0) lgkmcnt(0)
	;; [unrolled: 3-line block ×8, first 2 shown]
	buffer_store_dword v0, off, s[0:3], s33 offset:100 ; 4-byte Folded Spill
	flat_load_ubyte v51, v[8:9] offset:1984 glc slc
	flat_load_ubyte v1, v[10:11] glc slc
	flat_load_ubyte v34, v[10:11] offset:64 glc slc
	flat_load_ubyte v31, v[10:11] offset:128 glc slc
	;; [unrolled: 1-line block ×23, first 2 shown]
	s_waitcnt vmcnt(0) lgkmcnt(0)
	buffer_store_dword v0, off, s[0:3], s33 offset:160 ; 4-byte Folded Spill
	flat_load_ubyte v0, v[10:11] offset:1472 glc slc
	s_waitcnt vmcnt(0) lgkmcnt(0)
	buffer_store_dword v0, off, s[0:3], s33 offset:152 ; 4-byte Folded Spill
	flat_load_ubyte v0, v[10:11] offset:1536 glc slc
	s_waitcnt vmcnt(0) lgkmcnt(0)
	buffer_store_dword v0, off, s[0:3], s33 offset:144 ; 4-byte Folded Spill
	flat_load_ubyte v0, v[10:11] offset:1600 glc slc
	s_waitcnt vmcnt(0) lgkmcnt(0)
	buffer_store_dword v0, off, s[0:3], s33 offset:136 ; 4-byte Folded Spill
	flat_load_ubyte v0, v[10:11] offset:1664 glc slc
	s_waitcnt vmcnt(0) lgkmcnt(0)
	buffer_store_dword v0, off, s[0:3], s33 offset:128 ; 4-byte Folded Spill
	flat_load_ubyte v0, v[10:11] offset:1728 glc slc
	s_waitcnt vmcnt(0) lgkmcnt(0)
	buffer_store_dword v0, off, s[0:3], s33 offset:120 ; 4-byte Folded Spill
	flat_load_ubyte v0, v[10:11] offset:1792 glc slc
	s_waitcnt vmcnt(0) lgkmcnt(0)
	buffer_store_dword v0, off, s[0:3], s33 offset:112 ; 4-byte Folded Spill
	flat_load_ubyte v0, v[10:11] offset:1856 glc slc
	s_waitcnt vmcnt(0) lgkmcnt(0)
	buffer_store_dword v0, off, s[0:3], s33 offset:104 ; 4-byte Folded Spill
	flat_load_ubyte v0, v[10:11] offset:1920 glc slc
	s_waitcnt vmcnt(0) lgkmcnt(0)
	buffer_store_dword v0, off, s[0:3], s33 offset:96 ; 4-byte Folded Spill
	s_and_saveexec_b64 s[28:29], vcc
	s_cbranch_execz .LBB6_2615
; %bb.2610:                             ;   in Loop: Header=BB6_2609 Depth=4
	v_cmp_ne_u16_e32 vcc, s80, v2
	v_bfrev_b32_e32 v37, 1
	s_and_saveexec_b64 s[34:35], vcc
	s_cbranch_execz .LBB6_2614
; %bb.2611:                             ;   in Loop: Header=BB6_2609 Depth=4
	v_and_b32_e32 v0, 0xffff, v2
	v_and_b32_e32 v38, 0x7f, v0
	v_cmp_ne_u32_e32 vcc, s81, v38
	v_mov_b32_e32 v37, 0x7f800001
	s_and_saveexec_b64 s[36:37], vcc
	s_cbranch_execz .LBB6_2613
; %bb.2612:                             ;   in Loop: Header=BB6_2609 Depth=4
	v_and_b32_e32 v48, 7, v0
	v_ffbh_u32_e32 v37, v48
	v_mov_b32_e32 v54, v51
	v_min_u32_e32 v51, 32, v37
	v_subrev_u32_e32 v37, 28, v51
	v_lshrrev_b32_e32 v49, 3, v38
	v_cmp_gt_u32_e32 vcc, 8, v38
	v_lshlrev_b64 v[37:38], v37, v[0:1]
	v_sub_u32_e32 v0, 29, v51
	v_cndmask_b32_e32 v0, v49, v0, vcc
	buffer_load_dword v49, off, s[0:3], s33 offset:92 ; 4-byte Folded Reload
	v_and_b32_e32 v37, 7, v37
	v_cndmask_b32_e32 v37, v48, v37, vcc
	v_lshlrev_b32_e32 v2, 24, v2
	v_bfrev_b32_e32 v38, 60
	v_lshlrev_b32_e32 v37, 20, v37
	v_and_b32_e32 v2, 0x80000000, v2
	v_lshl_add_u32 v0, v0, 23, v38
	v_mov_b32_e32 v51, v54
	v_or3_b32 v37, v2, v0, v37
.LBB6_2613:                             ;   in Loop: Header=BB6_2609 Depth=4
	s_or_b64 exec, exec, s[36:37]
.LBB6_2614:                             ;   in Loop: Header=BB6_2609 Depth=4
	s_or_b64 exec, exec, s[34:35]
.LBB6_2615:                             ;   in Loop: Header=BB6_2609 Depth=4
	s_or_b64 exec, exec, s[28:29]
	v_and_b32_e32 v0, 0xff, v1
	v_cmp_ne_u16_e32 vcc, 0, v0
	s_and_saveexec_b64 s[28:29], vcc
	s_cbranch_execz .LBB6_2621
; %bb.2616:                             ;   in Loop: Header=BB6_2609 Depth=4
	v_cmp_ne_u16_e32 vcc, s80, v0
	v_bfrev_b32_e32 v20, 1
	s_and_saveexec_b64 s[34:35], vcc
	s_cbranch_execz .LBB6_2620
; %bb.2617:                             ;   in Loop: Header=BB6_2609 Depth=4
	v_and_b32_e32 v2, 0x7f, v1
	v_cmp_ne_u32_e32 vcc, s81, v2
	v_mov_b32_e32 v20, 0x7f800001
	s_and_saveexec_b64 s[36:37], vcc
	s_cbranch_execz .LBB6_2619
; %bb.2618:                             ;   in Loop: Header=BB6_2609 Depth=4
	v_and_b32_e32 v20, 7, v0
	v_lshrrev_b32_e32 v38, 3, v2
	v_cmp_gt_u32_e32 vcc, 8, v2
	v_ffbh_u32_e32 v2, v20
	v_min_u32_e32 v2, 32, v2
	v_subrev_u32_e32 v48, 28, v2
	s_waitcnt vmcnt(0)
	v_lshlrev_b64 v[48:49], v48, v[0:1]
	buffer_load_dword v49, off, s[0:3], s33 offset:92 ; 4-byte Folded Reload
	v_sub_u32_e32 v0, 29, v2
	v_and_b32_e32 v2, 7, v48
	v_cndmask_b32_e32 v0, v38, v0, vcc
	v_cndmask_b32_e32 v2, v20, v2, vcc
	v_lshlrev_b32_e32 v1, 24, v1
	v_bfrev_b32_e32 v20, 60
	v_lshlrev_b32_e32 v2, 20, v2
	v_and_b32_e32 v1, 0x80000000, v1
	v_lshl_add_u32 v0, v0, 23, v20
	v_or3_b32 v20, v1, v0, v2
.LBB6_2619:                             ;   in Loop: Header=BB6_2609 Depth=4
	s_or_b64 exec, exec, s[36:37]
.LBB6_2620:                             ;   in Loop: Header=BB6_2609 Depth=4
	s_or_b64 exec, exec, s[34:35]
.LBB6_2621:                             ;   in Loop: Header=BB6_2609 Depth=4
	s_or_b64 exec, exec, s[28:29]
	v_mul_f32_e32 v0, v37, v20
	v_and_b32_e32 v20, 0x7f800000, v0
	v_cmp_ne_u64_e32 vcc, s[62:63], v[20:21]
                                        ; implicit-def: $vgpr54
	s_and_saveexec_b64 s[28:29], vcc
	s_xor_b64 s[34:35], exec, s[28:29]
	s_cbranch_execz .LBB6_2639
; %bb.2622:                             ;   in Loop: Header=BB6_2609 Depth=4
	v_and_b32_e32 v20, 0x7fffffff, v0
	v_cmp_gt_u64_e32 vcc, s[78:79], v[20:21]
	v_and_b32_sdwa v37, v0, s80 dst_sel:DWORD dst_unused:UNUSED_PAD src0_sel:BYTE_3 src1_sel:DWORD
                                        ; implicit-def: $vgpr54
	s_and_saveexec_b64 s[28:29], vcc
	s_xor_b64 s[36:37], exec, s[28:29]
	s_cbranch_execz .LBB6_2636
; %bb.2623:                             ;   in Loop: Header=BB6_2609 Depth=4
	v_cmp_ne_u32_e32 vcc, 0, v0
	v_mov_b32_e32 v54, 0
	s_and_saveexec_b64 s[38:39], vcc
	s_cbranch_execz .LBB6_2635
; %bb.2624:                             ;   in Loop: Header=BB6_2609 Depth=4
	v_bfe_u32 v38, v0, 23, 8
	v_and_b32_e32 v1, 0x7fffff, v0
	v_cmp_gt_u32_e64 s[28:29], s47, v38
	v_sub_u32_e32 v0, 0x79, v38
	v_cmp_eq_u32_e32 vcc, 0, v38
	v_cndmask_b32_e64 v0, 0, v0, s[28:29]
	v_mov_b32_e32 v20, 0x78
	v_cndmask_b32_e32 v48, v0, v20, vcc
	v_or_b32_e32 v2, 0x800000, v1
	v_add_u32_e32 v0, 20, v48
	v_cndmask_b32_e32 v20, v2, v1, vcc
	v_lshlrev_b64 v[0:1], v0, -1
	v_add_u32_e32 v2, 19, v48
	v_mov_b32_e32 v55, v51
	v_mov_b32_e32 v54, v52
	v_lshlrev_b64 v[51:52], v2, 1
	v_bfi_b32 v1, v1, 0, 0
	v_bfi_b32 v0, v0, 0, v20
	v_cmp_eq_u64_e64 s[28:29], v[0:1], v[51:52]
	v_lshrrev_b64 v[0:1], v48, v[20:21]
	v_mov_b32_e32 v2, v1
	v_mov_b32_e32 v1, v0
	s_and_saveexec_b64 s[48:49], s[28:29]
; %bb.2625:                             ;   in Loop: Header=BB6_2609 Depth=4
	v_bfe_u32 v1, v0, 20, 1
	v_add_co_u32_e64 v1, s[28:29], v0, v1
	v_add_co_u32_e64 v1, s[28:29], -1, v1
; %bb.2626:                             ;   in Loop: Header=BB6_2609 Depth=4
	s_or_b64 exec, exec, s[48:49]
	v_add_u32_e32 v2, 0xffffff81, v38
	v_mov_b32_e32 v20, 0xffffff82
	v_cndmask_b32_e32 v2, v2, v20, vcc
	v_lshrrev_b32_e32 v20, 23, v0
	v_add3_u32 v48, v48, v2, v20
	v_add_u32_e32 v38, 6, v48
	v_and_b32_e32 v1, 0xfffff, v1
	v_add_u32_e32 v20, v1, v0
	v_cmp_ne_u32_e32 vcc, 0, v38
                                        ; implicit-def: $vgpr0_vgpr1
                                        ; implicit-def: $vgpr2
	s_and_saveexec_b64 s[28:29], vcc
	s_xor_b64 s[28:29], exec, s[28:29]
; %bb.2627:                             ;   in Loop: Header=BB6_2609 Depth=4
	v_cmp_lt_u64_e32 vcc, s[88:89], v[20:21]
	v_add_u32_e32 v0, 7, v48
	v_cndmask_b32_e32 v2, v38, v0, vcc
	v_cndmask_b32_e64 v0, 0, 1, vcc
	v_lshrrev_b64 v[0:1], v0, v[20:21]
; %bb.2628:                             ;   in Loop: Header=BB6_2609 Depth=4
	s_or_saveexec_b64 s[28:29], s[28:29]
	v_mov_b32_e32 v52, v54
	v_mov_b32_e32 v51, v55
	s_xor_b64 exec, exec, s[28:29]
; %bb.2629:                             ;   in Loop: Header=BB6_2609 Depth=4
	v_mov_b32_e32 v0, v20
	v_bfe_u32 v2, v20, 23, 1
	v_mov_b32_e32 v1, v21
; %bb.2630:                             ;   in Loop: Header=BB6_2609 Depth=4
	s_or_b64 exec, exec, s[28:29]
	v_lshrrev_b64 v[0:1], 20, v[0:1]
	v_cmp_gt_i32_e32 vcc, 16, v2
	v_cndmask_b32_e32 v1, 0, v1, vcc
	v_cndmask_b32_e32 v0, 7, v0, vcc
	v_cmp_ne_u64_e32 vcc, 0, v[0:1]
	v_cmp_ne_u32_e64 s[28:29], 0, v2
	s_or_b64 s[28:29], s[28:29], vcc
                                        ; implicit-def: $vgpr54
	s_and_saveexec_b64 vcc, s[28:29]
	s_xor_b64 s[28:29], exec, vcc
; %bb.2631:                             ;   in Loop: Header=BB6_2609 Depth=4
	v_min_i32_e32 v1, 15, v2
	v_lshl_or_b32 v1, v1, 3, v37
	v_and_or_b32 v54, v0, 7, v1
                                        ; implicit-def: $vgpr37
; %bb.2632:                             ;   in Loop: Header=BB6_2609 Depth=4
	s_andn2_saveexec_b64 s[28:29], s[28:29]
; %bb.2633:                             ;   in Loop: Header=BB6_2609 Depth=4
	v_mov_b32_e32 v54, v37
; %bb.2634:                             ;   in Loop: Header=BB6_2609 Depth=4
	s_or_b64 exec, exec, s[28:29]
.LBB6_2635:                             ;   in Loop: Header=BB6_2609 Depth=4
	s_or_b64 exec, exec, s[38:39]
                                        ; implicit-def: $vgpr37
.LBB6_2636:                             ;   in Loop: Header=BB6_2609 Depth=4
	s_andn2_saveexec_b64 s[28:29], s[36:37]
; %bb.2637:                             ;   in Loop: Header=BB6_2609 Depth=4
	v_or_b32_e32 v54, 0x7e, v37
; %bb.2638:                             ;   in Loop: Header=BB6_2609 Depth=4
	s_or_b64 exec, exec, s[28:29]
                                        ; implicit-def: $vgpr0
.LBB6_2639:                             ;   in Loop: Header=BB6_2609 Depth=4
	s_andn2_saveexec_b64 s[28:29], s[34:35]
; %bb.2640:                             ;   in Loop: Header=BB6_2609 Depth=4
	v_or_b32_sdwa v54, v0, s81 dst_sel:DWORD dst_unused:UNUSED_PAD src0_sel:BYTE_3 src1_sel:DWORD
; %bb.2641:                             ;   in Loop: Header=BB6_2609 Depth=4
	s_or_b64 exec, exec, s[28:29]
	v_and_b32_e32 v0, 0xff, v35
	v_cmp_ne_u16_e32 vcc, 0, v0
	v_mov_b32_e32 v1, 0
	v_mov_b32_e32 v2, 0
	s_and_saveexec_b64 s[28:29], vcc
	s_cbranch_execz .LBB6_2647
; %bb.2642:                             ;   in Loop: Header=BB6_2609 Depth=4
	v_cmp_ne_u16_e32 vcc, s80, v0
	v_bfrev_b32_e32 v2, 1
	s_and_saveexec_b64 s[34:35], vcc
	s_cbranch_execz .LBB6_2646
; %bb.2643:                             ;   in Loop: Header=BB6_2609 Depth=4
	v_and_b32_e32 v20, 0x7f, v35
	v_cmp_ne_u32_e32 vcc, s81, v20
	v_mov_b32_e32 v2, 0x7f800001
	s_and_saveexec_b64 s[36:37], vcc
	s_cbranch_execz .LBB6_2645
; %bb.2644:                             ;   in Loop: Header=BB6_2609 Depth=4
	v_and_b32_e32 v2, 7, v0
	v_lshrrev_b32_e32 v48, 3, v20
	v_cmp_gt_u32_e32 vcc, 8, v20
	v_ffbh_u32_e32 v20, v2
	v_min_u32_e32 v20, 32, v20
	v_subrev_u32_e32 v37, 28, v20
	v_lshlrev_b64 v[37:38], v37, v[0:1]
	v_sub_u32_e32 v0, 29, v20
	v_and_b32_e32 v20, 7, v37
	v_cndmask_b32_e32 v0, v48, v0, vcc
	v_cndmask_b32_e32 v2, v2, v20, vcc
	v_lshlrev_b32_e32 v20, 24, v35
	v_bfrev_b32_e32 v35, 60
	v_lshlrev_b32_e32 v2, 20, v2
	v_and_b32_e32 v20, 0x80000000, v20
	v_lshl_add_u32 v0, v0, 23, v35
	v_or3_b32 v2, v20, v0, v2
.LBB6_2645:                             ;   in Loop: Header=BB6_2609 Depth=4
	s_or_b64 exec, exec, s[36:37]
.LBB6_2646:                             ;   in Loop: Header=BB6_2609 Depth=4
	s_or_b64 exec, exec, s[34:35]
.LBB6_2647:                             ;   in Loop: Header=BB6_2609 Depth=4
	s_or_b64 exec, exec, s[28:29]
	v_and_b32_e32 v0, 0xff, v34
	v_cmp_ne_u16_e32 vcc, 0, v0
	s_and_saveexec_b64 s[28:29], vcc
	s_cbranch_execz .LBB6_2653
; %bb.2648:                             ;   in Loop: Header=BB6_2609 Depth=4
	v_cmp_ne_u16_e32 vcc, s80, v0
	v_bfrev_b32_e32 v1, 1
	s_and_saveexec_b64 s[34:35], vcc
	s_cbranch_execz .LBB6_2652
; %bb.2649:                             ;   in Loop: Header=BB6_2609 Depth=4
	v_and_b32_e32 v20, 0x7f, v34
	v_cmp_ne_u32_e32 vcc, s81, v20
	v_mov_b32_e32 v1, 0x7f800001
	s_and_saveexec_b64 s[36:37], vcc
	s_cbranch_execz .LBB6_2651
; %bb.2650:                             ;   in Loop: Header=BB6_2609 Depth=4
	v_and_b32_e32 v35, 7, v0
	v_ffbh_u32_e32 v1, v35
	v_lshrrev_b32_e32 v37, 3, v20
	v_cmp_gt_u32_e32 vcc, 8, v20
	v_min_u32_e32 v20, 32, v1
	v_subrev_u32_e32 v1, 28, v20
	v_lshlrev_b64 v[0:1], v1, v[0:1]
	v_sub_u32_e32 v1, 29, v20
	v_and_b32_e32 v0, 7, v0
	v_cndmask_b32_e32 v1, v37, v1, vcc
	v_cndmask_b32_e32 v0, v35, v0, vcc
	v_lshlrev_b32_e32 v20, 24, v34
	v_bfrev_b32_e32 v34, 60
	v_lshlrev_b32_e32 v0, 20, v0
	v_and_b32_e32 v20, 0x80000000, v20
	v_lshl_add_u32 v1, v1, 23, v34
	v_or3_b32 v1, v20, v1, v0
.LBB6_2651:                             ;   in Loop: Header=BB6_2609 Depth=4
	s_or_b64 exec, exec, s[36:37]
.LBB6_2652:                             ;   in Loop: Header=BB6_2609 Depth=4
	s_or_b64 exec, exec, s[34:35]
.LBB6_2653:                             ;   in Loop: Header=BB6_2609 Depth=4
	s_or_b64 exec, exec, s[28:29]
	v_mul_f32_e32 v0, v2, v1
	v_and_b32_e32 v20, 0x7f800000, v0
	v_cmp_ne_u64_e32 vcc, s[62:63], v[20:21]
                                        ; implicit-def: $vgpr48
	s_and_saveexec_b64 s[28:29], vcc
	s_xor_b64 s[34:35], exec, s[28:29]
	s_cbranch_execz .LBB6_2671
; %bb.2654:                             ;   in Loop: Header=BB6_2609 Depth=4
	v_and_b32_e32 v20, 0x7fffffff, v0
	v_cmp_gt_u64_e32 vcc, s[78:79], v[20:21]
	v_and_b32_sdwa v34, v0, s80 dst_sel:DWORD dst_unused:UNUSED_PAD src0_sel:BYTE_3 src1_sel:DWORD
                                        ; implicit-def: $vgpr48
	s_and_saveexec_b64 s[28:29], vcc
	s_xor_b64 s[36:37], exec, s[28:29]
	s_cbranch_execz .LBB6_2668
; %bb.2655:                             ;   in Loop: Header=BB6_2609 Depth=4
	v_cmp_ne_u32_e32 vcc, 0, v0
	v_mov_b32_e32 v48, 0
	s_and_saveexec_b64 s[38:39], vcc
	s_cbranch_execz .LBB6_2667
; %bb.2656:                             ;   in Loop: Header=BB6_2609 Depth=4
	v_bfe_u32 v35, v0, 23, 8
	v_and_b32_e32 v1, 0x7fffff, v0
	v_cmp_gt_u32_e64 s[28:29], s47, v35
	v_sub_u32_e32 v0, 0x79, v35
	v_cmp_eq_u32_e32 vcc, 0, v35
	v_cndmask_b32_e64 v0, 0, v0, s[28:29]
	v_mov_b32_e32 v20, 0x78
	v_cndmask_b32_e32 v37, v0, v20, vcc
	v_or_b32_e32 v2, 0x800000, v1
	v_add_u32_e32 v0, 20, v37
	v_cndmask_b32_e32 v20, v2, v1, vcc
	v_lshlrev_b64 v[0:1], v0, -1
	v_add_u32_e32 v2, 19, v37
	s_waitcnt vmcnt(0)
	v_lshlrev_b64 v[48:49], v2, 1
	v_bfi_b32 v1, v1, 0, 0
	v_bfi_b32 v0, v0, 0, v20
	v_cmp_eq_u64_e64 s[28:29], v[0:1], v[48:49]
	v_lshrrev_b64 v[0:1], v37, v[20:21]
	v_mov_b32_e32 v2, v1
	v_mov_b32_e32 v1, v0
	s_and_saveexec_b64 s[48:49], s[28:29]
; %bb.2657:                             ;   in Loop: Header=BB6_2609 Depth=4
	v_bfe_u32 v1, v0, 20, 1
	v_add_co_u32_e64 v1, s[28:29], v0, v1
	v_add_co_u32_e64 v1, s[28:29], -1, v1
; %bb.2658:                             ;   in Loop: Header=BB6_2609 Depth=4
	s_or_b64 exec, exec, s[48:49]
	v_add_u32_e32 v2, 0xffffff81, v35
	v_mov_b32_e32 v20, 0xffffff82
	v_cndmask_b32_e32 v2, v2, v20, vcc
	v_lshrrev_b32_e32 v20, 23, v0
	v_add3_u32 v37, v37, v2, v20
	v_add_u32_e32 v35, 6, v37
	v_and_b32_e32 v1, 0xfffff, v1
	v_add_u32_e32 v20, v1, v0
	v_cmp_ne_u32_e32 vcc, 0, v35
                                        ; implicit-def: $vgpr0_vgpr1
                                        ; implicit-def: $vgpr2
	s_and_saveexec_b64 s[28:29], vcc
	s_xor_b64 s[28:29], exec, s[28:29]
; %bb.2659:                             ;   in Loop: Header=BB6_2609 Depth=4
	v_cmp_lt_u64_e32 vcc, s[88:89], v[20:21]
	v_add_u32_e32 v0, 7, v37
	v_cndmask_b32_e32 v2, v35, v0, vcc
	v_cndmask_b32_e64 v0, 0, 1, vcc
	v_lshrrev_b64 v[0:1], v0, v[20:21]
; %bb.2660:                             ;   in Loop: Header=BB6_2609 Depth=4
	s_or_saveexec_b64 s[28:29], s[28:29]
	buffer_load_dword v49, off, s[0:3], s33 offset:92 ; 4-byte Folded Reload
	s_xor_b64 exec, exec, s[28:29]
; %bb.2661:                             ;   in Loop: Header=BB6_2609 Depth=4
	v_mov_b32_e32 v0, v20
	v_bfe_u32 v2, v20, 23, 1
	v_mov_b32_e32 v1, v21
; %bb.2662:                             ;   in Loop: Header=BB6_2609 Depth=4
	s_or_b64 exec, exec, s[28:29]
	v_lshrrev_b64 v[0:1], 20, v[0:1]
	v_cmp_gt_i32_e32 vcc, 16, v2
	v_cndmask_b32_e32 v1, 0, v1, vcc
	v_cndmask_b32_e32 v0, 7, v0, vcc
	v_cmp_ne_u64_e32 vcc, 0, v[0:1]
	v_cmp_ne_u32_e64 s[28:29], 0, v2
	s_or_b64 s[28:29], s[28:29], vcc
                                        ; implicit-def: $vgpr48
	s_and_saveexec_b64 vcc, s[28:29]
	s_xor_b64 s[28:29], exec, vcc
; %bb.2663:                             ;   in Loop: Header=BB6_2609 Depth=4
	v_min_i32_e32 v1, 15, v2
	v_lshl_or_b32 v1, v1, 3, v34
	v_and_or_b32 v48, v0, 7, v1
                                        ; implicit-def: $vgpr34
; %bb.2664:                             ;   in Loop: Header=BB6_2609 Depth=4
	s_andn2_saveexec_b64 s[28:29], s[28:29]
; %bb.2665:                             ;   in Loop: Header=BB6_2609 Depth=4
	v_mov_b32_e32 v48, v34
; %bb.2666:                             ;   in Loop: Header=BB6_2609 Depth=4
	s_or_b64 exec, exec, s[28:29]
.LBB6_2667:                             ;   in Loop: Header=BB6_2609 Depth=4
	s_or_b64 exec, exec, s[38:39]
                                        ; implicit-def: $vgpr34
.LBB6_2668:                             ;   in Loop: Header=BB6_2609 Depth=4
	s_andn2_saveexec_b64 s[28:29], s[36:37]
; %bb.2669:                             ;   in Loop: Header=BB6_2609 Depth=4
	v_or_b32_e32 v48, 0x7e, v34
; %bb.2670:                             ;   in Loop: Header=BB6_2609 Depth=4
	s_or_b64 exec, exec, s[28:29]
                                        ; implicit-def: $vgpr0
.LBB6_2671:                             ;   in Loop: Header=BB6_2609 Depth=4
	s_andn2_saveexec_b64 s[28:29], s[34:35]
; %bb.2672:                             ;   in Loop: Header=BB6_2609 Depth=4
	v_or_b32_sdwa v48, v0, s81 dst_sel:DWORD dst_unused:UNUSED_PAD src0_sel:BYTE_3 src1_sel:DWORD
; %bb.2673:                             ;   in Loop: Header=BB6_2609 Depth=4
	s_or_b64 exec, exec, s[28:29]
	v_and_b32_e32 v0, 0xff, v32
	v_cmp_ne_u16_e32 vcc, 0, v0
	v_mov_b32_e32 v1, 0
	v_mov_b32_e32 v2, 0
	s_and_saveexec_b64 s[28:29], vcc
	s_cbranch_execz .LBB6_2679
; %bb.2674:                             ;   in Loop: Header=BB6_2609 Depth=4
	v_cmp_ne_u16_e32 vcc, s80, v0
	v_bfrev_b32_e32 v2, 1
	s_and_saveexec_b64 s[34:35], vcc
	s_cbranch_execz .LBB6_2678
; %bb.2675:                             ;   in Loop: Header=BB6_2609 Depth=4
	v_and_b32_e32 v20, 0x7f, v32
	v_cmp_ne_u32_e32 vcc, s81, v20
	v_mov_b32_e32 v2, 0x7f800001
	s_and_saveexec_b64 s[36:37], vcc
	s_cbranch_execz .LBB6_2677
; %bb.2676:                             ;   in Loop: Header=BB6_2609 Depth=4
	v_and_b32_e32 v2, 7, v0
	v_lshrrev_b32_e32 v37, 3, v20
	v_cmp_gt_u32_e32 vcc, 8, v20
	v_ffbh_u32_e32 v20, v2
	v_min_u32_e32 v20, 32, v20
	v_subrev_u32_e32 v34, 28, v20
	v_lshlrev_b64 v[34:35], v34, v[0:1]
	v_sub_u32_e32 v0, 29, v20
	v_and_b32_e32 v20, 7, v34
	v_cndmask_b32_e32 v0, v37, v0, vcc
	v_cndmask_b32_e32 v2, v2, v20, vcc
	v_lshlrev_b32_e32 v20, 24, v32
	v_bfrev_b32_e32 v32, 60
	v_lshlrev_b32_e32 v2, 20, v2
	v_and_b32_e32 v20, 0x80000000, v20
	v_lshl_add_u32 v0, v0, 23, v32
	v_or3_b32 v2, v20, v0, v2
.LBB6_2677:                             ;   in Loop: Header=BB6_2609 Depth=4
	s_or_b64 exec, exec, s[36:37]
.LBB6_2678:                             ;   in Loop: Header=BB6_2609 Depth=4
	s_or_b64 exec, exec, s[34:35]
.LBB6_2679:                             ;   in Loop: Header=BB6_2609 Depth=4
	s_or_b64 exec, exec, s[28:29]
	v_and_b32_e32 v0, 0xff, v31
	v_cmp_ne_u16_e32 vcc, 0, v0
	s_and_saveexec_b64 s[28:29], vcc
	s_cbranch_execz .LBB6_2685
; %bb.2680:                             ;   in Loop: Header=BB6_2609 Depth=4
	v_cmp_ne_u16_e32 vcc, s80, v0
	v_bfrev_b32_e32 v1, 1
	s_and_saveexec_b64 s[34:35], vcc
	s_cbranch_execz .LBB6_2684
; %bb.2681:                             ;   in Loop: Header=BB6_2609 Depth=4
	v_and_b32_e32 v20, 0x7f, v31
	v_cmp_ne_u32_e32 vcc, s81, v20
	v_mov_b32_e32 v1, 0x7f800001
	s_and_saveexec_b64 s[36:37], vcc
	s_cbranch_execz .LBB6_2683
; %bb.2682:                             ;   in Loop: Header=BB6_2609 Depth=4
	v_and_b32_e32 v32, 7, v0
	v_ffbh_u32_e32 v1, v32
	v_lshrrev_b32_e32 v34, 3, v20
	v_cmp_gt_u32_e32 vcc, 8, v20
	v_min_u32_e32 v20, 32, v1
	v_subrev_u32_e32 v1, 28, v20
	v_lshlrev_b64 v[0:1], v1, v[0:1]
	v_sub_u32_e32 v1, 29, v20
	v_and_b32_e32 v0, 7, v0
	v_cndmask_b32_e32 v1, v34, v1, vcc
	v_cndmask_b32_e32 v0, v32, v0, vcc
	v_lshlrev_b32_e32 v20, 24, v31
	v_bfrev_b32_e32 v31, 60
	v_lshlrev_b32_e32 v0, 20, v0
	v_and_b32_e32 v20, 0x80000000, v20
	v_lshl_add_u32 v1, v1, 23, v31
	v_or3_b32 v1, v20, v1, v0
.LBB6_2683:                             ;   in Loop: Header=BB6_2609 Depth=4
	s_or_b64 exec, exec, s[36:37]
.LBB6_2684:                             ;   in Loop: Header=BB6_2609 Depth=4
	s_or_b64 exec, exec, s[34:35]
.LBB6_2685:                             ;   in Loop: Header=BB6_2609 Depth=4
	s_or_b64 exec, exec, s[28:29]
	v_mul_f32_e32 v0, v2, v1
	v_and_b32_e32 v20, 0x7f800000, v0
	v_cmp_ne_u64_e32 vcc, s[62:63], v[20:21]
                                        ; implicit-def: $vgpr37
	s_and_saveexec_b64 s[28:29], vcc
	s_xor_b64 s[34:35], exec, s[28:29]
	s_cbranch_execz .LBB6_2703
; %bb.2686:                             ;   in Loop: Header=BB6_2609 Depth=4
	v_and_b32_e32 v20, 0x7fffffff, v0
	v_cmp_gt_u64_e32 vcc, s[78:79], v[20:21]
	v_and_b32_sdwa v31, v0, s80 dst_sel:DWORD dst_unused:UNUSED_PAD src0_sel:BYTE_3 src1_sel:DWORD
                                        ; implicit-def: $vgpr37
	s_and_saveexec_b64 s[28:29], vcc
	s_xor_b64 s[36:37], exec, s[28:29]
	s_cbranch_execz .LBB6_2700
; %bb.2687:                             ;   in Loop: Header=BB6_2609 Depth=4
	v_cmp_ne_u32_e32 vcc, 0, v0
	v_mov_b32_e32 v37, 0
	s_and_saveexec_b64 s[38:39], vcc
	s_cbranch_execz .LBB6_2699
; %bb.2688:                             ;   in Loop: Header=BB6_2609 Depth=4
	v_bfe_u32 v32, v0, 23, 8
	v_and_b32_e32 v1, 0x7fffff, v0
	v_cmp_gt_u32_e64 s[28:29], s47, v32
	v_sub_u32_e32 v0, 0x79, v32
	v_cmp_eq_u32_e32 vcc, 0, v32
	v_cndmask_b32_e64 v0, 0, v0, s[28:29]
	v_mov_b32_e32 v20, 0x78
	v_cndmask_b32_e32 v34, v0, v20, vcc
	v_or_b32_e32 v2, 0x800000, v1
	v_add_u32_e32 v0, 20, v34
	v_cndmask_b32_e32 v20, v2, v1, vcc
	v_lshlrev_b64 v[0:1], v0, -1
	v_add_u32_e32 v2, 19, v34
	v_lshlrev_b64 v[37:38], v2, 1
	v_bfi_b32 v1, v1, 0, 0
	v_bfi_b32 v0, v0, 0, v20
	v_cmp_eq_u64_e64 s[28:29], v[0:1], v[37:38]
	v_lshrrev_b64 v[0:1], v34, v[20:21]
	v_mov_b32_e32 v2, v1
	v_mov_b32_e32 v1, v0
	s_and_saveexec_b64 s[48:49], s[28:29]
; %bb.2689:                             ;   in Loop: Header=BB6_2609 Depth=4
	v_bfe_u32 v1, v0, 20, 1
	v_add_co_u32_e64 v1, s[28:29], v0, v1
	v_add_co_u32_e64 v1, s[28:29], -1, v1
; %bb.2690:                             ;   in Loop: Header=BB6_2609 Depth=4
	s_or_b64 exec, exec, s[48:49]
	v_add_u32_e32 v2, 0xffffff81, v32
	v_mov_b32_e32 v20, 0xffffff82
	v_cndmask_b32_e32 v2, v2, v20, vcc
	v_lshrrev_b32_e32 v20, 23, v0
	v_add3_u32 v34, v34, v2, v20
	v_add_u32_e32 v32, 6, v34
	v_and_b32_e32 v1, 0xfffff, v1
	v_add_u32_e32 v20, v1, v0
	v_cmp_ne_u32_e32 vcc, 0, v32
                                        ; implicit-def: $vgpr0_vgpr1
                                        ; implicit-def: $vgpr2
	s_and_saveexec_b64 s[28:29], vcc
	s_xor_b64 s[28:29], exec, s[28:29]
; %bb.2691:                             ;   in Loop: Header=BB6_2609 Depth=4
	v_cmp_lt_u64_e32 vcc, s[88:89], v[20:21]
	v_add_u32_e32 v0, 7, v34
	v_cndmask_b32_e32 v2, v32, v0, vcc
	v_cndmask_b32_e64 v0, 0, 1, vcc
	v_lshrrev_b64 v[0:1], v0, v[20:21]
; %bb.2692:                             ;   in Loop: Header=BB6_2609 Depth=4
	s_andn2_saveexec_b64 s[28:29], s[28:29]
; %bb.2693:                             ;   in Loop: Header=BB6_2609 Depth=4
	v_mov_b32_e32 v0, v20
	v_bfe_u32 v2, v20, 23, 1
	v_mov_b32_e32 v1, v21
; %bb.2694:                             ;   in Loop: Header=BB6_2609 Depth=4
	s_or_b64 exec, exec, s[28:29]
	v_lshrrev_b64 v[0:1], 20, v[0:1]
	v_cmp_gt_i32_e32 vcc, 16, v2
	v_cndmask_b32_e32 v1, 0, v1, vcc
	v_cndmask_b32_e32 v0, 7, v0, vcc
	v_cmp_ne_u64_e32 vcc, 0, v[0:1]
	v_cmp_ne_u32_e64 s[28:29], 0, v2
	s_or_b64 s[28:29], s[28:29], vcc
                                        ; implicit-def: $vgpr37
	s_and_saveexec_b64 vcc, s[28:29]
	s_xor_b64 s[28:29], exec, vcc
; %bb.2695:                             ;   in Loop: Header=BB6_2609 Depth=4
	v_min_i32_e32 v1, 15, v2
	v_lshl_or_b32 v1, v1, 3, v31
	v_and_or_b32 v37, v0, 7, v1
                                        ; implicit-def: $vgpr31
; %bb.2696:                             ;   in Loop: Header=BB6_2609 Depth=4
	s_andn2_saveexec_b64 s[28:29], s[28:29]
; %bb.2697:                             ;   in Loop: Header=BB6_2609 Depth=4
	v_mov_b32_e32 v37, v31
; %bb.2698:                             ;   in Loop: Header=BB6_2609 Depth=4
	s_or_b64 exec, exec, s[28:29]
.LBB6_2699:                             ;   in Loop: Header=BB6_2609 Depth=4
	s_or_b64 exec, exec, s[38:39]
                                        ; implicit-def: $vgpr31
.LBB6_2700:                             ;   in Loop: Header=BB6_2609 Depth=4
	s_andn2_saveexec_b64 s[28:29], s[36:37]
; %bb.2701:                             ;   in Loop: Header=BB6_2609 Depth=4
	v_or_b32_e32 v37, 0x7e, v31
; %bb.2702:                             ;   in Loop: Header=BB6_2609 Depth=4
	s_or_b64 exec, exec, s[28:29]
                                        ; implicit-def: $vgpr0
.LBB6_2703:                             ;   in Loop: Header=BB6_2609 Depth=4
	s_andn2_saveexec_b64 s[28:29], s[34:35]
; %bb.2704:                             ;   in Loop: Header=BB6_2609 Depth=4
	v_or_b32_sdwa v37, v0, s81 dst_sel:DWORD dst_unused:UNUSED_PAD src0_sel:BYTE_3 src1_sel:DWORD
; %bb.2705:                             ;   in Loop: Header=BB6_2609 Depth=4
	s_or_b64 exec, exec, s[28:29]
	v_and_b32_e32 v0, 0xff, v29
	v_cmp_ne_u16_e32 vcc, 0, v0
	v_mov_b32_e32 v1, 0
	v_mov_b32_e32 v2, 0
	s_and_saveexec_b64 s[28:29], vcc
	s_cbranch_execz .LBB6_2711
; %bb.2706:                             ;   in Loop: Header=BB6_2609 Depth=4
	v_cmp_ne_u16_e32 vcc, s80, v0
	v_bfrev_b32_e32 v2, 1
	s_and_saveexec_b64 s[34:35], vcc
	s_cbranch_execz .LBB6_2710
; %bb.2707:                             ;   in Loop: Header=BB6_2609 Depth=4
	v_and_b32_e32 v20, 0x7f, v29
	v_cmp_ne_u32_e32 vcc, s81, v20
	v_mov_b32_e32 v2, 0x7f800001
	s_and_saveexec_b64 s[36:37], vcc
	s_cbranch_execz .LBB6_2709
; %bb.2708:                             ;   in Loop: Header=BB6_2609 Depth=4
	v_and_b32_e32 v2, 7, v0
	v_lshrrev_b32_e32 v34, 3, v20
	v_cmp_gt_u32_e32 vcc, 8, v20
	v_ffbh_u32_e32 v20, v2
	v_min_u32_e32 v20, 32, v20
	v_subrev_u32_e32 v31, 28, v20
	v_lshlrev_b64 v[31:32], v31, v[0:1]
	v_sub_u32_e32 v0, 29, v20
	v_and_b32_e32 v20, 7, v31
	v_cndmask_b32_e32 v0, v34, v0, vcc
	v_cndmask_b32_e32 v2, v2, v20, vcc
	v_lshlrev_b32_e32 v20, 24, v29
	v_bfrev_b32_e32 v29, 60
	v_lshlrev_b32_e32 v2, 20, v2
	v_and_b32_e32 v20, 0x80000000, v20
	v_lshl_add_u32 v0, v0, 23, v29
	v_or3_b32 v2, v20, v0, v2
.LBB6_2709:                             ;   in Loop: Header=BB6_2609 Depth=4
	s_or_b64 exec, exec, s[36:37]
.LBB6_2710:                             ;   in Loop: Header=BB6_2609 Depth=4
	s_or_b64 exec, exec, s[34:35]
.LBB6_2711:                             ;   in Loop: Header=BB6_2609 Depth=4
	s_or_b64 exec, exec, s[28:29]
	v_and_b32_e32 v0, 0xff, v28
	v_cmp_ne_u16_e32 vcc, 0, v0
	s_and_saveexec_b64 s[28:29], vcc
	s_cbranch_execz .LBB6_2717
; %bb.2712:                             ;   in Loop: Header=BB6_2609 Depth=4
	v_cmp_ne_u16_e32 vcc, s80, v0
	v_bfrev_b32_e32 v1, 1
	s_and_saveexec_b64 s[34:35], vcc
	s_cbranch_execz .LBB6_2716
; %bb.2713:                             ;   in Loop: Header=BB6_2609 Depth=4
	v_and_b32_e32 v20, 0x7f, v28
	v_cmp_ne_u32_e32 vcc, s81, v20
	v_mov_b32_e32 v1, 0x7f800001
	s_and_saveexec_b64 s[36:37], vcc
	s_cbranch_execz .LBB6_2715
; %bb.2714:                             ;   in Loop: Header=BB6_2609 Depth=4
	v_and_b32_e32 v29, 7, v0
	v_ffbh_u32_e32 v1, v29
	v_lshrrev_b32_e32 v31, 3, v20
	v_cmp_gt_u32_e32 vcc, 8, v20
	v_min_u32_e32 v20, 32, v1
	v_subrev_u32_e32 v1, 28, v20
	v_lshlrev_b64 v[0:1], v1, v[0:1]
	v_sub_u32_e32 v1, 29, v20
	v_and_b32_e32 v0, 7, v0
	v_cndmask_b32_e32 v1, v31, v1, vcc
	v_cndmask_b32_e32 v0, v29, v0, vcc
	v_lshlrev_b32_e32 v20, 24, v28
	v_bfrev_b32_e32 v28, 60
	v_lshlrev_b32_e32 v0, 20, v0
	v_and_b32_e32 v20, 0x80000000, v20
	v_lshl_add_u32 v1, v1, 23, v28
	v_or3_b32 v1, v20, v1, v0
.LBB6_2715:                             ;   in Loop: Header=BB6_2609 Depth=4
	s_or_b64 exec, exec, s[36:37]
.LBB6_2716:                             ;   in Loop: Header=BB6_2609 Depth=4
	s_or_b64 exec, exec, s[34:35]
.LBB6_2717:                             ;   in Loop: Header=BB6_2609 Depth=4
	s_or_b64 exec, exec, s[28:29]
	v_mul_f32_e32 v0, v2, v1
	v_and_b32_e32 v20, 0x7f800000, v0
	v_cmp_ne_u64_e32 vcc, s[62:63], v[20:21]
                                        ; implicit-def: $vgpr38
	s_and_saveexec_b64 s[28:29], vcc
	s_xor_b64 s[34:35], exec, s[28:29]
	s_cbranch_execz .LBB6_2735
; %bb.2718:                             ;   in Loop: Header=BB6_2609 Depth=4
	v_and_b32_e32 v20, 0x7fffffff, v0
	v_cmp_gt_u64_e32 vcc, s[78:79], v[20:21]
	v_and_b32_sdwa v28, v0, s80 dst_sel:DWORD dst_unused:UNUSED_PAD src0_sel:BYTE_3 src1_sel:DWORD
                                        ; implicit-def: $vgpr38
	s_and_saveexec_b64 s[28:29], vcc
	s_xor_b64 s[36:37], exec, s[28:29]
	s_cbranch_execz .LBB6_2732
; %bb.2719:                             ;   in Loop: Header=BB6_2609 Depth=4
	v_cmp_ne_u32_e32 vcc, 0, v0
	v_mov_b32_e32 v38, 0
	s_and_saveexec_b64 s[38:39], vcc
	s_cbranch_execz .LBB6_2731
; %bb.2720:                             ;   in Loop: Header=BB6_2609 Depth=4
	v_bfe_u32 v29, v0, 23, 8
	v_and_b32_e32 v1, 0x7fffff, v0
	v_cmp_gt_u32_e64 s[28:29], s47, v29
	v_sub_u32_e32 v0, 0x79, v29
	v_cmp_eq_u32_e32 vcc, 0, v29
	v_cndmask_b32_e64 v0, 0, v0, s[28:29]
	v_mov_b32_e32 v20, 0x78
	v_cndmask_b32_e32 v31, v0, v20, vcc
	v_or_b32_e32 v2, 0x800000, v1
	v_add_u32_e32 v0, 20, v31
	v_cndmask_b32_e32 v20, v2, v1, vcc
	v_lshlrev_b64 v[0:1], v0, -1
	v_add_u32_e32 v2, 19, v31
	v_lshlrev_b64 v[34:35], v2, 1
	v_bfi_b32 v1, v1, 0, 0
	v_bfi_b32 v0, v0, 0, v20
	v_cmp_eq_u64_e64 s[28:29], v[0:1], v[34:35]
	v_lshrrev_b64 v[0:1], v31, v[20:21]
	v_mov_b32_e32 v2, v1
	v_mov_b32_e32 v1, v0
	s_and_saveexec_b64 s[48:49], s[28:29]
; %bb.2721:                             ;   in Loop: Header=BB6_2609 Depth=4
	v_bfe_u32 v1, v0, 20, 1
	v_add_co_u32_e64 v1, s[28:29], v0, v1
	v_add_co_u32_e64 v1, s[28:29], -1, v1
; %bb.2722:                             ;   in Loop: Header=BB6_2609 Depth=4
	s_or_b64 exec, exec, s[48:49]
	v_add_u32_e32 v2, 0xffffff81, v29
	v_mov_b32_e32 v20, 0xffffff82
	v_cndmask_b32_e32 v2, v2, v20, vcc
	v_lshrrev_b32_e32 v20, 23, v0
	v_add3_u32 v31, v31, v2, v20
	v_add_u32_e32 v29, 6, v31
	v_and_b32_e32 v1, 0xfffff, v1
	v_add_u32_e32 v20, v1, v0
	v_cmp_ne_u32_e32 vcc, 0, v29
                                        ; implicit-def: $vgpr0_vgpr1
                                        ; implicit-def: $vgpr2
	s_and_saveexec_b64 s[28:29], vcc
	s_xor_b64 s[28:29], exec, s[28:29]
; %bb.2723:                             ;   in Loop: Header=BB6_2609 Depth=4
	v_cmp_lt_u64_e32 vcc, s[88:89], v[20:21]
	v_add_u32_e32 v0, 7, v31
	v_cndmask_b32_e32 v2, v29, v0, vcc
	v_cndmask_b32_e64 v0, 0, 1, vcc
	v_lshrrev_b64 v[0:1], v0, v[20:21]
; %bb.2724:                             ;   in Loop: Header=BB6_2609 Depth=4
	s_andn2_saveexec_b64 s[28:29], s[28:29]
; %bb.2725:                             ;   in Loop: Header=BB6_2609 Depth=4
	v_mov_b32_e32 v0, v20
	v_bfe_u32 v2, v20, 23, 1
	v_mov_b32_e32 v1, v21
; %bb.2726:                             ;   in Loop: Header=BB6_2609 Depth=4
	s_or_b64 exec, exec, s[28:29]
	v_lshrrev_b64 v[0:1], 20, v[0:1]
	v_cmp_gt_i32_e32 vcc, 16, v2
	v_cndmask_b32_e32 v1, 0, v1, vcc
	v_cndmask_b32_e32 v0, 7, v0, vcc
	v_cmp_ne_u64_e32 vcc, 0, v[0:1]
	v_cmp_ne_u32_e64 s[28:29], 0, v2
	s_or_b64 s[28:29], s[28:29], vcc
                                        ; implicit-def: $vgpr38
	s_and_saveexec_b64 vcc, s[28:29]
	s_xor_b64 s[28:29], exec, vcc
; %bb.2727:                             ;   in Loop: Header=BB6_2609 Depth=4
	v_min_i32_e32 v1, 15, v2
	v_lshl_or_b32 v1, v1, 3, v28
	v_and_or_b32 v38, v0, 7, v1
                                        ; implicit-def: $vgpr28
; %bb.2728:                             ;   in Loop: Header=BB6_2609 Depth=4
	s_andn2_saveexec_b64 s[28:29], s[28:29]
; %bb.2729:                             ;   in Loop: Header=BB6_2609 Depth=4
	v_mov_b32_e32 v38, v28
; %bb.2730:                             ;   in Loop: Header=BB6_2609 Depth=4
	s_or_b64 exec, exec, s[28:29]
.LBB6_2731:                             ;   in Loop: Header=BB6_2609 Depth=4
	s_or_b64 exec, exec, s[38:39]
                                        ; implicit-def: $vgpr28
.LBB6_2732:                             ;   in Loop: Header=BB6_2609 Depth=4
	s_andn2_saveexec_b64 s[28:29], s[36:37]
; %bb.2733:                             ;   in Loop: Header=BB6_2609 Depth=4
	v_or_b32_e32 v38, 0x7e, v28
; %bb.2734:                             ;   in Loop: Header=BB6_2609 Depth=4
	s_or_b64 exec, exec, s[28:29]
                                        ; implicit-def: $vgpr0
.LBB6_2735:                             ;   in Loop: Header=BB6_2609 Depth=4
	s_andn2_saveexec_b64 s[28:29], s[34:35]
; %bb.2736:                             ;   in Loop: Header=BB6_2609 Depth=4
	v_or_b32_sdwa v38, v0, s81 dst_sel:DWORD dst_unused:UNUSED_PAD src0_sel:BYTE_3 src1_sel:DWORD
; %bb.2737:                             ;   in Loop: Header=BB6_2609 Depth=4
	s_or_b64 exec, exec, s[28:29]
	v_and_b32_e32 v0, 0xff, v26
	v_cmp_ne_u16_e32 vcc, 0, v0
	v_mov_b32_e32 v1, 0
	v_mov_b32_e32 v2, 0
	s_and_saveexec_b64 s[28:29], vcc
	s_cbranch_execz .LBB6_2743
; %bb.2738:                             ;   in Loop: Header=BB6_2609 Depth=4
	v_cmp_ne_u16_e32 vcc, s80, v0
	v_bfrev_b32_e32 v2, 1
	s_and_saveexec_b64 s[34:35], vcc
	s_cbranch_execz .LBB6_2742
; %bb.2739:                             ;   in Loop: Header=BB6_2609 Depth=4
	v_and_b32_e32 v20, 0x7f, v26
	v_cmp_ne_u32_e32 vcc, s81, v20
	v_mov_b32_e32 v2, 0x7f800001
	s_and_saveexec_b64 s[36:37], vcc
	s_cbranch_execz .LBB6_2741
; %bb.2740:                             ;   in Loop: Header=BB6_2609 Depth=4
	v_and_b32_e32 v2, 7, v0
	v_lshrrev_b32_e32 v31, 3, v20
	v_cmp_gt_u32_e32 vcc, 8, v20
	v_ffbh_u32_e32 v20, v2
	v_min_u32_e32 v20, 32, v20
	v_subrev_u32_e32 v28, 28, v20
	v_lshlrev_b64 v[28:29], v28, v[0:1]
	v_sub_u32_e32 v0, 29, v20
	v_and_b32_e32 v20, 7, v28
	v_cndmask_b32_e32 v0, v31, v0, vcc
	v_cndmask_b32_e32 v2, v2, v20, vcc
	v_lshlrev_b32_e32 v20, 24, v26
	v_bfrev_b32_e32 v26, 60
	v_lshlrev_b32_e32 v2, 20, v2
	v_and_b32_e32 v20, 0x80000000, v20
	v_lshl_add_u32 v0, v0, 23, v26
	v_or3_b32 v2, v20, v0, v2
.LBB6_2741:                             ;   in Loop: Header=BB6_2609 Depth=4
	s_or_b64 exec, exec, s[36:37]
.LBB6_2742:                             ;   in Loop: Header=BB6_2609 Depth=4
	s_or_b64 exec, exec, s[34:35]
.LBB6_2743:                             ;   in Loop: Header=BB6_2609 Depth=4
	s_or_b64 exec, exec, s[28:29]
	v_and_b32_e32 v0, 0xff, v25
	v_cmp_ne_u16_e32 vcc, 0, v0
	s_and_saveexec_b64 s[28:29], vcc
	s_cbranch_execz .LBB6_2749
; %bb.2744:                             ;   in Loop: Header=BB6_2609 Depth=4
	v_cmp_ne_u16_e32 vcc, s80, v0
	v_bfrev_b32_e32 v1, 1
	s_and_saveexec_b64 s[34:35], vcc
	s_cbranch_execz .LBB6_2748
; %bb.2745:                             ;   in Loop: Header=BB6_2609 Depth=4
	v_and_b32_e32 v20, 0x7f, v25
	v_cmp_ne_u32_e32 vcc, s81, v20
	v_mov_b32_e32 v1, 0x7f800001
	s_and_saveexec_b64 s[36:37], vcc
	s_cbranch_execz .LBB6_2747
; %bb.2746:                             ;   in Loop: Header=BB6_2609 Depth=4
	v_and_b32_e32 v26, 7, v0
	v_ffbh_u32_e32 v1, v26
	v_lshrrev_b32_e32 v28, 3, v20
	v_cmp_gt_u32_e32 vcc, 8, v20
	v_min_u32_e32 v20, 32, v1
	v_subrev_u32_e32 v1, 28, v20
	v_lshlrev_b64 v[0:1], v1, v[0:1]
	v_sub_u32_e32 v1, 29, v20
	v_and_b32_e32 v0, 7, v0
	v_cndmask_b32_e32 v1, v28, v1, vcc
	v_cndmask_b32_e32 v0, v26, v0, vcc
	v_lshlrev_b32_e32 v20, 24, v25
	v_bfrev_b32_e32 v25, 60
	v_lshlrev_b32_e32 v0, 20, v0
	v_and_b32_e32 v20, 0x80000000, v20
	v_lshl_add_u32 v1, v1, 23, v25
	v_or3_b32 v1, v20, v1, v0
.LBB6_2747:                             ;   in Loop: Header=BB6_2609 Depth=4
	s_or_b64 exec, exec, s[36:37]
.LBB6_2748:                             ;   in Loop: Header=BB6_2609 Depth=4
	s_or_b64 exec, exec, s[34:35]
.LBB6_2749:                             ;   in Loop: Header=BB6_2609 Depth=4
	s_or_b64 exec, exec, s[28:29]
	v_mul_f32_e32 v0, v2, v1
	v_and_b32_e32 v20, 0x7f800000, v0
	v_cmp_ne_u64_e32 vcc, s[62:63], v[20:21]
                                        ; implicit-def: $vgpr55
	s_and_saveexec_b64 s[28:29], vcc
	s_xor_b64 s[34:35], exec, s[28:29]
	s_cbranch_execz .LBB6_2767
; %bb.2750:                             ;   in Loop: Header=BB6_2609 Depth=4
	v_and_b32_e32 v20, 0x7fffffff, v0
	v_cmp_gt_u64_e32 vcc, s[78:79], v[20:21]
	v_and_b32_sdwa v25, v0, s80 dst_sel:DWORD dst_unused:UNUSED_PAD src0_sel:BYTE_3 src1_sel:DWORD
                                        ; implicit-def: $vgpr55
	s_and_saveexec_b64 s[28:29], vcc
	s_xor_b64 s[36:37], exec, s[28:29]
	s_cbranch_execz .LBB6_2764
; %bb.2751:                             ;   in Loop: Header=BB6_2609 Depth=4
	v_cmp_ne_u32_e32 vcc, 0, v0
	v_mov_b32_e32 v55, 0
	s_and_saveexec_b64 s[38:39], vcc
	s_cbranch_execz .LBB6_2763
; %bb.2752:                             ;   in Loop: Header=BB6_2609 Depth=4
	v_bfe_u32 v26, v0, 23, 8
	v_and_b32_e32 v1, 0x7fffff, v0
	v_cmp_gt_u32_e64 s[28:29], s47, v26
	v_sub_u32_e32 v0, 0x79, v26
	v_cmp_eq_u32_e32 vcc, 0, v26
	v_cndmask_b32_e64 v0, 0, v0, s[28:29]
	v_mov_b32_e32 v20, 0x78
	v_cndmask_b32_e32 v28, v0, v20, vcc
	v_or_b32_e32 v2, 0x800000, v1
	v_add_u32_e32 v0, 20, v28
	v_cndmask_b32_e32 v20, v2, v1, vcc
	v_lshlrev_b64 v[0:1], v0, -1
	v_add_u32_e32 v2, 19, v28
	v_lshlrev_b64 v[31:32], v2, 1
	v_bfi_b32 v1, v1, 0, 0
	v_bfi_b32 v0, v0, 0, v20
	v_cmp_eq_u64_e64 s[28:29], v[0:1], v[31:32]
	v_lshrrev_b64 v[0:1], v28, v[20:21]
	v_mov_b32_e32 v2, v1
	v_mov_b32_e32 v1, v0
	s_and_saveexec_b64 s[48:49], s[28:29]
; %bb.2753:                             ;   in Loop: Header=BB6_2609 Depth=4
	v_bfe_u32 v1, v0, 20, 1
	v_add_co_u32_e64 v1, s[28:29], v0, v1
	v_add_co_u32_e64 v1, s[28:29], -1, v1
; %bb.2754:                             ;   in Loop: Header=BB6_2609 Depth=4
	s_or_b64 exec, exec, s[48:49]
	v_add_u32_e32 v2, 0xffffff81, v26
	v_mov_b32_e32 v20, 0xffffff82
	v_cndmask_b32_e32 v2, v2, v20, vcc
	v_lshrrev_b32_e32 v20, 23, v0
	v_add3_u32 v28, v28, v2, v20
	v_add_u32_e32 v26, 6, v28
	v_and_b32_e32 v1, 0xfffff, v1
	v_add_u32_e32 v20, v1, v0
	v_cmp_ne_u32_e32 vcc, 0, v26
                                        ; implicit-def: $vgpr0_vgpr1
                                        ; implicit-def: $vgpr2
	s_and_saveexec_b64 s[28:29], vcc
	s_xor_b64 s[28:29], exec, s[28:29]
; %bb.2755:                             ;   in Loop: Header=BB6_2609 Depth=4
	v_cmp_lt_u64_e32 vcc, s[88:89], v[20:21]
	v_add_u32_e32 v0, 7, v28
	v_cndmask_b32_e32 v2, v26, v0, vcc
	v_cndmask_b32_e64 v0, 0, 1, vcc
	v_lshrrev_b64 v[0:1], v0, v[20:21]
; %bb.2756:                             ;   in Loop: Header=BB6_2609 Depth=4
	s_andn2_saveexec_b64 s[28:29], s[28:29]
; %bb.2757:                             ;   in Loop: Header=BB6_2609 Depth=4
	v_mov_b32_e32 v0, v20
	v_bfe_u32 v2, v20, 23, 1
	v_mov_b32_e32 v1, v21
; %bb.2758:                             ;   in Loop: Header=BB6_2609 Depth=4
	s_or_b64 exec, exec, s[28:29]
	v_lshrrev_b64 v[0:1], 20, v[0:1]
	v_cmp_gt_i32_e32 vcc, 16, v2
	v_cndmask_b32_e32 v1, 0, v1, vcc
	v_cndmask_b32_e32 v0, 7, v0, vcc
	v_cmp_ne_u64_e32 vcc, 0, v[0:1]
	v_cmp_ne_u32_e64 s[28:29], 0, v2
	s_or_b64 s[28:29], s[28:29], vcc
                                        ; implicit-def: $vgpr55
	s_and_saveexec_b64 vcc, s[28:29]
	s_xor_b64 s[28:29], exec, vcc
; %bb.2759:                             ;   in Loop: Header=BB6_2609 Depth=4
	v_min_i32_e32 v1, 15, v2
	v_lshl_or_b32 v1, v1, 3, v25
	v_and_or_b32 v55, v0, 7, v1
                                        ; implicit-def: $vgpr25
; %bb.2760:                             ;   in Loop: Header=BB6_2609 Depth=4
	s_andn2_saveexec_b64 s[28:29], s[28:29]
; %bb.2761:                             ;   in Loop: Header=BB6_2609 Depth=4
	v_mov_b32_e32 v55, v25
; %bb.2762:                             ;   in Loop: Header=BB6_2609 Depth=4
	s_or_b64 exec, exec, s[28:29]
.LBB6_2763:                             ;   in Loop: Header=BB6_2609 Depth=4
	s_or_b64 exec, exec, s[38:39]
                                        ; implicit-def: $vgpr25
.LBB6_2764:                             ;   in Loop: Header=BB6_2609 Depth=4
	s_andn2_saveexec_b64 s[28:29], s[36:37]
; %bb.2765:                             ;   in Loop: Header=BB6_2609 Depth=4
	v_or_b32_e32 v55, 0x7e, v25
; %bb.2766:                             ;   in Loop: Header=BB6_2609 Depth=4
	s_or_b64 exec, exec, s[28:29]
                                        ; implicit-def: $vgpr0
.LBB6_2767:                             ;   in Loop: Header=BB6_2609 Depth=4
	s_andn2_saveexec_b64 s[28:29], s[34:35]
; %bb.2768:                             ;   in Loop: Header=BB6_2609 Depth=4
	v_or_b32_sdwa v55, v0, s81 dst_sel:DWORD dst_unused:UNUSED_PAD src0_sel:BYTE_3 src1_sel:DWORD
; %bb.2769:                             ;   in Loop: Header=BB6_2609 Depth=4
	s_or_b64 exec, exec, s[28:29]
	v_and_b32_e32 v0, 0xff, v30
	v_cmp_ne_u16_e32 vcc, 0, v0
	v_mov_b32_e32 v1, 0
	v_mov_b32_e32 v2, 0
	s_and_saveexec_b64 s[28:29], vcc
	s_cbranch_execz .LBB6_2775
; %bb.2770:                             ;   in Loop: Header=BB6_2609 Depth=4
	v_cmp_ne_u16_e32 vcc, s80, v0
	v_bfrev_b32_e32 v2, 1
	s_and_saveexec_b64 s[34:35], vcc
	s_cbranch_execz .LBB6_2774
; %bb.2771:                             ;   in Loop: Header=BB6_2609 Depth=4
	v_and_b32_e32 v20, 0x7f, v30
	v_cmp_ne_u32_e32 vcc, s81, v20
	v_mov_b32_e32 v2, 0x7f800001
	s_and_saveexec_b64 s[36:37], vcc
	s_cbranch_execz .LBB6_2773
; %bb.2772:                             ;   in Loop: Header=BB6_2609 Depth=4
	v_and_b32_e32 v2, 7, v0
	v_lshrrev_b32_e32 v28, 3, v20
	v_cmp_gt_u32_e32 vcc, 8, v20
	v_ffbh_u32_e32 v20, v2
	v_min_u32_e32 v20, 32, v20
	v_subrev_u32_e32 v25, 28, v20
	v_lshlrev_b64 v[25:26], v25, v[0:1]
	v_sub_u32_e32 v0, 29, v20
	v_and_b32_e32 v20, 7, v25
	v_cndmask_b32_e32 v0, v28, v0, vcc
	v_cndmask_b32_e32 v2, v2, v20, vcc
	v_lshlrev_b32_e32 v20, 24, v30
	v_bfrev_b32_e32 v25, 60
	v_lshlrev_b32_e32 v2, 20, v2
	v_and_b32_e32 v20, 0x80000000, v20
	v_lshl_add_u32 v0, v0, 23, v25
	v_or3_b32 v2, v20, v0, v2
.LBB6_2773:                             ;   in Loop: Header=BB6_2609 Depth=4
	s_or_b64 exec, exec, s[36:37]
.LBB6_2774:                             ;   in Loop: Header=BB6_2609 Depth=4
	s_or_b64 exec, exec, s[34:35]
.LBB6_2775:                             ;   in Loop: Header=BB6_2609 Depth=4
	s_or_b64 exec, exec, s[28:29]
	v_and_b32_e32 v0, 0xff, v33
	v_cmp_ne_u16_e32 vcc, 0, v0
	s_and_saveexec_b64 s[28:29], vcc
	s_cbranch_execz .LBB6_2781
; %bb.2776:                             ;   in Loop: Header=BB6_2609 Depth=4
	v_cmp_ne_u16_e32 vcc, s80, v0
	v_bfrev_b32_e32 v1, 1
	s_and_saveexec_b64 s[34:35], vcc
	s_cbranch_execz .LBB6_2780
; %bb.2777:                             ;   in Loop: Header=BB6_2609 Depth=4
	v_and_b32_e32 v20, 0x7f, v33
	v_cmp_ne_u32_e32 vcc, s81, v20
	v_mov_b32_e32 v1, 0x7f800001
	s_and_saveexec_b64 s[36:37], vcc
	s_cbranch_execz .LBB6_2779
; %bb.2778:                             ;   in Loop: Header=BB6_2609 Depth=4
	v_and_b32_e32 v25, 7, v0
	v_ffbh_u32_e32 v1, v25
	v_lshrrev_b32_e32 v26, 3, v20
	v_cmp_gt_u32_e32 vcc, 8, v20
	v_min_u32_e32 v20, 32, v1
	v_subrev_u32_e32 v1, 28, v20
	v_lshlrev_b64 v[0:1], v1, v[0:1]
	v_sub_u32_e32 v1, 29, v20
	v_and_b32_e32 v0, 7, v0
	v_cndmask_b32_e32 v1, v26, v1, vcc
	v_cndmask_b32_e32 v0, v25, v0, vcc
	v_lshlrev_b32_e32 v20, 24, v33
	v_bfrev_b32_e32 v25, 60
	v_lshlrev_b32_e32 v0, 20, v0
	v_and_b32_e32 v20, 0x80000000, v20
	v_lshl_add_u32 v1, v1, 23, v25
	v_or3_b32 v1, v20, v1, v0
.LBB6_2779:                             ;   in Loop: Header=BB6_2609 Depth=4
	s_or_b64 exec, exec, s[36:37]
.LBB6_2780:                             ;   in Loop: Header=BB6_2609 Depth=4
	s_or_b64 exec, exec, s[34:35]
.LBB6_2781:                             ;   in Loop: Header=BB6_2609 Depth=4
	s_or_b64 exec, exec, s[28:29]
	v_mul_f32_e32 v0, v2, v1
	v_and_b32_e32 v20, 0x7f800000, v0
	v_cmp_ne_u64_e32 vcc, s[62:63], v[20:21]
                                        ; implicit-def: $vgpr33
	s_and_saveexec_b64 s[28:29], vcc
	s_xor_b64 s[34:35], exec, s[28:29]
	s_cbranch_execz .LBB6_2799
; %bb.2782:                             ;   in Loop: Header=BB6_2609 Depth=4
	v_and_b32_e32 v20, 0x7fffffff, v0
	v_cmp_gt_u64_e32 vcc, s[78:79], v[20:21]
	v_and_b32_sdwa v25, v0, s80 dst_sel:DWORD dst_unused:UNUSED_PAD src0_sel:BYTE_3 src1_sel:DWORD
                                        ; implicit-def: $vgpr33
	s_and_saveexec_b64 s[28:29], vcc
	s_xor_b64 s[36:37], exec, s[28:29]
	s_cbranch_execz .LBB6_2796
; %bb.2783:                             ;   in Loop: Header=BB6_2609 Depth=4
	v_cmp_ne_u32_e32 vcc, 0, v0
	v_mov_b32_e32 v33, 0
	s_and_saveexec_b64 s[38:39], vcc
	s_cbranch_execz .LBB6_2795
; %bb.2784:                             ;   in Loop: Header=BB6_2609 Depth=4
	v_bfe_u32 v26, v0, 23, 8
	v_and_b32_e32 v1, 0x7fffff, v0
	v_cmp_gt_u32_e64 s[28:29], s47, v26
	v_sub_u32_e32 v0, 0x79, v26
	v_cmp_eq_u32_e32 vcc, 0, v26
	v_cndmask_b32_e64 v0, 0, v0, s[28:29]
	v_mov_b32_e32 v20, 0x78
	v_cndmask_b32_e32 v28, v0, v20, vcc
	v_or_b32_e32 v2, 0x800000, v1
	v_add_u32_e32 v0, 20, v28
	v_cndmask_b32_e32 v20, v2, v1, vcc
	v_lshlrev_b64 v[0:1], v0, -1
	v_add_u32_e32 v2, 19, v28
	v_lshlrev_b64 v[29:30], v2, 1
	v_bfi_b32 v1, v1, 0, 0
	v_bfi_b32 v0, v0, 0, v20
	v_cmp_eq_u64_e64 s[28:29], v[0:1], v[29:30]
	v_lshrrev_b64 v[0:1], v28, v[20:21]
	v_mov_b32_e32 v2, v1
	v_mov_b32_e32 v1, v0
	s_and_saveexec_b64 s[48:49], s[28:29]
; %bb.2785:                             ;   in Loop: Header=BB6_2609 Depth=4
	v_bfe_u32 v1, v0, 20, 1
	v_add_co_u32_e64 v1, s[28:29], v0, v1
	v_add_co_u32_e64 v1, s[28:29], -1, v1
; %bb.2786:                             ;   in Loop: Header=BB6_2609 Depth=4
	s_or_b64 exec, exec, s[48:49]
	v_add_u32_e32 v2, 0xffffff81, v26
	v_mov_b32_e32 v20, 0xffffff82
	v_cndmask_b32_e32 v2, v2, v20, vcc
	v_lshrrev_b32_e32 v20, 23, v0
	v_add3_u32 v28, v28, v2, v20
	v_add_u32_e32 v26, 6, v28
	v_and_b32_e32 v1, 0xfffff, v1
	v_add_u32_e32 v20, v1, v0
	v_cmp_ne_u32_e32 vcc, 0, v26
                                        ; implicit-def: $vgpr0_vgpr1
                                        ; implicit-def: $vgpr2
	s_and_saveexec_b64 s[28:29], vcc
	s_xor_b64 s[28:29], exec, s[28:29]
; %bb.2787:                             ;   in Loop: Header=BB6_2609 Depth=4
	v_cmp_lt_u64_e32 vcc, s[88:89], v[20:21]
	v_add_u32_e32 v0, 7, v28
	v_cndmask_b32_e32 v2, v26, v0, vcc
	v_cndmask_b32_e64 v0, 0, 1, vcc
	v_lshrrev_b64 v[0:1], v0, v[20:21]
; %bb.2788:                             ;   in Loop: Header=BB6_2609 Depth=4
	s_andn2_saveexec_b64 s[28:29], s[28:29]
; %bb.2789:                             ;   in Loop: Header=BB6_2609 Depth=4
	v_mov_b32_e32 v0, v20
	v_bfe_u32 v2, v20, 23, 1
	v_mov_b32_e32 v1, v21
; %bb.2790:                             ;   in Loop: Header=BB6_2609 Depth=4
	s_or_b64 exec, exec, s[28:29]
	v_lshrrev_b64 v[0:1], 20, v[0:1]
	v_cmp_gt_i32_e32 vcc, 16, v2
	v_cndmask_b32_e32 v1, 0, v1, vcc
	v_cndmask_b32_e32 v0, 7, v0, vcc
	v_cmp_ne_u64_e32 vcc, 0, v[0:1]
	v_cmp_ne_u32_e64 s[28:29], 0, v2
	s_or_b64 s[28:29], s[28:29], vcc
                                        ; implicit-def: $vgpr33
	s_and_saveexec_b64 vcc, s[28:29]
	s_xor_b64 s[28:29], exec, vcc
; %bb.2791:                             ;   in Loop: Header=BB6_2609 Depth=4
	v_min_i32_e32 v1, 15, v2
	v_lshl_or_b32 v1, v1, 3, v25
	v_and_or_b32 v33, v0, 7, v1
                                        ; implicit-def: $vgpr25
; %bb.2792:                             ;   in Loop: Header=BB6_2609 Depth=4
	s_andn2_saveexec_b64 s[28:29], s[28:29]
; %bb.2793:                             ;   in Loop: Header=BB6_2609 Depth=4
	v_mov_b32_e32 v33, v25
; %bb.2794:                             ;   in Loop: Header=BB6_2609 Depth=4
	s_or_b64 exec, exec, s[28:29]
.LBB6_2795:                             ;   in Loop: Header=BB6_2609 Depth=4
	s_or_b64 exec, exec, s[38:39]
                                        ; implicit-def: $vgpr25
.LBB6_2796:                             ;   in Loop: Header=BB6_2609 Depth=4
	s_andn2_saveexec_b64 s[28:29], s[36:37]
; %bb.2797:                             ;   in Loop: Header=BB6_2609 Depth=4
	v_or_b32_e32 v33, 0x7e, v25
; %bb.2798:                             ;   in Loop: Header=BB6_2609 Depth=4
	s_or_b64 exec, exec, s[28:29]
                                        ; implicit-def: $vgpr0
.LBB6_2799:                             ;   in Loop: Header=BB6_2609 Depth=4
	s_andn2_saveexec_b64 s[28:29], s[34:35]
; %bb.2800:                             ;   in Loop: Header=BB6_2609 Depth=4
	v_or_b32_sdwa v33, v0, s81 dst_sel:DWORD dst_unused:UNUSED_PAD src0_sel:BYTE_3 src1_sel:DWORD
; %bb.2801:                             ;   in Loop: Header=BB6_2609 Depth=4
	s_or_b64 exec, exec, s[28:29]
	v_and_b32_e32 v0, 0xff, v22
	v_cmp_ne_u16_e32 vcc, 0, v0
	v_mov_b32_e32 v1, 0
	v_mov_b32_e32 v2, 0
	s_and_saveexec_b64 s[28:29], vcc
	s_cbranch_execz .LBB6_2807
; %bb.2802:                             ;   in Loop: Header=BB6_2609 Depth=4
	v_cmp_ne_u16_e32 vcc, s80, v0
	v_bfrev_b32_e32 v2, 1
	s_and_saveexec_b64 s[34:35], vcc
	s_cbranch_execz .LBB6_2806
; %bb.2803:                             ;   in Loop: Header=BB6_2609 Depth=4
	v_and_b32_e32 v20, 0x7f, v22
	v_cmp_ne_u32_e32 vcc, s81, v20
	v_mov_b32_e32 v2, 0x7f800001
	s_and_saveexec_b64 s[36:37], vcc
	s_cbranch_execz .LBB6_2805
; %bb.2804:                             ;   in Loop: Header=BB6_2609 Depth=4
	v_and_b32_e32 v2, 7, v0
	v_lshrrev_b32_e32 v28, 3, v20
	v_cmp_gt_u32_e32 vcc, 8, v20
	v_ffbh_u32_e32 v20, v2
	v_min_u32_e32 v20, 32, v20
	v_subrev_u32_e32 v25, 28, v20
	v_lshlrev_b64 v[25:26], v25, v[0:1]
	v_sub_u32_e32 v0, 29, v20
	v_and_b32_e32 v20, 7, v25
	v_cndmask_b32_e32 v0, v28, v0, vcc
	v_cndmask_b32_e32 v2, v2, v20, vcc
	v_lshlrev_b32_e32 v20, 24, v22
	v_bfrev_b32_e32 v22, 60
	v_lshlrev_b32_e32 v2, 20, v2
	v_and_b32_e32 v20, 0x80000000, v20
	v_lshl_add_u32 v0, v0, 23, v22
	v_or3_b32 v2, v20, v0, v2
.LBB6_2805:                             ;   in Loop: Header=BB6_2609 Depth=4
	s_or_b64 exec, exec, s[36:37]
.LBB6_2806:                             ;   in Loop: Header=BB6_2609 Depth=4
	s_or_b64 exec, exec, s[34:35]
.LBB6_2807:                             ;   in Loop: Header=BB6_2609 Depth=4
	s_or_b64 exec, exec, s[28:29]
	v_and_b32_e32 v0, 0xff, v36
	v_cmp_ne_u16_e32 vcc, 0, v0
	s_and_saveexec_b64 s[28:29], vcc
	s_cbranch_execz .LBB6_2813
; %bb.2808:                             ;   in Loop: Header=BB6_2609 Depth=4
	v_cmp_ne_u16_e32 vcc, s80, v0
	v_bfrev_b32_e32 v1, 1
	s_and_saveexec_b64 s[34:35], vcc
	s_cbranch_execz .LBB6_2812
; %bb.2809:                             ;   in Loop: Header=BB6_2609 Depth=4
	v_and_b32_e32 v20, 0x7f, v36
	v_cmp_ne_u32_e32 vcc, s81, v20
	v_mov_b32_e32 v1, 0x7f800001
	s_and_saveexec_b64 s[36:37], vcc
	s_cbranch_execz .LBB6_2811
; %bb.2810:                             ;   in Loop: Header=BB6_2609 Depth=4
	v_and_b32_e32 v22, 7, v0
	v_ffbh_u32_e32 v1, v22
	v_lshrrev_b32_e32 v25, 3, v20
	v_cmp_gt_u32_e32 vcc, 8, v20
	v_min_u32_e32 v20, 32, v1
	v_subrev_u32_e32 v1, 28, v20
	v_lshlrev_b64 v[0:1], v1, v[0:1]
	v_sub_u32_e32 v1, 29, v20
	v_and_b32_e32 v0, 7, v0
	v_cndmask_b32_e32 v1, v25, v1, vcc
	v_cndmask_b32_e32 v0, v22, v0, vcc
	v_lshlrev_b32_e32 v20, 24, v36
	v_bfrev_b32_e32 v22, 60
	v_lshlrev_b32_e32 v0, 20, v0
	v_and_b32_e32 v20, 0x80000000, v20
	v_lshl_add_u32 v1, v1, 23, v22
	v_or3_b32 v1, v20, v1, v0
.LBB6_2811:                             ;   in Loop: Header=BB6_2609 Depth=4
	s_or_b64 exec, exec, s[36:37]
.LBB6_2812:                             ;   in Loop: Header=BB6_2609 Depth=4
	s_or_b64 exec, exec, s[34:35]
.LBB6_2813:                             ;   in Loop: Header=BB6_2609 Depth=4
	s_or_b64 exec, exec, s[28:29]
	v_mul_f32_e32 v0, v2, v1
	v_and_b32_e32 v20, 0x7f800000, v0
	v_cmp_ne_u64_e32 vcc, s[62:63], v[20:21]
                                        ; implicit-def: $vgpr36
	s_and_saveexec_b64 s[28:29], vcc
	s_xor_b64 s[34:35], exec, s[28:29]
	s_cbranch_execz .LBB6_2831
; %bb.2814:                             ;   in Loop: Header=BB6_2609 Depth=4
	v_and_b32_e32 v20, 0x7fffffff, v0
	v_cmp_gt_u64_e32 vcc, s[78:79], v[20:21]
	v_and_b32_sdwa v22, v0, s80 dst_sel:DWORD dst_unused:UNUSED_PAD src0_sel:BYTE_3 src1_sel:DWORD
                                        ; implicit-def: $vgpr36
	s_and_saveexec_b64 s[28:29], vcc
	s_xor_b64 s[36:37], exec, s[28:29]
	s_cbranch_execz .LBB6_2828
; %bb.2815:                             ;   in Loop: Header=BB6_2609 Depth=4
	v_cmp_ne_u32_e32 vcc, 0, v0
	v_mov_b32_e32 v36, 0
	s_and_saveexec_b64 s[38:39], vcc
	s_cbranch_execz .LBB6_2827
; %bb.2816:                             ;   in Loop: Header=BB6_2609 Depth=4
	v_bfe_u32 v25, v0, 23, 8
	v_and_b32_e32 v1, 0x7fffff, v0
	v_cmp_gt_u32_e64 s[28:29], s47, v25
	v_sub_u32_e32 v0, 0x79, v25
	v_cmp_eq_u32_e32 vcc, 0, v25
	v_cndmask_b32_e64 v0, 0, v0, s[28:29]
	v_mov_b32_e32 v20, 0x78
	v_cndmask_b32_e32 v26, v0, v20, vcc
	v_or_b32_e32 v2, 0x800000, v1
	v_add_u32_e32 v0, 20, v26
	v_cndmask_b32_e32 v20, v2, v1, vcc
	v_lshlrev_b64 v[0:1], v0, -1
	v_add_u32_e32 v2, 19, v26
	v_lshlrev_b64 v[28:29], v2, 1
	v_bfi_b32 v1, v1, 0, 0
	v_bfi_b32 v0, v0, 0, v20
	v_cmp_eq_u64_e64 s[28:29], v[0:1], v[28:29]
	v_lshrrev_b64 v[0:1], v26, v[20:21]
	v_mov_b32_e32 v2, v1
	v_mov_b32_e32 v1, v0
	s_and_saveexec_b64 s[48:49], s[28:29]
; %bb.2817:                             ;   in Loop: Header=BB6_2609 Depth=4
	v_bfe_u32 v1, v0, 20, 1
	v_add_co_u32_e64 v1, s[28:29], v0, v1
	v_add_co_u32_e64 v1, s[28:29], -1, v1
; %bb.2818:                             ;   in Loop: Header=BB6_2609 Depth=4
	s_or_b64 exec, exec, s[48:49]
	v_add_u32_e32 v2, 0xffffff81, v25
	v_mov_b32_e32 v20, 0xffffff82
	v_cndmask_b32_e32 v2, v2, v20, vcc
	v_lshrrev_b32_e32 v20, 23, v0
	v_add3_u32 v26, v26, v2, v20
	v_add_u32_e32 v25, 6, v26
	v_and_b32_e32 v1, 0xfffff, v1
	v_add_u32_e32 v20, v1, v0
	v_cmp_ne_u32_e32 vcc, 0, v25
                                        ; implicit-def: $vgpr0_vgpr1
                                        ; implicit-def: $vgpr2
	s_and_saveexec_b64 s[28:29], vcc
	s_xor_b64 s[28:29], exec, s[28:29]
; %bb.2819:                             ;   in Loop: Header=BB6_2609 Depth=4
	v_cmp_lt_u64_e32 vcc, s[88:89], v[20:21]
	v_add_u32_e32 v0, 7, v26
	v_cndmask_b32_e32 v2, v25, v0, vcc
	v_cndmask_b32_e64 v0, 0, 1, vcc
	v_lshrrev_b64 v[0:1], v0, v[20:21]
; %bb.2820:                             ;   in Loop: Header=BB6_2609 Depth=4
	s_andn2_saveexec_b64 s[28:29], s[28:29]
; %bb.2821:                             ;   in Loop: Header=BB6_2609 Depth=4
	v_mov_b32_e32 v0, v20
	v_bfe_u32 v2, v20, 23, 1
	v_mov_b32_e32 v1, v21
; %bb.2822:                             ;   in Loop: Header=BB6_2609 Depth=4
	s_or_b64 exec, exec, s[28:29]
	v_lshrrev_b64 v[0:1], 20, v[0:1]
	v_cmp_gt_i32_e32 vcc, 16, v2
	v_cndmask_b32_e32 v1, 0, v1, vcc
	v_cndmask_b32_e32 v0, 7, v0, vcc
	v_cmp_ne_u64_e32 vcc, 0, v[0:1]
	v_cmp_ne_u32_e64 s[28:29], 0, v2
	s_or_b64 s[28:29], s[28:29], vcc
                                        ; implicit-def: $vgpr36
	s_and_saveexec_b64 vcc, s[28:29]
	s_xor_b64 s[28:29], exec, vcc
; %bb.2823:                             ;   in Loop: Header=BB6_2609 Depth=4
	v_min_i32_e32 v1, 15, v2
	v_lshl_or_b32 v1, v1, 3, v22
	v_and_or_b32 v36, v0, 7, v1
                                        ; implicit-def: $vgpr22
; %bb.2824:                             ;   in Loop: Header=BB6_2609 Depth=4
	s_andn2_saveexec_b64 s[28:29], s[28:29]
; %bb.2825:                             ;   in Loop: Header=BB6_2609 Depth=4
	v_mov_b32_e32 v36, v22
; %bb.2826:                             ;   in Loop: Header=BB6_2609 Depth=4
	s_or_b64 exec, exec, s[28:29]
.LBB6_2827:                             ;   in Loop: Header=BB6_2609 Depth=4
	s_or_b64 exec, exec, s[38:39]
                                        ; implicit-def: $vgpr22
.LBB6_2828:                             ;   in Loop: Header=BB6_2609 Depth=4
	s_andn2_saveexec_b64 s[28:29], s[36:37]
; %bb.2829:                             ;   in Loop: Header=BB6_2609 Depth=4
	v_or_b32_e32 v36, 0x7e, v22
; %bb.2830:                             ;   in Loop: Header=BB6_2609 Depth=4
	s_or_b64 exec, exec, s[28:29]
                                        ; implicit-def: $vgpr0
.LBB6_2831:                             ;   in Loop: Header=BB6_2609 Depth=4
	s_andn2_saveexec_b64 s[28:29], s[34:35]
; %bb.2832:                             ;   in Loop: Header=BB6_2609 Depth=4
	v_or_b32_sdwa v36, v0, s81 dst_sel:DWORD dst_unused:UNUSED_PAD src0_sel:BYTE_3 src1_sel:DWORD
; %bb.2833:                             ;   in Loop: Header=BB6_2609 Depth=4
	s_or_b64 exec, exec, s[28:29]
	v_and_b32_e32 v0, 0xff, v19
	v_cmp_ne_u16_e32 vcc, 0, v0
	v_mov_b32_e32 v1, 0
	v_mov_b32_e32 v2, 0
	s_and_saveexec_b64 s[28:29], vcc
	s_cbranch_execz .LBB6_2839
; %bb.2834:                             ;   in Loop: Header=BB6_2609 Depth=4
	v_cmp_ne_u16_e32 vcc, s80, v0
	v_bfrev_b32_e32 v2, 1
	s_and_saveexec_b64 s[34:35], vcc
	s_cbranch_execz .LBB6_2838
; %bb.2835:                             ;   in Loop: Header=BB6_2609 Depth=4
	v_and_b32_e32 v20, 0x7f, v19
	v_cmp_ne_u32_e32 vcc, s81, v20
	v_mov_b32_e32 v2, 0x7f800001
	s_and_saveexec_b64 s[36:37], vcc
	s_cbranch_execz .LBB6_2837
; %bb.2836:                             ;   in Loop: Header=BB6_2609 Depth=4
	v_and_b32_e32 v2, 7, v0
	v_lshrrev_b32_e32 v22, 3, v20
	v_cmp_gt_u32_e32 vcc, 8, v20
	v_ffbh_u32_e32 v20, v2
	v_min_u32_e32 v20, 32, v20
	v_subrev_u32_e32 v25, 28, v20
	v_lshlrev_b64 v[25:26], v25, v[0:1]
	v_sub_u32_e32 v0, 29, v20
	v_and_b32_e32 v20, 7, v25
	v_cndmask_b32_e32 v0, v22, v0, vcc
	v_cndmask_b32_e32 v2, v2, v20, vcc
	v_lshlrev_b32_e32 v19, 24, v19
	v_bfrev_b32_e32 v20, 60
	v_lshlrev_b32_e32 v2, 20, v2
	v_and_b32_e32 v19, 0x80000000, v19
	v_lshl_add_u32 v0, v0, 23, v20
	v_or3_b32 v2, v19, v0, v2
.LBB6_2837:                             ;   in Loop: Header=BB6_2609 Depth=4
	s_or_b64 exec, exec, s[36:37]
.LBB6_2838:                             ;   in Loop: Header=BB6_2609 Depth=4
	s_or_b64 exec, exec, s[34:35]
.LBB6_2839:                             ;   in Loop: Header=BB6_2609 Depth=4
	s_or_b64 exec, exec, s[28:29]
	v_and_b32_e32 v0, 0xff, v39
	v_cmp_ne_u16_e32 vcc, 0, v0
	s_and_saveexec_b64 s[28:29], vcc
	s_cbranch_execz .LBB6_2845
; %bb.2840:                             ;   in Loop: Header=BB6_2609 Depth=4
	v_cmp_ne_u16_e32 vcc, s80, v0
	v_bfrev_b32_e32 v1, 1
	s_and_saveexec_b64 s[34:35], vcc
	s_cbranch_execz .LBB6_2844
; %bb.2841:                             ;   in Loop: Header=BB6_2609 Depth=4
	v_and_b32_e32 v19, 0x7f, v39
	v_cmp_ne_u32_e32 vcc, s81, v19
	v_mov_b32_e32 v1, 0x7f800001
	s_and_saveexec_b64 s[36:37], vcc
	s_cbranch_execz .LBB6_2843
; %bb.2842:                             ;   in Loop: Header=BB6_2609 Depth=4
	v_and_b32_e32 v20, 7, v0
	v_ffbh_u32_e32 v1, v20
	v_lshrrev_b32_e32 v22, 3, v19
	v_cmp_gt_u32_e32 vcc, 8, v19
	v_min_u32_e32 v19, 32, v1
	v_subrev_u32_e32 v1, 28, v19
	v_lshlrev_b64 v[0:1], v1, v[0:1]
	v_sub_u32_e32 v1, 29, v19
	v_and_b32_e32 v0, 7, v0
	v_cndmask_b32_e32 v1, v22, v1, vcc
	v_cndmask_b32_e32 v0, v20, v0, vcc
	v_lshlrev_b32_e32 v19, 24, v39
	v_bfrev_b32_e32 v20, 60
	v_lshlrev_b32_e32 v0, 20, v0
	v_and_b32_e32 v19, 0x80000000, v19
	v_lshl_add_u32 v1, v1, 23, v20
	v_or3_b32 v1, v19, v1, v0
.LBB6_2843:                             ;   in Loop: Header=BB6_2609 Depth=4
	s_or_b64 exec, exec, s[36:37]
.LBB6_2844:                             ;   in Loop: Header=BB6_2609 Depth=4
	s_or_b64 exec, exec, s[34:35]
.LBB6_2845:                             ;   in Loop: Header=BB6_2609 Depth=4
	s_or_b64 exec, exec, s[28:29]
	v_mul_f32_e32 v0, v2, v1
	v_and_b32_e32 v20, 0x7f800000, v0
	v_cmp_ne_u64_e32 vcc, s[62:63], v[20:21]
                                        ; implicit-def: $vgpr39
	s_and_saveexec_b64 s[28:29], vcc
	s_xor_b64 s[34:35], exec, s[28:29]
	s_cbranch_execz .LBB6_2863
; %bb.2846:                             ;   in Loop: Header=BB6_2609 Depth=4
	v_and_b32_e32 v20, 0x7fffffff, v0
	v_cmp_gt_u64_e32 vcc, s[78:79], v[20:21]
	v_and_b32_sdwa v19, v0, s80 dst_sel:DWORD dst_unused:UNUSED_PAD src0_sel:BYTE_3 src1_sel:DWORD
                                        ; implicit-def: $vgpr39
	s_and_saveexec_b64 s[28:29], vcc
	s_xor_b64 s[36:37], exec, s[28:29]
	s_cbranch_execz .LBB6_2860
; %bb.2847:                             ;   in Loop: Header=BB6_2609 Depth=4
	v_cmp_ne_u32_e32 vcc, 0, v0
	v_mov_b32_e32 v39, 0
	s_and_saveexec_b64 s[38:39], vcc
	s_cbranch_execz .LBB6_2859
; %bb.2848:                             ;   in Loop: Header=BB6_2609 Depth=4
	v_bfe_u32 v22, v0, 23, 8
	v_and_b32_e32 v1, 0x7fffff, v0
	v_cmp_gt_u32_e64 s[28:29], s47, v22
	v_sub_u32_e32 v0, 0x79, v22
	v_cmp_eq_u32_e32 vcc, 0, v22
	v_cndmask_b32_e64 v0, 0, v0, s[28:29]
	v_mov_b32_e32 v20, 0x78
	v_cndmask_b32_e32 v25, v0, v20, vcc
	v_or_b32_e32 v2, 0x800000, v1
	v_add_u32_e32 v0, 20, v25
	v_cndmask_b32_e32 v20, v2, v1, vcc
	v_lshlrev_b64 v[0:1], v0, -1
	v_add_u32_e32 v2, 19, v25
	v_lshlrev_b64 v[28:29], v2, 1
	v_bfi_b32 v1, v1, 0, 0
	v_bfi_b32 v0, v0, 0, v20
	v_cmp_eq_u64_e64 s[28:29], v[0:1], v[28:29]
	v_lshrrev_b64 v[0:1], v25, v[20:21]
	v_mov_b32_e32 v2, v1
	v_mov_b32_e32 v1, v0
	s_and_saveexec_b64 s[48:49], s[28:29]
; %bb.2849:                             ;   in Loop: Header=BB6_2609 Depth=4
	v_bfe_u32 v1, v0, 20, 1
	v_add_co_u32_e64 v1, s[28:29], v0, v1
	v_add_co_u32_e64 v1, s[28:29], -1, v1
; %bb.2850:                             ;   in Loop: Header=BB6_2609 Depth=4
	s_or_b64 exec, exec, s[48:49]
	v_add_u32_e32 v2, 0xffffff81, v22
	v_mov_b32_e32 v20, 0xffffff82
	v_cndmask_b32_e32 v2, v2, v20, vcc
	v_lshrrev_b32_e32 v20, 23, v0
	v_add3_u32 v25, v25, v2, v20
	v_add_u32_e32 v22, 6, v25
	v_and_b32_e32 v1, 0xfffff, v1
	v_add_u32_e32 v20, v1, v0
	v_cmp_ne_u32_e32 vcc, 0, v22
                                        ; implicit-def: $vgpr0_vgpr1
                                        ; implicit-def: $vgpr2
	s_and_saveexec_b64 s[28:29], vcc
	s_xor_b64 s[28:29], exec, s[28:29]
; %bb.2851:                             ;   in Loop: Header=BB6_2609 Depth=4
	v_cmp_lt_u64_e32 vcc, s[88:89], v[20:21]
	v_add_u32_e32 v0, 7, v25
	v_cndmask_b32_e32 v2, v22, v0, vcc
	v_cndmask_b32_e64 v0, 0, 1, vcc
	v_lshrrev_b64 v[0:1], v0, v[20:21]
; %bb.2852:                             ;   in Loop: Header=BB6_2609 Depth=4
	s_andn2_saveexec_b64 s[28:29], s[28:29]
; %bb.2853:                             ;   in Loop: Header=BB6_2609 Depth=4
	v_mov_b32_e32 v0, v20
	v_bfe_u32 v2, v20, 23, 1
	v_mov_b32_e32 v1, v21
; %bb.2854:                             ;   in Loop: Header=BB6_2609 Depth=4
	s_or_b64 exec, exec, s[28:29]
	v_lshrrev_b64 v[0:1], 20, v[0:1]
	v_cmp_gt_i32_e32 vcc, 16, v2
	v_cndmask_b32_e32 v1, 0, v1, vcc
	v_cndmask_b32_e32 v0, 7, v0, vcc
	v_cmp_ne_u64_e32 vcc, 0, v[0:1]
	v_cmp_ne_u32_e64 s[28:29], 0, v2
	s_or_b64 s[28:29], s[28:29], vcc
                                        ; implicit-def: $vgpr39
	s_and_saveexec_b64 vcc, s[28:29]
	s_xor_b64 s[28:29], exec, vcc
; %bb.2855:                             ;   in Loop: Header=BB6_2609 Depth=4
	v_min_i32_e32 v1, 15, v2
	v_lshl_or_b32 v1, v1, 3, v19
	v_and_or_b32 v39, v0, 7, v1
                                        ; implicit-def: $vgpr19
; %bb.2856:                             ;   in Loop: Header=BB6_2609 Depth=4
	s_andn2_saveexec_b64 s[28:29], s[28:29]
; %bb.2857:                             ;   in Loop: Header=BB6_2609 Depth=4
	v_mov_b32_e32 v39, v19
; %bb.2858:                             ;   in Loop: Header=BB6_2609 Depth=4
	s_or_b64 exec, exec, s[28:29]
.LBB6_2859:                             ;   in Loop: Header=BB6_2609 Depth=4
	s_or_b64 exec, exec, s[38:39]
                                        ; implicit-def: $vgpr19
.LBB6_2860:                             ;   in Loop: Header=BB6_2609 Depth=4
	s_andn2_saveexec_b64 s[28:29], s[36:37]
; %bb.2861:                             ;   in Loop: Header=BB6_2609 Depth=4
	v_or_b32_e32 v39, 0x7e, v19
; %bb.2862:                             ;   in Loop: Header=BB6_2609 Depth=4
	s_or_b64 exec, exec, s[28:29]
                                        ; implicit-def: $vgpr0
.LBB6_2863:                             ;   in Loop: Header=BB6_2609 Depth=4
	s_andn2_saveexec_b64 s[28:29], s[34:35]
; %bb.2864:                             ;   in Loop: Header=BB6_2609 Depth=4
	v_or_b32_sdwa v39, v0, s81 dst_sel:DWORD dst_unused:UNUSED_PAD src0_sel:BYTE_3 src1_sel:DWORD
; %bb.2865:                             ;   in Loop: Header=BB6_2609 Depth=4
	s_or_b64 exec, exec, s[28:29]
	v_and_b32_e32 v0, 0xff, v17
	v_cmp_ne_u16_e32 vcc, 0, v0
	v_mov_b32_e32 v1, 0
	v_mov_b32_e32 v2, 0
	s_and_saveexec_b64 s[28:29], vcc
	s_cbranch_execz .LBB6_2871
; %bb.2866:                             ;   in Loop: Header=BB6_2609 Depth=4
	v_cmp_ne_u16_e32 vcc, s80, v0
	v_bfrev_b32_e32 v2, 1
	s_and_saveexec_b64 s[34:35], vcc
	s_cbranch_execz .LBB6_2870
; %bb.2867:                             ;   in Loop: Header=BB6_2609 Depth=4
	v_and_b32_e32 v19, 0x7f, v17
	v_cmp_ne_u32_e32 vcc, s81, v19
	v_mov_b32_e32 v2, 0x7f800001
	s_and_saveexec_b64 s[36:37], vcc
	s_cbranch_execz .LBB6_2869
; %bb.2868:                             ;   in Loop: Header=BB6_2609 Depth=4
	v_and_b32_e32 v2, 7, v0
	v_lshrrev_b32_e32 v22, 3, v19
	v_cmp_gt_u32_e32 vcc, 8, v19
	v_ffbh_u32_e32 v19, v2
	v_min_u32_e32 v25, 32, v19
	v_subrev_u32_e32 v19, 28, v25
	v_lshlrev_b64 v[19:20], v19, v[0:1]
	v_sub_u32_e32 v0, 29, v25
	v_and_b32_e32 v19, 7, v19
	v_cndmask_b32_e32 v0, v22, v0, vcc
	v_cndmask_b32_e32 v2, v2, v19, vcc
	v_lshlrev_b32_e32 v17, 24, v17
	v_bfrev_b32_e32 v19, 60
	v_lshlrev_b32_e32 v2, 20, v2
	v_and_b32_e32 v17, 0x80000000, v17
	v_lshl_add_u32 v0, v0, 23, v19
	v_or3_b32 v2, v17, v0, v2
.LBB6_2869:                             ;   in Loop: Header=BB6_2609 Depth=4
	s_or_b64 exec, exec, s[36:37]
.LBB6_2870:                             ;   in Loop: Header=BB6_2609 Depth=4
	s_or_b64 exec, exec, s[34:35]
.LBB6_2871:                             ;   in Loop: Header=BB6_2609 Depth=4
	s_or_b64 exec, exec, s[28:29]
	v_and_b32_e32 v0, 0xff, v50
	v_cmp_ne_u16_e32 vcc, 0, v0
	s_and_saveexec_b64 s[28:29], vcc
	s_cbranch_execz .LBB6_2877
; %bb.2872:                             ;   in Loop: Header=BB6_2609 Depth=4
	v_cmp_ne_u16_e32 vcc, s80, v0
	v_bfrev_b32_e32 v1, 1
	s_and_saveexec_b64 s[34:35], vcc
	s_cbranch_execz .LBB6_2876
; %bb.2873:                             ;   in Loop: Header=BB6_2609 Depth=4
	v_and_b32_e32 v17, 0x7f, v50
	v_cmp_ne_u32_e32 vcc, s81, v17
	v_mov_b32_e32 v1, 0x7f800001
	s_and_saveexec_b64 s[36:37], vcc
	s_cbranch_execz .LBB6_2875
; %bb.2874:                             ;   in Loop: Header=BB6_2609 Depth=4
	v_and_b32_e32 v19, 7, v0
	v_ffbh_u32_e32 v1, v19
	v_lshrrev_b32_e32 v20, 3, v17
	v_cmp_gt_u32_e32 vcc, 8, v17
	v_min_u32_e32 v17, 32, v1
	v_subrev_u32_e32 v1, 28, v17
	v_lshlrev_b64 v[0:1], v1, v[0:1]
	v_sub_u32_e32 v1, 29, v17
	v_and_b32_e32 v0, 7, v0
	v_cndmask_b32_e32 v1, v20, v1, vcc
	v_cndmask_b32_e32 v0, v19, v0, vcc
	v_lshlrev_b32_e32 v17, 24, v50
	v_bfrev_b32_e32 v19, 60
	v_lshlrev_b32_e32 v0, 20, v0
	v_and_b32_e32 v17, 0x80000000, v17
	v_lshl_add_u32 v1, v1, 23, v19
	v_or3_b32 v1, v17, v1, v0
.LBB6_2875:                             ;   in Loop: Header=BB6_2609 Depth=4
	s_or_b64 exec, exec, s[36:37]
.LBB6_2876:                             ;   in Loop: Header=BB6_2609 Depth=4
	s_or_b64 exec, exec, s[34:35]
.LBB6_2877:                             ;   in Loop: Header=BB6_2609 Depth=4
	s_or_b64 exec, exec, s[28:29]
	v_mul_f32_e32 v0, v2, v1
	v_and_b32_e32 v20, 0x7f800000, v0
	v_cmp_ne_u64_e32 vcc, s[62:63], v[20:21]
                                        ; implicit-def: $vgpr50
	s_and_saveexec_b64 s[28:29], vcc
	s_xor_b64 s[34:35], exec, s[28:29]
	s_cbranch_execz .LBB6_2895
; %bb.2878:                             ;   in Loop: Header=BB6_2609 Depth=4
	v_and_b32_e32 v20, 0x7fffffff, v0
	v_cmp_gt_u64_e32 vcc, s[78:79], v[20:21]
	v_and_b32_sdwa v17, v0, s80 dst_sel:DWORD dst_unused:UNUSED_PAD src0_sel:BYTE_3 src1_sel:DWORD
                                        ; implicit-def: $vgpr50
	s_and_saveexec_b64 s[28:29], vcc
	s_xor_b64 s[36:37], exec, s[28:29]
	s_cbranch_execz .LBB6_2892
; %bb.2879:                             ;   in Loop: Header=BB6_2609 Depth=4
	v_cmp_ne_u32_e32 vcc, 0, v0
	v_mov_b32_e32 v50, 0
	s_and_saveexec_b64 s[38:39], vcc
	s_cbranch_execz .LBB6_2891
; %bb.2880:                             ;   in Loop: Header=BB6_2609 Depth=4
	v_bfe_u32 v19, v0, 23, 8
	v_and_b32_e32 v1, 0x7fffff, v0
	v_cmp_gt_u32_e64 s[28:29], s47, v19
	v_sub_u32_e32 v0, 0x79, v19
	v_cmp_eq_u32_e32 vcc, 0, v19
	v_cndmask_b32_e64 v0, 0, v0, s[28:29]
	v_mov_b32_e32 v20, 0x78
	v_cndmask_b32_e32 v22, v0, v20, vcc
	v_or_b32_e32 v2, 0x800000, v1
	v_add_u32_e32 v0, 20, v22
	v_cndmask_b32_e32 v20, v2, v1, vcc
	v_lshlrev_b64 v[0:1], v0, -1
	v_add_u32_e32 v2, 19, v22
	v_lshlrev_b64 v[25:26], v2, 1
	v_bfi_b32 v1, v1, 0, 0
	v_bfi_b32 v0, v0, 0, v20
	v_cmp_eq_u64_e64 s[28:29], v[0:1], v[25:26]
	v_lshrrev_b64 v[0:1], v22, v[20:21]
	v_mov_b32_e32 v2, v1
	v_mov_b32_e32 v1, v0
	s_and_saveexec_b64 s[48:49], s[28:29]
; %bb.2881:                             ;   in Loop: Header=BB6_2609 Depth=4
	v_bfe_u32 v1, v0, 20, 1
	v_add_co_u32_e64 v1, s[28:29], v0, v1
	v_add_co_u32_e64 v1, s[28:29], -1, v1
; %bb.2882:                             ;   in Loop: Header=BB6_2609 Depth=4
	s_or_b64 exec, exec, s[48:49]
	v_add_u32_e32 v2, 0xffffff81, v19
	v_mov_b32_e32 v19, 0xffffff82
	v_cndmask_b32_e32 v2, v2, v19, vcc
	v_lshrrev_b32_e32 v19, 23, v0
	v_add3_u32 v22, v22, v2, v19
	v_add_u32_e32 v19, 6, v22
	v_and_b32_e32 v1, 0xfffff, v1
	v_add_u32_e32 v20, v1, v0
	v_cmp_ne_u32_e32 vcc, 0, v19
                                        ; implicit-def: $vgpr0_vgpr1
                                        ; implicit-def: $vgpr2
	s_and_saveexec_b64 s[28:29], vcc
	s_xor_b64 s[28:29], exec, s[28:29]
; %bb.2883:                             ;   in Loop: Header=BB6_2609 Depth=4
	v_cmp_lt_u64_e32 vcc, s[88:89], v[20:21]
	v_add_u32_e32 v0, 7, v22
	v_cndmask_b32_e32 v2, v19, v0, vcc
	v_cndmask_b32_e64 v0, 0, 1, vcc
	v_lshrrev_b64 v[0:1], v0, v[20:21]
; %bb.2884:                             ;   in Loop: Header=BB6_2609 Depth=4
	s_andn2_saveexec_b64 s[28:29], s[28:29]
; %bb.2885:                             ;   in Loop: Header=BB6_2609 Depth=4
	v_mov_b32_e32 v0, v20
	v_bfe_u32 v2, v20, 23, 1
	v_mov_b32_e32 v1, v21
; %bb.2886:                             ;   in Loop: Header=BB6_2609 Depth=4
	s_or_b64 exec, exec, s[28:29]
	v_lshrrev_b64 v[0:1], 20, v[0:1]
	v_cmp_gt_i32_e32 vcc, 16, v2
	v_cndmask_b32_e32 v1, 0, v1, vcc
	v_cndmask_b32_e32 v0, 7, v0, vcc
	v_cmp_ne_u64_e32 vcc, 0, v[0:1]
	v_cmp_ne_u32_e64 s[28:29], 0, v2
	s_or_b64 s[28:29], s[28:29], vcc
                                        ; implicit-def: $vgpr50
	s_and_saveexec_b64 vcc, s[28:29]
	s_xor_b64 s[28:29], exec, vcc
; %bb.2887:                             ;   in Loop: Header=BB6_2609 Depth=4
	v_min_i32_e32 v1, 15, v2
	v_lshl_or_b32 v1, v1, 3, v17
	v_and_or_b32 v50, v0, 7, v1
                                        ; implicit-def: $vgpr17
; %bb.2888:                             ;   in Loop: Header=BB6_2609 Depth=4
	s_andn2_saveexec_b64 s[28:29], s[28:29]
; %bb.2889:                             ;   in Loop: Header=BB6_2609 Depth=4
	v_mov_b32_e32 v50, v17
; %bb.2890:                             ;   in Loop: Header=BB6_2609 Depth=4
	s_or_b64 exec, exec, s[28:29]
.LBB6_2891:                             ;   in Loop: Header=BB6_2609 Depth=4
	s_or_b64 exec, exec, s[38:39]
                                        ; implicit-def: $vgpr17
.LBB6_2892:                             ;   in Loop: Header=BB6_2609 Depth=4
	s_andn2_saveexec_b64 s[28:29], s[36:37]
; %bb.2893:                             ;   in Loop: Header=BB6_2609 Depth=4
	v_or_b32_e32 v50, 0x7e, v17
; %bb.2894:                             ;   in Loop: Header=BB6_2609 Depth=4
	s_or_b64 exec, exec, s[28:29]
                                        ; implicit-def: $vgpr0
.LBB6_2895:                             ;   in Loop: Header=BB6_2609 Depth=4
	s_andn2_saveexec_b64 s[28:29], s[34:35]
; %bb.2896:                             ;   in Loop: Header=BB6_2609 Depth=4
	v_or_b32_sdwa v50, v0, s81 dst_sel:DWORD dst_unused:UNUSED_PAD src0_sel:BYTE_3 src1_sel:DWORD
; %bb.2897:                             ;   in Loop: Header=BB6_2609 Depth=4
	s_or_b64 exec, exec, s[28:29]
	v_and_b32_e32 v0, 0xff, v16
	v_cmp_ne_u16_e32 vcc, 0, v0
	v_mov_b32_e32 v1, 0
	v_mov_b32_e32 v2, 0
	s_and_saveexec_b64 s[28:29], vcc
	s_cbranch_execz .LBB6_2903
; %bb.2898:                             ;   in Loop: Header=BB6_2609 Depth=4
	v_cmp_ne_u16_e32 vcc, s80, v0
	v_bfrev_b32_e32 v2, 1
	s_and_saveexec_b64 s[34:35], vcc
	s_cbranch_execz .LBB6_2902
; %bb.2899:                             ;   in Loop: Header=BB6_2609 Depth=4
	v_and_b32_e32 v17, 0x7f, v16
	v_cmp_ne_u32_e32 vcc, s81, v17
	v_mov_b32_e32 v2, 0x7f800001
	s_and_saveexec_b64 s[36:37], vcc
	s_cbranch_execz .LBB6_2901
; %bb.2900:                             ;   in Loop: Header=BB6_2609 Depth=4
	v_and_b32_e32 v2, 7, v0
	v_lshrrev_b32_e32 v22, 3, v17
	v_cmp_gt_u32_e32 vcc, 8, v17
	v_ffbh_u32_e32 v17, v2
	v_min_u32_e32 v17, 32, v17
	v_subrev_u32_e32 v19, 28, v17
	v_lshlrev_b64 v[19:20], v19, v[0:1]
	v_sub_u32_e32 v0, 29, v17
	v_and_b32_e32 v17, 7, v19
	v_cndmask_b32_e32 v0, v22, v0, vcc
	v_cndmask_b32_e32 v2, v2, v17, vcc
	v_lshlrev_b32_e32 v16, 24, v16
	v_bfrev_b32_e32 v17, 60
	v_lshlrev_b32_e32 v2, 20, v2
	v_and_b32_e32 v16, 0x80000000, v16
	v_lshl_add_u32 v0, v0, 23, v17
	v_or3_b32 v2, v16, v0, v2
.LBB6_2901:                             ;   in Loop: Header=BB6_2609 Depth=4
	s_or_b64 exec, exec, s[36:37]
.LBB6_2902:                             ;   in Loop: Header=BB6_2609 Depth=4
	s_or_b64 exec, exec, s[34:35]
.LBB6_2903:                             ;   in Loop: Header=BB6_2609 Depth=4
	s_or_b64 exec, exec, s[28:29]
	v_and_b32_e32 v0, 0xff, v53
	v_cmp_ne_u16_e32 vcc, 0, v0
	s_and_saveexec_b64 s[28:29], vcc
	s_cbranch_execz .LBB6_2909
; %bb.2904:                             ;   in Loop: Header=BB6_2609 Depth=4
	v_cmp_ne_u16_e32 vcc, s80, v0
	v_bfrev_b32_e32 v1, 1
	s_and_saveexec_b64 s[34:35], vcc
	s_cbranch_execz .LBB6_2908
; %bb.2905:                             ;   in Loop: Header=BB6_2609 Depth=4
	v_and_b32_e32 v16, 0x7f, v53
	v_cmp_ne_u32_e32 vcc, s81, v16
	v_mov_b32_e32 v1, 0x7f800001
	s_and_saveexec_b64 s[36:37], vcc
	s_cbranch_execz .LBB6_2907
; %bb.2906:                             ;   in Loop: Header=BB6_2609 Depth=4
	v_and_b32_e32 v17, 7, v0
	v_ffbh_u32_e32 v1, v17
	v_lshrrev_b32_e32 v19, 3, v16
	v_cmp_gt_u32_e32 vcc, 8, v16
	v_min_u32_e32 v16, 32, v1
	v_subrev_u32_e32 v1, 28, v16
	v_lshlrev_b64 v[0:1], v1, v[0:1]
	v_sub_u32_e32 v1, 29, v16
	v_and_b32_e32 v0, 7, v0
	v_cndmask_b32_e32 v1, v19, v1, vcc
	v_cndmask_b32_e32 v0, v17, v0, vcc
	v_lshlrev_b32_e32 v16, 24, v53
	v_bfrev_b32_e32 v17, 60
	v_lshlrev_b32_e32 v0, 20, v0
	v_and_b32_e32 v16, 0x80000000, v16
	v_lshl_add_u32 v1, v1, 23, v17
	v_or3_b32 v1, v16, v1, v0
.LBB6_2907:                             ;   in Loop: Header=BB6_2609 Depth=4
	s_or_b64 exec, exec, s[36:37]
.LBB6_2908:                             ;   in Loop: Header=BB6_2609 Depth=4
	s_or_b64 exec, exec, s[34:35]
.LBB6_2909:                             ;   in Loop: Header=BB6_2609 Depth=4
	s_or_b64 exec, exec, s[28:29]
	v_mul_f32_e32 v0, v2, v1
	v_and_b32_e32 v20, 0x7f800000, v0
	v_cmp_ne_u64_e32 vcc, s[62:63], v[20:21]
                                        ; implicit-def: $vgpr53
	s_and_saveexec_b64 s[28:29], vcc
	s_xor_b64 s[34:35], exec, s[28:29]
	s_cbranch_execz .LBB6_2927
; %bb.2910:                             ;   in Loop: Header=BB6_2609 Depth=4
	v_and_b32_e32 v20, 0x7fffffff, v0
	v_cmp_gt_u64_e32 vcc, s[78:79], v[20:21]
	v_and_b32_sdwa v16, v0, s80 dst_sel:DWORD dst_unused:UNUSED_PAD src0_sel:BYTE_3 src1_sel:DWORD
                                        ; implicit-def: $vgpr53
	s_and_saveexec_b64 s[28:29], vcc
	s_xor_b64 s[36:37], exec, s[28:29]
	s_cbranch_execz .LBB6_2924
; %bb.2911:                             ;   in Loop: Header=BB6_2609 Depth=4
	v_cmp_ne_u32_e32 vcc, 0, v0
	v_mov_b32_e32 v53, 0
	s_and_saveexec_b64 s[38:39], vcc
	s_cbranch_execz .LBB6_2923
; %bb.2912:                             ;   in Loop: Header=BB6_2609 Depth=4
	v_bfe_u32 v17, v0, 23, 8
	v_and_b32_e32 v1, 0x7fffff, v0
	v_cmp_gt_u32_e64 s[28:29], s47, v17
	v_sub_u32_e32 v0, 0x79, v17
	v_cmp_eq_u32_e32 vcc, 0, v17
	v_cndmask_b32_e64 v0, 0, v0, s[28:29]
	v_mov_b32_e32 v19, 0x78
	v_cndmask_b32_e32 v19, v0, v19, vcc
	v_or_b32_e32 v2, 0x800000, v1
	v_add_u32_e32 v0, 20, v19
	v_cndmask_b32_e32 v20, v2, v1, vcc
	v_lshlrev_b64 v[0:1], v0, -1
	v_add_u32_e32 v2, 19, v19
	v_lshlrev_b64 v[25:26], v2, 1
	v_bfi_b32 v1, v1, 0, 0
	v_bfi_b32 v0, v0, 0, v20
	v_cmp_eq_u64_e64 s[28:29], v[0:1], v[25:26]
	v_lshrrev_b64 v[0:1], v19, v[20:21]
	v_mov_b32_e32 v2, v1
	v_mov_b32_e32 v1, v0
	s_and_saveexec_b64 s[48:49], s[28:29]
; %bb.2913:                             ;   in Loop: Header=BB6_2609 Depth=4
	v_bfe_u32 v1, v0, 20, 1
	v_add_co_u32_e64 v1, s[28:29], v0, v1
	v_add_co_u32_e64 v1, s[28:29], -1, v1
; %bb.2914:                             ;   in Loop: Header=BB6_2609 Depth=4
	s_or_b64 exec, exec, s[48:49]
	v_add_u32_e32 v2, 0xffffff81, v17
	v_mov_b32_e32 v17, 0xffffff82
	v_cndmask_b32_e32 v2, v2, v17, vcc
	v_lshrrev_b32_e32 v17, 23, v0
	v_add3_u32 v19, v19, v2, v17
	v_add_u32_e32 v17, 6, v19
	v_and_b32_e32 v1, 0xfffff, v1
	v_add_u32_e32 v20, v1, v0
	v_cmp_ne_u32_e32 vcc, 0, v17
                                        ; implicit-def: $vgpr0_vgpr1
                                        ; implicit-def: $vgpr2
	s_and_saveexec_b64 s[28:29], vcc
	s_xor_b64 s[28:29], exec, s[28:29]
; %bb.2915:                             ;   in Loop: Header=BB6_2609 Depth=4
	v_cmp_lt_u64_e32 vcc, s[88:89], v[20:21]
	v_add_u32_e32 v0, 7, v19
	v_cndmask_b32_e32 v2, v17, v0, vcc
	v_cndmask_b32_e64 v0, 0, 1, vcc
	v_lshrrev_b64 v[0:1], v0, v[20:21]
; %bb.2916:                             ;   in Loop: Header=BB6_2609 Depth=4
	s_andn2_saveexec_b64 s[28:29], s[28:29]
; %bb.2917:                             ;   in Loop: Header=BB6_2609 Depth=4
	v_mov_b32_e32 v0, v20
	v_bfe_u32 v2, v20, 23, 1
	v_mov_b32_e32 v1, v21
; %bb.2918:                             ;   in Loop: Header=BB6_2609 Depth=4
	s_or_b64 exec, exec, s[28:29]
	v_lshrrev_b64 v[0:1], 20, v[0:1]
	v_cmp_gt_i32_e32 vcc, 16, v2
	v_cndmask_b32_e32 v1, 0, v1, vcc
	v_cndmask_b32_e32 v0, 7, v0, vcc
	v_cmp_ne_u64_e32 vcc, 0, v[0:1]
	v_cmp_ne_u32_e64 s[28:29], 0, v2
	s_or_b64 s[28:29], s[28:29], vcc
                                        ; implicit-def: $vgpr53
	s_and_saveexec_b64 vcc, s[28:29]
	s_xor_b64 s[28:29], exec, vcc
; %bb.2919:                             ;   in Loop: Header=BB6_2609 Depth=4
	v_min_i32_e32 v1, 15, v2
	v_lshl_or_b32 v1, v1, 3, v16
	v_and_or_b32 v53, v0, 7, v1
                                        ; implicit-def: $vgpr16
; %bb.2920:                             ;   in Loop: Header=BB6_2609 Depth=4
	s_andn2_saveexec_b64 s[28:29], s[28:29]
; %bb.2921:                             ;   in Loop: Header=BB6_2609 Depth=4
	v_mov_b32_e32 v53, v16
; %bb.2922:                             ;   in Loop: Header=BB6_2609 Depth=4
	s_or_b64 exec, exec, s[28:29]
.LBB6_2923:                             ;   in Loop: Header=BB6_2609 Depth=4
	s_or_b64 exec, exec, s[38:39]
                                        ; implicit-def: $vgpr16
.LBB6_2924:                             ;   in Loop: Header=BB6_2609 Depth=4
	s_andn2_saveexec_b64 s[28:29], s[36:37]
; %bb.2925:                             ;   in Loop: Header=BB6_2609 Depth=4
	v_or_b32_e32 v53, 0x7e, v16
; %bb.2926:                             ;   in Loop: Header=BB6_2609 Depth=4
	s_or_b64 exec, exec, s[28:29]
                                        ; implicit-def: $vgpr0
.LBB6_2927:                             ;   in Loop: Header=BB6_2609 Depth=4
	s_andn2_saveexec_b64 s[28:29], s[34:35]
; %bb.2928:                             ;   in Loop: Header=BB6_2609 Depth=4
	v_or_b32_sdwa v53, v0, s81 dst_sel:DWORD dst_unused:UNUSED_PAD src0_sel:BYTE_3 src1_sel:DWORD
; %bb.2929:                             ;   in Loop: Header=BB6_2609 Depth=4
	s_or_b64 exec, exec, s[28:29]
	v_and_b32_e32 v0, 0xff, v27
	v_cmp_ne_u16_e32 vcc, 0, v0
	v_mov_b32_e32 v1, 0
	v_mov_b32_e32 v2, 0
	s_and_saveexec_b64 s[28:29], vcc
	s_cbranch_execz .LBB6_2935
; %bb.2930:                             ;   in Loop: Header=BB6_2609 Depth=4
	v_cmp_ne_u16_e32 vcc, s80, v0
	v_bfrev_b32_e32 v2, 1
	s_and_saveexec_b64 s[34:35], vcc
	s_cbranch_execz .LBB6_2934
; %bb.2931:                             ;   in Loop: Header=BB6_2609 Depth=4
	v_and_b32_e32 v16, 0x7f, v27
	v_cmp_ne_u32_e32 vcc, s81, v16
	v_mov_b32_e32 v2, 0x7f800001
	s_and_saveexec_b64 s[36:37], vcc
	s_cbranch_execz .LBB6_2933
; %bb.2932:                             ;   in Loop: Header=BB6_2609 Depth=4
	v_and_b32_e32 v2, 7, v0
	v_lshrrev_b32_e32 v19, 3, v16
	v_cmp_gt_u32_e32 vcc, 8, v16
	v_ffbh_u32_e32 v16, v2
	v_min_u32_e32 v20, 32, v16
	v_subrev_u32_e32 v16, 28, v20
	v_lshlrev_b64 v[16:17], v16, v[0:1]
	v_sub_u32_e32 v0, 29, v20
	v_and_b32_e32 v16, 7, v16
	v_cndmask_b32_e32 v0, v19, v0, vcc
	v_cndmask_b32_e32 v2, v2, v16, vcc
	v_lshlrev_b32_e32 v16, 24, v27
	v_bfrev_b32_e32 v17, 60
	v_lshlrev_b32_e32 v2, 20, v2
	v_and_b32_e32 v16, 0x80000000, v16
	v_lshl_add_u32 v0, v0, 23, v17
	v_or3_b32 v2, v16, v0, v2
.LBB6_2933:                             ;   in Loop: Header=BB6_2609 Depth=4
	s_or_b64 exec, exec, s[36:37]
.LBB6_2934:                             ;   in Loop: Header=BB6_2609 Depth=4
	s_or_b64 exec, exec, s[34:35]
.LBB6_2935:                             ;   in Loop: Header=BB6_2609 Depth=4
	s_or_b64 exec, exec, s[28:29]
	v_and_b32_e32 v0, 0xff, v40
	v_cmp_ne_u16_e32 vcc, 0, v0
	s_and_saveexec_b64 s[28:29], vcc
	s_cbranch_execz .LBB6_2941
; %bb.2936:                             ;   in Loop: Header=BB6_2609 Depth=4
	v_cmp_ne_u16_e32 vcc, s80, v0
	v_bfrev_b32_e32 v1, 1
	s_and_saveexec_b64 s[34:35], vcc
	s_cbranch_execz .LBB6_2940
; %bb.2937:                             ;   in Loop: Header=BB6_2609 Depth=4
	v_and_b32_e32 v16, 0x7f, v40
	v_cmp_ne_u32_e32 vcc, s81, v16
	v_mov_b32_e32 v1, 0x7f800001
	s_and_saveexec_b64 s[36:37], vcc
	s_cbranch_execz .LBB6_2939
; %bb.2938:                             ;   in Loop: Header=BB6_2609 Depth=4
	v_and_b32_e32 v17, 7, v0
	v_ffbh_u32_e32 v1, v17
	v_lshrrev_b32_e32 v19, 3, v16
	v_cmp_gt_u32_e32 vcc, 8, v16
	v_min_u32_e32 v16, 32, v1
	v_subrev_u32_e32 v1, 28, v16
	v_lshlrev_b64 v[0:1], v1, v[0:1]
	v_sub_u32_e32 v1, 29, v16
	v_and_b32_e32 v0, 7, v0
	v_cndmask_b32_e32 v1, v19, v1, vcc
	v_cndmask_b32_e32 v0, v17, v0, vcc
	v_lshlrev_b32_e32 v16, 24, v40
	v_bfrev_b32_e32 v17, 60
	v_lshlrev_b32_e32 v0, 20, v0
	v_and_b32_e32 v16, 0x80000000, v16
	v_lshl_add_u32 v1, v1, 23, v17
	v_or3_b32 v1, v16, v1, v0
.LBB6_2939:                             ;   in Loop: Header=BB6_2609 Depth=4
	s_or_b64 exec, exec, s[36:37]
.LBB6_2940:                             ;   in Loop: Header=BB6_2609 Depth=4
	s_or_b64 exec, exec, s[34:35]
.LBB6_2941:                             ;   in Loop: Header=BB6_2609 Depth=4
	s_or_b64 exec, exec, s[28:29]
	v_mul_f32_e32 v0, v2, v1
	v_and_b32_e32 v20, 0x7f800000, v0
	v_cmp_ne_u64_e32 vcc, s[62:63], v[20:21]
                                        ; implicit-def: $vgpr40
	s_and_saveexec_b64 s[28:29], vcc
	s_xor_b64 s[34:35], exec, s[28:29]
	s_cbranch_execz .LBB6_2959
; %bb.2942:                             ;   in Loop: Header=BB6_2609 Depth=4
	v_and_b32_e32 v20, 0x7fffffff, v0
	v_cmp_gt_u64_e32 vcc, s[78:79], v[20:21]
	v_and_b32_sdwa v16, v0, s80 dst_sel:DWORD dst_unused:UNUSED_PAD src0_sel:BYTE_3 src1_sel:DWORD
                                        ; implicit-def: $vgpr40
	s_and_saveexec_b64 s[28:29], vcc
	s_xor_b64 s[36:37], exec, s[28:29]
	s_cbranch_execz .LBB6_2956
; %bb.2943:                             ;   in Loop: Header=BB6_2609 Depth=4
	v_cmp_ne_u32_e32 vcc, 0, v0
	v_mov_b32_e32 v40, 0
	s_and_saveexec_b64 s[38:39], vcc
	s_cbranch_execz .LBB6_2955
; %bb.2944:                             ;   in Loop: Header=BB6_2609 Depth=4
	v_bfe_u32 v17, v0, 23, 8
	v_and_b32_e32 v1, 0x7fffff, v0
	v_cmp_gt_u32_e64 s[28:29], s47, v17
	v_sub_u32_e32 v0, 0x79, v17
	v_cmp_eq_u32_e32 vcc, 0, v17
	v_cndmask_b32_e64 v0, 0, v0, s[28:29]
	v_mov_b32_e32 v19, 0x78
	v_cndmask_b32_e32 v19, v0, v19, vcc
	v_or_b32_e32 v2, 0x800000, v1
	v_add_u32_e32 v0, 20, v19
	v_cndmask_b32_e32 v20, v2, v1, vcc
	v_lshlrev_b64 v[0:1], v0, -1
	v_add_u32_e32 v2, 19, v19
	v_lshlrev_b64 v[25:26], v2, 1
	v_bfi_b32 v1, v1, 0, 0
	v_bfi_b32 v0, v0, 0, v20
	v_cmp_eq_u64_e64 s[28:29], v[0:1], v[25:26]
	v_lshrrev_b64 v[0:1], v19, v[20:21]
	v_mov_b32_e32 v2, v1
	v_mov_b32_e32 v1, v0
	s_and_saveexec_b64 s[48:49], s[28:29]
; %bb.2945:                             ;   in Loop: Header=BB6_2609 Depth=4
	v_bfe_u32 v1, v0, 20, 1
	v_add_co_u32_e64 v1, s[28:29], v0, v1
	v_add_co_u32_e64 v1, s[28:29], -1, v1
; %bb.2946:                             ;   in Loop: Header=BB6_2609 Depth=4
	s_or_b64 exec, exec, s[48:49]
	v_add_u32_e32 v2, 0xffffff81, v17
	v_mov_b32_e32 v17, 0xffffff82
	v_cndmask_b32_e32 v2, v2, v17, vcc
	v_lshrrev_b32_e32 v17, 23, v0
	v_add3_u32 v19, v19, v2, v17
	v_add_u32_e32 v17, 6, v19
	v_and_b32_e32 v1, 0xfffff, v1
	v_add_u32_e32 v20, v1, v0
	v_cmp_ne_u32_e32 vcc, 0, v17
                                        ; implicit-def: $vgpr0_vgpr1
                                        ; implicit-def: $vgpr2
	s_and_saveexec_b64 s[28:29], vcc
	s_xor_b64 s[28:29], exec, s[28:29]
; %bb.2947:                             ;   in Loop: Header=BB6_2609 Depth=4
	v_cmp_lt_u64_e32 vcc, s[88:89], v[20:21]
	v_add_u32_e32 v0, 7, v19
	v_cndmask_b32_e32 v2, v17, v0, vcc
	v_cndmask_b32_e64 v0, 0, 1, vcc
	v_lshrrev_b64 v[0:1], v0, v[20:21]
; %bb.2948:                             ;   in Loop: Header=BB6_2609 Depth=4
	s_andn2_saveexec_b64 s[28:29], s[28:29]
; %bb.2949:                             ;   in Loop: Header=BB6_2609 Depth=4
	v_mov_b32_e32 v0, v20
	v_bfe_u32 v2, v20, 23, 1
	v_mov_b32_e32 v1, v21
; %bb.2950:                             ;   in Loop: Header=BB6_2609 Depth=4
	s_or_b64 exec, exec, s[28:29]
	v_lshrrev_b64 v[0:1], 20, v[0:1]
	v_cmp_gt_i32_e32 vcc, 16, v2
	v_cndmask_b32_e32 v1, 0, v1, vcc
	v_cndmask_b32_e32 v0, 7, v0, vcc
	v_cmp_ne_u64_e32 vcc, 0, v[0:1]
	v_cmp_ne_u32_e64 s[28:29], 0, v2
	s_or_b64 s[28:29], s[28:29], vcc
                                        ; implicit-def: $vgpr40
	s_and_saveexec_b64 vcc, s[28:29]
	s_xor_b64 s[28:29], exec, vcc
; %bb.2951:                             ;   in Loop: Header=BB6_2609 Depth=4
	v_min_i32_e32 v1, 15, v2
	v_lshl_or_b32 v1, v1, 3, v16
	v_and_or_b32 v40, v0, 7, v1
                                        ; implicit-def: $vgpr16
; %bb.2952:                             ;   in Loop: Header=BB6_2609 Depth=4
	s_andn2_saveexec_b64 s[28:29], s[28:29]
; %bb.2953:                             ;   in Loop: Header=BB6_2609 Depth=4
	v_mov_b32_e32 v40, v16
; %bb.2954:                             ;   in Loop: Header=BB6_2609 Depth=4
	s_or_b64 exec, exec, s[28:29]
.LBB6_2955:                             ;   in Loop: Header=BB6_2609 Depth=4
	s_or_b64 exec, exec, s[38:39]
                                        ; implicit-def: $vgpr16
.LBB6_2956:                             ;   in Loop: Header=BB6_2609 Depth=4
	s_andn2_saveexec_b64 s[28:29], s[36:37]
; %bb.2957:                             ;   in Loop: Header=BB6_2609 Depth=4
	v_or_b32_e32 v40, 0x7e, v16
; %bb.2958:                             ;   in Loop: Header=BB6_2609 Depth=4
	s_or_b64 exec, exec, s[28:29]
                                        ; implicit-def: $vgpr0
.LBB6_2959:                             ;   in Loop: Header=BB6_2609 Depth=4
	s_andn2_saveexec_b64 s[28:29], s[34:35]
; %bb.2960:                             ;   in Loop: Header=BB6_2609 Depth=4
	v_or_b32_sdwa v40, v0, s81 dst_sel:DWORD dst_unused:UNUSED_PAD src0_sel:BYTE_3 src1_sel:DWORD
; %bb.2961:                             ;   in Loop: Header=BB6_2609 Depth=4
	s_or_b64 exec, exec, s[28:29]
	v_and_b32_e32 v0, 0xff, v24
	v_cmp_ne_u16_e32 vcc, 0, v0
	v_mov_b32_e32 v1, 0
	v_mov_b32_e32 v2, 0
	s_and_saveexec_b64 s[28:29], vcc
	s_cbranch_execz .LBB6_2967
; %bb.2962:                             ;   in Loop: Header=BB6_2609 Depth=4
	v_cmp_ne_u16_e32 vcc, s80, v0
	v_bfrev_b32_e32 v2, 1
	s_and_saveexec_b64 s[34:35], vcc
	s_cbranch_execz .LBB6_2966
; %bb.2963:                             ;   in Loop: Header=BB6_2609 Depth=4
	v_and_b32_e32 v16, 0x7f, v24
	v_cmp_ne_u32_e32 vcc, s81, v16
	v_mov_b32_e32 v2, 0x7f800001
	s_and_saveexec_b64 s[36:37], vcc
	s_cbranch_execz .LBB6_2965
; %bb.2964:                             ;   in Loop: Header=BB6_2609 Depth=4
	v_and_b32_e32 v2, 7, v0
	v_lshrrev_b32_e32 v19, 3, v16
	v_cmp_gt_u32_e32 vcc, 8, v16
	v_ffbh_u32_e32 v16, v2
	v_min_u32_e32 v20, 32, v16
	v_subrev_u32_e32 v16, 28, v20
	v_lshlrev_b64 v[16:17], v16, v[0:1]
	v_sub_u32_e32 v0, 29, v20
	v_and_b32_e32 v16, 7, v16
	v_cndmask_b32_e32 v0, v19, v0, vcc
	v_cndmask_b32_e32 v2, v2, v16, vcc
	v_lshlrev_b32_e32 v16, 24, v24
	v_bfrev_b32_e32 v17, 60
	v_lshlrev_b32_e32 v2, 20, v2
	v_and_b32_e32 v16, 0x80000000, v16
	v_lshl_add_u32 v0, v0, 23, v17
	v_or3_b32 v2, v16, v0, v2
.LBB6_2965:                             ;   in Loop: Header=BB6_2609 Depth=4
	s_or_b64 exec, exec, s[36:37]
.LBB6_2966:                             ;   in Loop: Header=BB6_2609 Depth=4
	s_or_b64 exec, exec, s[34:35]
.LBB6_2967:                             ;   in Loop: Header=BB6_2609 Depth=4
	s_or_b64 exec, exec, s[28:29]
	v_and_b32_e32 v0, 0xff, v44
	v_cmp_ne_u16_e32 vcc, 0, v0
	s_and_saveexec_b64 s[28:29], vcc
	s_cbranch_execz .LBB6_2973
; %bb.2968:                             ;   in Loop: Header=BB6_2609 Depth=4
	v_cmp_ne_u16_e32 vcc, s80, v0
	v_bfrev_b32_e32 v1, 1
	s_and_saveexec_b64 s[34:35], vcc
	s_cbranch_execz .LBB6_2972
; %bb.2969:                             ;   in Loop: Header=BB6_2609 Depth=4
	v_and_b32_e32 v16, 0x7f, v44
	v_cmp_ne_u32_e32 vcc, s81, v16
	v_mov_b32_e32 v1, 0x7f800001
	s_and_saveexec_b64 s[36:37], vcc
	s_cbranch_execz .LBB6_2971
; %bb.2970:                             ;   in Loop: Header=BB6_2609 Depth=4
	v_and_b32_e32 v17, 7, v0
	v_ffbh_u32_e32 v1, v17
	v_lshrrev_b32_e32 v19, 3, v16
	v_cmp_gt_u32_e32 vcc, 8, v16
	v_min_u32_e32 v16, 32, v1
	v_subrev_u32_e32 v1, 28, v16
	v_lshlrev_b64 v[0:1], v1, v[0:1]
	v_sub_u32_e32 v1, 29, v16
	v_and_b32_e32 v0, 7, v0
	v_cndmask_b32_e32 v1, v19, v1, vcc
	v_cndmask_b32_e32 v0, v17, v0, vcc
	v_lshlrev_b32_e32 v16, 24, v44
	v_bfrev_b32_e32 v17, 60
	v_lshlrev_b32_e32 v0, 20, v0
	v_and_b32_e32 v16, 0x80000000, v16
	v_lshl_add_u32 v1, v1, 23, v17
	v_or3_b32 v1, v16, v1, v0
.LBB6_2971:                             ;   in Loop: Header=BB6_2609 Depth=4
	s_or_b64 exec, exec, s[36:37]
.LBB6_2972:                             ;   in Loop: Header=BB6_2609 Depth=4
	s_or_b64 exec, exec, s[34:35]
.LBB6_2973:                             ;   in Loop: Header=BB6_2609 Depth=4
	s_or_b64 exec, exec, s[28:29]
	v_mul_f32_e32 v0, v2, v1
	v_and_b32_e32 v20, 0x7f800000, v0
	v_cmp_ne_u64_e32 vcc, s[62:63], v[20:21]
                                        ; implicit-def: $vgpr44
	s_and_saveexec_b64 s[28:29], vcc
	s_xor_b64 s[34:35], exec, s[28:29]
	s_cbranch_execz .LBB6_2991
; %bb.2974:                             ;   in Loop: Header=BB6_2609 Depth=4
	v_and_b32_e32 v20, 0x7fffffff, v0
	v_cmp_gt_u64_e32 vcc, s[78:79], v[20:21]
	v_and_b32_sdwa v16, v0, s80 dst_sel:DWORD dst_unused:UNUSED_PAD src0_sel:BYTE_3 src1_sel:DWORD
                                        ; implicit-def: $vgpr44
	s_and_saveexec_b64 s[28:29], vcc
	s_xor_b64 s[36:37], exec, s[28:29]
	s_cbranch_execz .LBB6_2988
; %bb.2975:                             ;   in Loop: Header=BB6_2609 Depth=4
	v_cmp_ne_u32_e32 vcc, 0, v0
	v_mov_b32_e32 v44, 0
	s_and_saveexec_b64 s[38:39], vcc
	s_cbranch_execz .LBB6_2987
; %bb.2976:                             ;   in Loop: Header=BB6_2609 Depth=4
	v_bfe_u32 v17, v0, 23, 8
	v_and_b32_e32 v1, 0x7fffff, v0
	v_cmp_gt_u32_e64 s[28:29], s47, v17
	v_sub_u32_e32 v0, 0x79, v17
	v_cmp_eq_u32_e32 vcc, 0, v17
	v_cndmask_b32_e64 v0, 0, v0, s[28:29]
	v_mov_b32_e32 v19, 0x78
	v_cndmask_b32_e32 v19, v0, v19, vcc
	v_or_b32_e32 v2, 0x800000, v1
	v_add_u32_e32 v0, 20, v19
	v_cndmask_b32_e32 v20, v2, v1, vcc
	v_lshlrev_b64 v[0:1], v0, -1
	v_add_u32_e32 v2, 19, v19
	v_lshlrev_b64 v[24:25], v2, 1
	v_bfi_b32 v1, v1, 0, 0
	v_bfi_b32 v0, v0, 0, v20
	v_cmp_eq_u64_e64 s[28:29], v[0:1], v[24:25]
	v_lshrrev_b64 v[0:1], v19, v[20:21]
	v_mov_b32_e32 v2, v1
	v_mov_b32_e32 v1, v0
	s_and_saveexec_b64 s[48:49], s[28:29]
; %bb.2977:                             ;   in Loop: Header=BB6_2609 Depth=4
	v_bfe_u32 v1, v0, 20, 1
	v_add_co_u32_e64 v1, s[28:29], v0, v1
	v_add_co_u32_e64 v1, s[28:29], -1, v1
; %bb.2978:                             ;   in Loop: Header=BB6_2609 Depth=4
	s_or_b64 exec, exec, s[48:49]
	v_add_u32_e32 v2, 0xffffff81, v17
	v_mov_b32_e32 v17, 0xffffff82
	v_cndmask_b32_e32 v2, v2, v17, vcc
	v_lshrrev_b32_e32 v17, 23, v0
	v_add3_u32 v19, v19, v2, v17
	v_add_u32_e32 v17, 6, v19
	v_and_b32_e32 v1, 0xfffff, v1
	v_add_u32_e32 v20, v1, v0
	v_cmp_ne_u32_e32 vcc, 0, v17
                                        ; implicit-def: $vgpr0_vgpr1
                                        ; implicit-def: $vgpr2
	s_and_saveexec_b64 s[28:29], vcc
	s_xor_b64 s[28:29], exec, s[28:29]
; %bb.2979:                             ;   in Loop: Header=BB6_2609 Depth=4
	v_cmp_lt_u64_e32 vcc, s[88:89], v[20:21]
	v_add_u32_e32 v0, 7, v19
	v_cndmask_b32_e32 v2, v17, v0, vcc
	v_cndmask_b32_e64 v0, 0, 1, vcc
	v_lshrrev_b64 v[0:1], v0, v[20:21]
; %bb.2980:                             ;   in Loop: Header=BB6_2609 Depth=4
	s_andn2_saveexec_b64 s[28:29], s[28:29]
; %bb.2981:                             ;   in Loop: Header=BB6_2609 Depth=4
	v_mov_b32_e32 v0, v20
	v_bfe_u32 v2, v20, 23, 1
	v_mov_b32_e32 v1, v21
; %bb.2982:                             ;   in Loop: Header=BB6_2609 Depth=4
	s_or_b64 exec, exec, s[28:29]
	v_lshrrev_b64 v[0:1], 20, v[0:1]
	v_cmp_gt_i32_e32 vcc, 16, v2
	v_cndmask_b32_e32 v1, 0, v1, vcc
	v_cndmask_b32_e32 v0, 7, v0, vcc
	v_cmp_ne_u64_e32 vcc, 0, v[0:1]
	v_cmp_ne_u32_e64 s[28:29], 0, v2
	s_or_b64 s[28:29], s[28:29], vcc
                                        ; implicit-def: $vgpr44
	s_and_saveexec_b64 vcc, s[28:29]
	s_xor_b64 s[28:29], exec, vcc
; %bb.2983:                             ;   in Loop: Header=BB6_2609 Depth=4
	v_min_i32_e32 v1, 15, v2
	v_lshl_or_b32 v1, v1, 3, v16
	v_and_or_b32 v44, v0, 7, v1
                                        ; implicit-def: $vgpr16
; %bb.2984:                             ;   in Loop: Header=BB6_2609 Depth=4
	s_andn2_saveexec_b64 s[28:29], s[28:29]
; %bb.2985:                             ;   in Loop: Header=BB6_2609 Depth=4
	v_mov_b32_e32 v44, v16
; %bb.2986:                             ;   in Loop: Header=BB6_2609 Depth=4
	s_or_b64 exec, exec, s[28:29]
.LBB6_2987:                             ;   in Loop: Header=BB6_2609 Depth=4
	s_or_b64 exec, exec, s[38:39]
                                        ; implicit-def: $vgpr16
.LBB6_2988:                             ;   in Loop: Header=BB6_2609 Depth=4
	s_andn2_saveexec_b64 s[28:29], s[36:37]
; %bb.2989:                             ;   in Loop: Header=BB6_2609 Depth=4
	v_or_b32_e32 v44, 0x7e, v16
; %bb.2990:                             ;   in Loop: Header=BB6_2609 Depth=4
	s_or_b64 exec, exec, s[28:29]
                                        ; implicit-def: $vgpr0
.LBB6_2991:                             ;   in Loop: Header=BB6_2609 Depth=4
	s_andn2_saveexec_b64 s[28:29], s[34:35]
; %bb.2992:                             ;   in Loop: Header=BB6_2609 Depth=4
	v_or_b32_sdwa v44, v0, s81 dst_sel:DWORD dst_unused:UNUSED_PAD src0_sel:BYTE_3 src1_sel:DWORD
; %bb.2993:                             ;   in Loop: Header=BB6_2609 Depth=4
	s_or_b64 exec, exec, s[28:29]
	v_and_b32_e32 v0, 0xff, v23
	v_cmp_ne_u16_e32 vcc, 0, v0
	v_mov_b32_e32 v1, 0
	v_mov_b32_e32 v2, 0
	s_and_saveexec_b64 s[28:29], vcc
	s_cbranch_execz .LBB6_2999
; %bb.2994:                             ;   in Loop: Header=BB6_2609 Depth=4
	v_cmp_ne_u16_e32 vcc, s80, v0
	v_bfrev_b32_e32 v2, 1
	s_and_saveexec_b64 s[34:35], vcc
	s_cbranch_execz .LBB6_2998
; %bb.2995:                             ;   in Loop: Header=BB6_2609 Depth=4
	v_and_b32_e32 v16, 0x7f, v23
	v_cmp_ne_u32_e32 vcc, s81, v16
	v_mov_b32_e32 v2, 0x7f800001
	s_and_saveexec_b64 s[36:37], vcc
	s_cbranch_execz .LBB6_2997
; %bb.2996:                             ;   in Loop: Header=BB6_2609 Depth=4
	v_and_b32_e32 v2, 7, v0
	v_lshrrev_b32_e32 v19, 3, v16
	v_cmp_gt_u32_e32 vcc, 8, v16
	v_ffbh_u32_e32 v16, v2
	v_min_u32_e32 v20, 32, v16
	v_subrev_u32_e32 v16, 28, v20
	v_lshlrev_b64 v[16:17], v16, v[0:1]
	v_sub_u32_e32 v0, 29, v20
	v_and_b32_e32 v16, 7, v16
	v_cndmask_b32_e32 v0, v19, v0, vcc
	v_cndmask_b32_e32 v2, v2, v16, vcc
	v_lshlrev_b32_e32 v16, 24, v23
	v_bfrev_b32_e32 v17, 60
	v_lshlrev_b32_e32 v2, 20, v2
	v_and_b32_e32 v16, 0x80000000, v16
	v_lshl_add_u32 v0, v0, 23, v17
	v_or3_b32 v2, v16, v0, v2
.LBB6_2997:                             ;   in Loop: Header=BB6_2609 Depth=4
	s_or_b64 exec, exec, s[36:37]
.LBB6_2998:                             ;   in Loop: Header=BB6_2609 Depth=4
	s_or_b64 exec, exec, s[34:35]
.LBB6_2999:                             ;   in Loop: Header=BB6_2609 Depth=4
	s_or_b64 exec, exec, s[28:29]
	v_and_b32_e32 v0, 0xff, v57
	v_cmp_ne_u16_e32 vcc, 0, v0
	s_and_saveexec_b64 s[28:29], vcc
	s_cbranch_execz .LBB6_3005
; %bb.3000:                             ;   in Loop: Header=BB6_2609 Depth=4
	v_cmp_ne_u16_e32 vcc, s80, v0
	v_bfrev_b32_e32 v1, 1
	s_and_saveexec_b64 s[34:35], vcc
	s_cbranch_execz .LBB6_3004
; %bb.3001:                             ;   in Loop: Header=BB6_2609 Depth=4
	v_and_b32_e32 v16, 0x7f, v57
	v_cmp_ne_u32_e32 vcc, s81, v16
	v_mov_b32_e32 v1, 0x7f800001
	s_and_saveexec_b64 s[36:37], vcc
	s_cbranch_execz .LBB6_3003
; %bb.3002:                             ;   in Loop: Header=BB6_2609 Depth=4
	v_and_b32_e32 v17, 7, v0
	v_ffbh_u32_e32 v1, v17
	v_lshrrev_b32_e32 v19, 3, v16
	v_cmp_gt_u32_e32 vcc, 8, v16
	v_min_u32_e32 v16, 32, v1
	v_subrev_u32_e32 v1, 28, v16
	v_lshlrev_b64 v[0:1], v1, v[0:1]
	v_sub_u32_e32 v1, 29, v16
	v_and_b32_e32 v0, 7, v0
	v_cndmask_b32_e32 v1, v19, v1, vcc
	v_cndmask_b32_e32 v0, v17, v0, vcc
	v_lshlrev_b32_e32 v16, 24, v57
	v_bfrev_b32_e32 v17, 60
	v_lshlrev_b32_e32 v0, 20, v0
	v_and_b32_e32 v16, 0x80000000, v16
	v_lshl_add_u32 v1, v1, 23, v17
	v_or3_b32 v1, v16, v1, v0
.LBB6_3003:                             ;   in Loop: Header=BB6_2609 Depth=4
	s_or_b64 exec, exec, s[36:37]
.LBB6_3004:                             ;   in Loop: Header=BB6_2609 Depth=4
	s_or_b64 exec, exec, s[34:35]
.LBB6_3005:                             ;   in Loop: Header=BB6_2609 Depth=4
	s_or_b64 exec, exec, s[28:29]
	v_mul_f32_e32 v0, v2, v1
	v_and_b32_e32 v20, 0x7f800000, v0
	v_cmp_ne_u64_e32 vcc, s[62:63], v[20:21]
                                        ; implicit-def: $vgpr57
	s_and_saveexec_b64 s[28:29], vcc
	s_xor_b64 s[34:35], exec, s[28:29]
	s_cbranch_execz .LBB6_3023
; %bb.3006:                             ;   in Loop: Header=BB6_2609 Depth=4
	v_and_b32_e32 v20, 0x7fffffff, v0
	v_cmp_gt_u64_e32 vcc, s[78:79], v[20:21]
	v_and_b32_sdwa v16, v0, s80 dst_sel:DWORD dst_unused:UNUSED_PAD src0_sel:BYTE_3 src1_sel:DWORD
                                        ; implicit-def: $vgpr57
	s_and_saveexec_b64 s[28:29], vcc
	s_xor_b64 s[36:37], exec, s[28:29]
	s_cbranch_execz .LBB6_3020
; %bb.3007:                             ;   in Loop: Header=BB6_2609 Depth=4
	v_cmp_ne_u32_e32 vcc, 0, v0
	v_mov_b32_e32 v57, 0
	s_and_saveexec_b64 s[38:39], vcc
	s_cbranch_execz .LBB6_3019
; %bb.3008:                             ;   in Loop: Header=BB6_2609 Depth=4
	v_bfe_u32 v17, v0, 23, 8
	v_and_b32_e32 v1, 0x7fffff, v0
	v_cmp_gt_u32_e64 s[28:29], s47, v17
	v_sub_u32_e32 v0, 0x79, v17
	v_cmp_eq_u32_e32 vcc, 0, v17
	v_cndmask_b32_e64 v0, 0, v0, s[28:29]
	v_mov_b32_e32 v19, 0x78
	v_cndmask_b32_e32 v19, v0, v19, vcc
	v_or_b32_e32 v2, 0x800000, v1
	v_add_u32_e32 v0, 20, v19
	v_cndmask_b32_e32 v20, v2, v1, vcc
	v_lshlrev_b64 v[0:1], v0, -1
	v_add_u32_e32 v2, 19, v19
	v_lshlrev_b64 v[22:23], v2, 1
	v_bfi_b32 v1, v1, 0, 0
	v_bfi_b32 v0, v0, 0, v20
	v_cmp_eq_u64_e64 s[28:29], v[0:1], v[22:23]
	v_lshrrev_b64 v[0:1], v19, v[20:21]
	v_mov_b32_e32 v2, v1
	v_mov_b32_e32 v1, v0
	s_and_saveexec_b64 s[48:49], s[28:29]
; %bb.3009:                             ;   in Loop: Header=BB6_2609 Depth=4
	v_bfe_u32 v1, v0, 20, 1
	v_add_co_u32_e64 v1, s[28:29], v0, v1
	v_add_co_u32_e64 v1, s[28:29], -1, v1
; %bb.3010:                             ;   in Loop: Header=BB6_2609 Depth=4
	s_or_b64 exec, exec, s[48:49]
	v_add_u32_e32 v2, 0xffffff81, v17
	v_mov_b32_e32 v17, 0xffffff82
	v_cndmask_b32_e32 v2, v2, v17, vcc
	v_lshrrev_b32_e32 v17, 23, v0
	v_add3_u32 v19, v19, v2, v17
	v_add_u32_e32 v17, 6, v19
	v_and_b32_e32 v1, 0xfffff, v1
	v_add_u32_e32 v20, v1, v0
	v_cmp_ne_u32_e32 vcc, 0, v17
                                        ; implicit-def: $vgpr0_vgpr1
                                        ; implicit-def: $vgpr2
	s_and_saveexec_b64 s[28:29], vcc
	s_xor_b64 s[28:29], exec, s[28:29]
; %bb.3011:                             ;   in Loop: Header=BB6_2609 Depth=4
	v_cmp_lt_u64_e32 vcc, s[88:89], v[20:21]
	v_add_u32_e32 v0, 7, v19
	v_cndmask_b32_e32 v2, v17, v0, vcc
	v_cndmask_b32_e64 v0, 0, 1, vcc
	v_lshrrev_b64 v[0:1], v0, v[20:21]
; %bb.3012:                             ;   in Loop: Header=BB6_2609 Depth=4
	s_andn2_saveexec_b64 s[28:29], s[28:29]
; %bb.3013:                             ;   in Loop: Header=BB6_2609 Depth=4
	v_mov_b32_e32 v0, v20
	v_bfe_u32 v2, v20, 23, 1
	v_mov_b32_e32 v1, v21
; %bb.3014:                             ;   in Loop: Header=BB6_2609 Depth=4
	s_or_b64 exec, exec, s[28:29]
	v_lshrrev_b64 v[0:1], 20, v[0:1]
	v_cmp_gt_i32_e32 vcc, 16, v2
	v_cndmask_b32_e32 v1, 0, v1, vcc
	v_cndmask_b32_e32 v0, 7, v0, vcc
	v_cmp_ne_u64_e32 vcc, 0, v[0:1]
	v_cmp_ne_u32_e64 s[28:29], 0, v2
	s_or_b64 s[28:29], s[28:29], vcc
                                        ; implicit-def: $vgpr57
	s_and_saveexec_b64 vcc, s[28:29]
	s_xor_b64 s[28:29], exec, vcc
; %bb.3015:                             ;   in Loop: Header=BB6_2609 Depth=4
	v_min_i32_e32 v1, 15, v2
	v_lshl_or_b32 v1, v1, 3, v16
	v_and_or_b32 v57, v0, 7, v1
                                        ; implicit-def: $vgpr16
; %bb.3016:                             ;   in Loop: Header=BB6_2609 Depth=4
	s_andn2_saveexec_b64 s[28:29], s[28:29]
; %bb.3017:                             ;   in Loop: Header=BB6_2609 Depth=4
	v_mov_b32_e32 v57, v16
; %bb.3018:                             ;   in Loop: Header=BB6_2609 Depth=4
	s_or_b64 exec, exec, s[28:29]
.LBB6_3019:                             ;   in Loop: Header=BB6_2609 Depth=4
	s_or_b64 exec, exec, s[38:39]
                                        ; implicit-def: $vgpr16
.LBB6_3020:                             ;   in Loop: Header=BB6_2609 Depth=4
	s_andn2_saveexec_b64 s[28:29], s[36:37]
; %bb.3021:                             ;   in Loop: Header=BB6_2609 Depth=4
	v_or_b32_e32 v57, 0x7e, v16
; %bb.3022:                             ;   in Loop: Header=BB6_2609 Depth=4
	s_or_b64 exec, exec, s[28:29]
                                        ; implicit-def: $vgpr0
.LBB6_3023:                             ;   in Loop: Header=BB6_2609 Depth=4
	s_andn2_saveexec_b64 s[28:29], s[34:35]
; %bb.3024:                             ;   in Loop: Header=BB6_2609 Depth=4
	v_or_b32_sdwa v57, v0, s81 dst_sel:DWORD dst_unused:UNUSED_PAD src0_sel:BYTE_3 src1_sel:DWORD
; %bb.3025:                             ;   in Loop: Header=BB6_2609 Depth=4
	s_or_b64 exec, exec, s[28:29]
	v_and_b32_e32 v0, 0xff, v18
	v_cmp_ne_u16_e32 vcc, 0, v0
	v_mov_b32_e32 v1, 0
	v_mov_b32_e32 v2, 0
	s_and_saveexec_b64 s[28:29], vcc
	s_cbranch_execz .LBB6_3031
; %bb.3026:                             ;   in Loop: Header=BB6_2609 Depth=4
	v_cmp_ne_u16_e32 vcc, s80, v0
	v_bfrev_b32_e32 v2, 1
	s_and_saveexec_b64 s[34:35], vcc
	s_cbranch_execz .LBB6_3030
; %bb.3027:                             ;   in Loop: Header=BB6_2609 Depth=4
	v_and_b32_e32 v16, 0x7f, v18
	v_cmp_ne_u32_e32 vcc, s81, v16
	v_mov_b32_e32 v2, 0x7f800001
	s_and_saveexec_b64 s[36:37], vcc
	s_cbranch_execz .LBB6_3029
; %bb.3028:                             ;   in Loop: Header=BB6_2609 Depth=4
	v_and_b32_e32 v2, 7, v0
	v_lshrrev_b32_e32 v19, 3, v16
	v_cmp_gt_u32_e32 vcc, 8, v16
	v_ffbh_u32_e32 v16, v2
	v_min_u32_e32 v20, 32, v16
	v_subrev_u32_e32 v16, 28, v20
	v_lshlrev_b64 v[16:17], v16, v[0:1]
	v_sub_u32_e32 v0, 29, v20
	v_and_b32_e32 v16, 7, v16
	v_cndmask_b32_e32 v0, v19, v0, vcc
	v_cndmask_b32_e32 v2, v2, v16, vcc
	v_lshlrev_b32_e32 v16, 24, v18
	v_bfrev_b32_e32 v17, 60
	v_lshlrev_b32_e32 v2, 20, v2
	v_and_b32_e32 v16, 0x80000000, v16
	v_lshl_add_u32 v0, v0, 23, v17
	v_or3_b32 v2, v16, v0, v2
.LBB6_3029:                             ;   in Loop: Header=BB6_2609 Depth=4
	s_or_b64 exec, exec, s[36:37]
.LBB6_3030:                             ;   in Loop: Header=BB6_2609 Depth=4
	s_or_b64 exec, exec, s[34:35]
.LBB6_3031:                             ;   in Loop: Header=BB6_2609 Depth=4
	s_or_b64 exec, exec, s[28:29]
	v_and_b32_e32 v0, 0xff, v60
	v_cmp_ne_u16_e32 vcc, 0, v0
	s_and_saveexec_b64 s[28:29], vcc
	s_cbranch_execz .LBB6_3037
; %bb.3032:                             ;   in Loop: Header=BB6_2609 Depth=4
	v_cmp_ne_u16_e32 vcc, s80, v0
	v_bfrev_b32_e32 v1, 1
	s_and_saveexec_b64 s[34:35], vcc
	s_cbranch_execz .LBB6_3036
; %bb.3033:                             ;   in Loop: Header=BB6_2609 Depth=4
	v_and_b32_e32 v16, 0x7f, v60
	v_cmp_ne_u32_e32 vcc, s81, v16
	v_mov_b32_e32 v1, 0x7f800001
	s_and_saveexec_b64 s[36:37], vcc
	s_cbranch_execz .LBB6_3035
; %bb.3034:                             ;   in Loop: Header=BB6_2609 Depth=4
	v_and_b32_e32 v17, 7, v0
	v_ffbh_u32_e32 v1, v17
	v_lshrrev_b32_e32 v18, 3, v16
	v_cmp_gt_u32_e32 vcc, 8, v16
	v_min_u32_e32 v16, 32, v1
	v_subrev_u32_e32 v1, 28, v16
	v_lshlrev_b64 v[0:1], v1, v[0:1]
	v_sub_u32_e32 v1, 29, v16
	v_and_b32_e32 v0, 7, v0
	v_cndmask_b32_e32 v1, v18, v1, vcc
	v_cndmask_b32_e32 v0, v17, v0, vcc
	v_lshlrev_b32_e32 v16, 24, v60
	v_bfrev_b32_e32 v17, 60
	v_lshlrev_b32_e32 v0, 20, v0
	v_and_b32_e32 v16, 0x80000000, v16
	v_lshl_add_u32 v1, v1, 23, v17
	v_or3_b32 v1, v16, v1, v0
.LBB6_3035:                             ;   in Loop: Header=BB6_2609 Depth=4
	s_or_b64 exec, exec, s[36:37]
.LBB6_3036:                             ;   in Loop: Header=BB6_2609 Depth=4
	s_or_b64 exec, exec, s[34:35]
.LBB6_3037:                             ;   in Loop: Header=BB6_2609 Depth=4
	s_or_b64 exec, exec, s[28:29]
	v_mul_f32_e32 v0, v2, v1
	v_and_b32_e32 v20, 0x7f800000, v0
	v_cmp_ne_u64_e32 vcc, s[62:63], v[20:21]
                                        ; implicit-def: $vgpr60
	s_and_saveexec_b64 s[28:29], vcc
	s_xor_b64 s[34:35], exec, s[28:29]
	s_cbranch_execz .LBB6_3055
; %bb.3038:                             ;   in Loop: Header=BB6_2609 Depth=4
	v_and_b32_e32 v20, 0x7fffffff, v0
	v_cmp_gt_u64_e32 vcc, s[78:79], v[20:21]
	v_and_b32_sdwa v16, v0, s80 dst_sel:DWORD dst_unused:UNUSED_PAD src0_sel:BYTE_3 src1_sel:DWORD
                                        ; implicit-def: $vgpr60
	s_and_saveexec_b64 s[28:29], vcc
	s_xor_b64 s[36:37], exec, s[28:29]
	s_cbranch_execz .LBB6_3052
; %bb.3039:                             ;   in Loop: Header=BB6_2609 Depth=4
	v_cmp_ne_u32_e32 vcc, 0, v0
	v_mov_b32_e32 v60, 0
	s_and_saveexec_b64 s[38:39], vcc
	s_cbranch_execz .LBB6_3051
; %bb.3040:                             ;   in Loop: Header=BB6_2609 Depth=4
	v_bfe_u32 v17, v0, 23, 8
	v_and_b32_e32 v1, 0x7fffff, v0
	v_cmp_gt_u32_e64 s[28:29], s47, v17
	v_sub_u32_e32 v0, 0x79, v17
	v_cmp_eq_u32_e32 vcc, 0, v17
	v_cndmask_b32_e64 v0, 0, v0, s[28:29]
	v_mov_b32_e32 v18, 0x78
	v_cndmask_b32_e32 v18, v0, v18, vcc
	v_or_b32_e32 v2, 0x800000, v1
	v_add_u32_e32 v0, 20, v18
	v_cndmask_b32_e32 v20, v2, v1, vcc
	v_lshlrev_b64 v[0:1], v0, -1
	v_add_u32_e32 v2, 19, v18
	v_lshlrev_b64 v[22:23], v2, 1
	v_bfi_b32 v1, v1, 0, 0
	v_bfi_b32 v0, v0, 0, v20
	v_cmp_eq_u64_e64 s[28:29], v[0:1], v[22:23]
	v_lshrrev_b64 v[0:1], v18, v[20:21]
	v_mov_b32_e32 v2, v1
	v_mov_b32_e32 v1, v0
	s_and_saveexec_b64 s[48:49], s[28:29]
; %bb.3041:                             ;   in Loop: Header=BB6_2609 Depth=4
	v_bfe_u32 v1, v0, 20, 1
	v_add_co_u32_e64 v1, s[28:29], v0, v1
	v_add_co_u32_e64 v1, s[28:29], -1, v1
; %bb.3042:                             ;   in Loop: Header=BB6_2609 Depth=4
	s_or_b64 exec, exec, s[48:49]
	v_add_u32_e32 v2, 0xffffff81, v17
	v_mov_b32_e32 v17, 0xffffff82
	v_cndmask_b32_e32 v2, v2, v17, vcc
	v_lshrrev_b32_e32 v17, 23, v0
	v_add3_u32 v18, v18, v2, v17
	v_add_u32_e32 v17, 6, v18
	v_and_b32_e32 v1, 0xfffff, v1
	v_add_u32_e32 v20, v1, v0
	v_cmp_ne_u32_e32 vcc, 0, v17
                                        ; implicit-def: $vgpr0_vgpr1
                                        ; implicit-def: $vgpr2
	s_and_saveexec_b64 s[28:29], vcc
	s_xor_b64 s[28:29], exec, s[28:29]
; %bb.3043:                             ;   in Loop: Header=BB6_2609 Depth=4
	v_cmp_lt_u64_e32 vcc, s[88:89], v[20:21]
	v_add_u32_e32 v0, 7, v18
	v_cndmask_b32_e32 v2, v17, v0, vcc
	v_cndmask_b32_e64 v0, 0, 1, vcc
	v_lshrrev_b64 v[0:1], v0, v[20:21]
; %bb.3044:                             ;   in Loop: Header=BB6_2609 Depth=4
	s_andn2_saveexec_b64 s[28:29], s[28:29]
; %bb.3045:                             ;   in Loop: Header=BB6_2609 Depth=4
	v_mov_b32_e32 v0, v20
	v_bfe_u32 v2, v20, 23, 1
	v_mov_b32_e32 v1, v21
; %bb.3046:                             ;   in Loop: Header=BB6_2609 Depth=4
	s_or_b64 exec, exec, s[28:29]
	v_lshrrev_b64 v[0:1], 20, v[0:1]
	v_cmp_gt_i32_e32 vcc, 16, v2
	v_cndmask_b32_e32 v1, 0, v1, vcc
	v_cndmask_b32_e32 v0, 7, v0, vcc
	v_cmp_ne_u64_e32 vcc, 0, v[0:1]
	v_cmp_ne_u32_e64 s[28:29], 0, v2
	s_or_b64 s[28:29], s[28:29], vcc
                                        ; implicit-def: $vgpr60
	s_and_saveexec_b64 vcc, s[28:29]
	s_xor_b64 s[28:29], exec, vcc
; %bb.3047:                             ;   in Loop: Header=BB6_2609 Depth=4
	v_min_i32_e32 v1, 15, v2
	v_lshl_or_b32 v1, v1, 3, v16
	v_and_or_b32 v60, v0, 7, v1
                                        ; implicit-def: $vgpr16
; %bb.3048:                             ;   in Loop: Header=BB6_2609 Depth=4
	s_andn2_saveexec_b64 s[28:29], s[28:29]
; %bb.3049:                             ;   in Loop: Header=BB6_2609 Depth=4
	v_mov_b32_e32 v60, v16
; %bb.3050:                             ;   in Loop: Header=BB6_2609 Depth=4
	s_or_b64 exec, exec, s[28:29]
.LBB6_3051:                             ;   in Loop: Header=BB6_2609 Depth=4
	s_or_b64 exec, exec, s[38:39]
                                        ; implicit-def: $vgpr16
.LBB6_3052:                             ;   in Loop: Header=BB6_2609 Depth=4
	s_andn2_saveexec_b64 s[28:29], s[36:37]
; %bb.3053:                             ;   in Loop: Header=BB6_2609 Depth=4
	v_or_b32_e32 v60, 0x7e, v16
; %bb.3054:                             ;   in Loop: Header=BB6_2609 Depth=4
	s_or_b64 exec, exec, s[28:29]
                                        ; implicit-def: $vgpr0
.LBB6_3055:                             ;   in Loop: Header=BB6_2609 Depth=4
	s_andn2_saveexec_b64 s[28:29], s[34:35]
; %bb.3056:                             ;   in Loop: Header=BB6_2609 Depth=4
	v_or_b32_sdwa v60, v0, s81 dst_sel:DWORD dst_unused:UNUSED_PAD src0_sel:BYTE_3 src1_sel:DWORD
; %bb.3057:                             ;   in Loop: Header=BB6_2609 Depth=4
	s_or_b64 exec, exec, s[28:29]
	v_and_b32_e32 v0, 0xff, v47
	v_cmp_ne_u16_e32 vcc, 0, v0
	v_mov_b32_e32 v1, 0
	v_mov_b32_e32 v2, 0
	s_and_saveexec_b64 s[28:29], vcc
	s_cbranch_execz .LBB6_3063
; %bb.3058:                             ;   in Loop: Header=BB6_2609 Depth=4
	v_cmp_ne_u16_e32 vcc, s80, v0
	v_bfrev_b32_e32 v2, 1
	s_and_saveexec_b64 s[34:35], vcc
	s_cbranch_execz .LBB6_3062
; %bb.3059:                             ;   in Loop: Header=BB6_2609 Depth=4
	v_and_b32_e32 v16, 0x7f, v47
	v_cmp_ne_u32_e32 vcc, s81, v16
	v_mov_b32_e32 v2, 0x7f800001
	s_and_saveexec_b64 s[36:37], vcc
	s_cbranch_execz .LBB6_3061
; %bb.3060:                             ;   in Loop: Header=BB6_2609 Depth=4
	v_and_b32_e32 v2, 7, v0
	v_lshrrev_b32_e32 v18, 3, v16
	v_cmp_gt_u32_e32 vcc, 8, v16
	v_ffbh_u32_e32 v16, v2
	v_min_u32_e32 v19, 32, v16
	v_subrev_u32_e32 v16, 28, v19
	v_lshlrev_b64 v[16:17], v16, v[0:1]
	v_sub_u32_e32 v0, 29, v19
	v_and_b32_e32 v16, 7, v16
	v_cndmask_b32_e32 v0, v18, v0, vcc
	v_cndmask_b32_e32 v2, v2, v16, vcc
	v_lshlrev_b32_e32 v16, 24, v47
	v_bfrev_b32_e32 v17, 60
	v_lshlrev_b32_e32 v2, 20, v2
	v_and_b32_e32 v16, 0x80000000, v16
	v_lshl_add_u32 v0, v0, 23, v17
	v_or3_b32 v2, v16, v0, v2
.LBB6_3061:                             ;   in Loop: Header=BB6_2609 Depth=4
	s_or_b64 exec, exec, s[36:37]
.LBB6_3062:                             ;   in Loop: Header=BB6_2609 Depth=4
	s_or_b64 exec, exec, s[34:35]
.LBB6_3063:                             ;   in Loop: Header=BB6_2609 Depth=4
	s_or_b64 exec, exec, s[28:29]
	v_and_b32_e32 v0, 0xff, v15
	v_cmp_ne_u16_e32 vcc, 0, v0
	s_and_saveexec_b64 s[28:29], vcc
	s_cbranch_execz .LBB6_3069
; %bb.3064:                             ;   in Loop: Header=BB6_2609 Depth=4
	v_cmp_ne_u16_e32 vcc, s80, v0
	v_bfrev_b32_e32 v1, 1
	s_and_saveexec_b64 s[34:35], vcc
	s_cbranch_execz .LBB6_3068
; %bb.3065:                             ;   in Loop: Header=BB6_2609 Depth=4
	v_and_b32_e32 v16, 0x7f, v15
	v_cmp_ne_u32_e32 vcc, s81, v16
	v_mov_b32_e32 v1, 0x7f800001
	s_and_saveexec_b64 s[36:37], vcc
	s_cbranch_execz .LBB6_3067
; %bb.3066:                             ;   in Loop: Header=BB6_2609 Depth=4
	v_and_b32_e32 v17, 7, v0
	v_ffbh_u32_e32 v1, v17
	v_lshrrev_b32_e32 v18, 3, v16
	v_cmp_gt_u32_e32 vcc, 8, v16
	v_min_u32_e32 v16, 32, v1
	v_subrev_u32_e32 v1, 28, v16
	v_lshlrev_b64 v[0:1], v1, v[0:1]
	v_sub_u32_e32 v1, 29, v16
	v_and_b32_e32 v0, 7, v0
	v_cndmask_b32_e32 v1, v18, v1, vcc
	v_cndmask_b32_e32 v0, v17, v0, vcc
	v_lshlrev_b32_e32 v15, 24, v15
	v_bfrev_b32_e32 v16, 60
	v_lshlrev_b32_e32 v0, 20, v0
	v_and_b32_e32 v15, 0x80000000, v15
	v_lshl_add_u32 v1, v1, 23, v16
	v_or3_b32 v1, v15, v1, v0
.LBB6_3067:                             ;   in Loop: Header=BB6_2609 Depth=4
	s_or_b64 exec, exec, s[36:37]
.LBB6_3068:                             ;   in Loop: Header=BB6_2609 Depth=4
	s_or_b64 exec, exec, s[34:35]
.LBB6_3069:                             ;   in Loop: Header=BB6_2609 Depth=4
	s_or_b64 exec, exec, s[28:29]
	v_mul_f32_e32 v0, v2, v1
	v_and_b32_e32 v20, 0x7f800000, v0
	v_cmp_ne_u64_e32 vcc, s[62:63], v[20:21]
                                        ; implicit-def: $vgpr15
	s_and_saveexec_b64 s[28:29], vcc
	s_xor_b64 s[34:35], exec, s[28:29]
	s_cbranch_execz .LBB6_3087
; %bb.3070:                             ;   in Loop: Header=BB6_2609 Depth=4
	v_and_b32_e32 v20, 0x7fffffff, v0
	v_cmp_gt_u64_e32 vcc, s[78:79], v[20:21]
	v_and_b32_sdwa v16, v0, s80 dst_sel:DWORD dst_unused:UNUSED_PAD src0_sel:BYTE_3 src1_sel:DWORD
                                        ; implicit-def: $vgpr15
	s_and_saveexec_b64 s[28:29], vcc
	s_xor_b64 s[36:37], exec, s[28:29]
	s_cbranch_execz .LBB6_3084
; %bb.3071:                             ;   in Loop: Header=BB6_2609 Depth=4
	v_cmp_ne_u32_e32 vcc, 0, v0
	v_mov_b32_e32 v15, 0
	s_and_saveexec_b64 s[38:39], vcc
	s_cbranch_execz .LBB6_3083
; %bb.3072:                             ;   in Loop: Header=BB6_2609 Depth=4
	v_bfe_u32 v15, v0, 23, 8
	v_and_b32_e32 v1, 0x7fffff, v0
	v_cmp_gt_u32_e64 s[28:29], s47, v15
	v_sub_u32_e32 v0, 0x79, v15
	v_cmp_eq_u32_e32 vcc, 0, v15
	v_cndmask_b32_e64 v0, 0, v0, s[28:29]
	v_mov_b32_e32 v17, 0x78
	v_cndmask_b32_e32 v17, v0, v17, vcc
	v_or_b32_e32 v2, 0x800000, v1
	v_add_u32_e32 v0, 20, v17
	v_cndmask_b32_e32 v20, v2, v1, vcc
	v_lshlrev_b64 v[0:1], v0, -1
	v_add_u32_e32 v2, 19, v17
	v_lshlrev_b64 v[18:19], v2, 1
	v_bfi_b32 v1, v1, 0, 0
	v_bfi_b32 v0, v0, 0, v20
	v_cmp_eq_u64_e64 s[28:29], v[0:1], v[18:19]
	v_lshrrev_b64 v[0:1], v17, v[20:21]
	v_mov_b32_e32 v2, v1
	v_mov_b32_e32 v1, v0
	s_and_saveexec_b64 s[48:49], s[28:29]
; %bb.3073:                             ;   in Loop: Header=BB6_2609 Depth=4
	v_bfe_u32 v1, v0, 20, 1
	v_add_co_u32_e64 v1, s[28:29], v0, v1
	v_add_co_u32_e64 v1, s[28:29], -1, v1
; %bb.3074:                             ;   in Loop: Header=BB6_2609 Depth=4
	s_or_b64 exec, exec, s[48:49]
	v_add_u32_e32 v2, 0xffffff81, v15
	v_mov_b32_e32 v15, 0xffffff82
	v_cndmask_b32_e32 v2, v2, v15, vcc
	v_lshrrev_b32_e32 v15, 23, v0
	v_add3_u32 v17, v17, v2, v15
	v_add_u32_e32 v15, 6, v17
	v_and_b32_e32 v1, 0xfffff, v1
	v_add_u32_e32 v20, v1, v0
	v_cmp_ne_u32_e32 vcc, 0, v15
                                        ; implicit-def: $vgpr0_vgpr1
                                        ; implicit-def: $vgpr2
	s_and_saveexec_b64 s[28:29], vcc
	s_xor_b64 s[28:29], exec, s[28:29]
; %bb.3075:                             ;   in Loop: Header=BB6_2609 Depth=4
	v_cmp_lt_u64_e32 vcc, s[88:89], v[20:21]
	v_add_u32_e32 v0, 7, v17
	v_cndmask_b32_e32 v2, v15, v0, vcc
	v_cndmask_b32_e64 v0, 0, 1, vcc
	v_lshrrev_b64 v[0:1], v0, v[20:21]
; %bb.3076:                             ;   in Loop: Header=BB6_2609 Depth=4
	s_andn2_saveexec_b64 s[28:29], s[28:29]
; %bb.3077:                             ;   in Loop: Header=BB6_2609 Depth=4
	v_mov_b32_e32 v0, v20
	v_bfe_u32 v2, v20, 23, 1
	v_mov_b32_e32 v1, v21
; %bb.3078:                             ;   in Loop: Header=BB6_2609 Depth=4
	s_or_b64 exec, exec, s[28:29]
	v_lshrrev_b64 v[0:1], 20, v[0:1]
	v_cmp_gt_i32_e32 vcc, 16, v2
	v_cndmask_b32_e32 v1, 0, v1, vcc
	v_cndmask_b32_e32 v0, 7, v0, vcc
	v_cmp_ne_u64_e32 vcc, 0, v[0:1]
	v_cmp_ne_u32_e64 s[28:29], 0, v2
	s_or_b64 s[28:29], s[28:29], vcc
                                        ; implicit-def: $vgpr15
	s_and_saveexec_b64 vcc, s[28:29]
	s_xor_b64 s[28:29], exec, vcc
; %bb.3079:                             ;   in Loop: Header=BB6_2609 Depth=4
	v_min_i32_e32 v1, 15, v2
	v_lshl_or_b32 v1, v1, 3, v16
	v_and_or_b32 v15, v0, 7, v1
                                        ; implicit-def: $vgpr16
; %bb.3080:                             ;   in Loop: Header=BB6_2609 Depth=4
	s_andn2_saveexec_b64 s[28:29], s[28:29]
; %bb.3081:                             ;   in Loop: Header=BB6_2609 Depth=4
	v_mov_b32_e32 v15, v16
; %bb.3082:                             ;   in Loop: Header=BB6_2609 Depth=4
	s_or_b64 exec, exec, s[28:29]
.LBB6_3083:                             ;   in Loop: Header=BB6_2609 Depth=4
	s_or_b64 exec, exec, s[38:39]
                                        ; implicit-def: $vgpr16
.LBB6_3084:                             ;   in Loop: Header=BB6_2609 Depth=4
	s_andn2_saveexec_b64 s[28:29], s[36:37]
; %bb.3085:                             ;   in Loop: Header=BB6_2609 Depth=4
	v_or_b32_e32 v15, 0x7e, v16
; %bb.3086:                             ;   in Loop: Header=BB6_2609 Depth=4
	s_or_b64 exec, exec, s[28:29]
                                        ; implicit-def: $vgpr0
.LBB6_3087:                             ;   in Loop: Header=BB6_2609 Depth=4
	s_andn2_saveexec_b64 s[28:29], s[34:35]
; %bb.3088:                             ;   in Loop: Header=BB6_2609 Depth=4
	v_or_b32_sdwa v15, v0, s81 dst_sel:DWORD dst_unused:UNUSED_PAD src0_sel:BYTE_3 src1_sel:DWORD
; %bb.3089:                             ;   in Loop: Header=BB6_2609 Depth=4
	s_or_b64 exec, exec, s[28:29]
	v_and_b32_e32 v0, 0xff, v46
	v_cmp_ne_u16_e32 vcc, 0, v0
	v_mov_b32_e32 v1, 0
	v_mov_b32_e32 v2, 0
	s_and_saveexec_b64 s[28:29], vcc
	s_cbranch_execz .LBB6_3095
; %bb.3090:                             ;   in Loop: Header=BB6_2609 Depth=4
	v_cmp_ne_u16_e32 vcc, s80, v0
	v_bfrev_b32_e32 v2, 1
	s_and_saveexec_b64 s[34:35], vcc
	s_cbranch_execz .LBB6_3094
; %bb.3091:                             ;   in Loop: Header=BB6_2609 Depth=4
	v_and_b32_e32 v16, 0x7f, v46
	v_cmp_ne_u32_e32 vcc, s81, v16
	v_mov_b32_e32 v2, 0x7f800001
	s_and_saveexec_b64 s[36:37], vcc
	s_cbranch_execz .LBB6_3093
; %bb.3092:                             ;   in Loop: Header=BB6_2609 Depth=4
	v_and_b32_e32 v2, 7, v0
	v_lshrrev_b32_e32 v18, 3, v16
	v_cmp_gt_u32_e32 vcc, 8, v16
	v_ffbh_u32_e32 v16, v2
	v_min_u32_e32 v19, 32, v16
	v_subrev_u32_e32 v16, 28, v19
	v_lshlrev_b64 v[16:17], v16, v[0:1]
	v_sub_u32_e32 v0, 29, v19
	v_and_b32_e32 v16, 7, v16
	v_cndmask_b32_e32 v0, v18, v0, vcc
	v_cndmask_b32_e32 v2, v2, v16, vcc
	v_lshlrev_b32_e32 v16, 24, v46
	v_bfrev_b32_e32 v17, 60
	v_lshlrev_b32_e32 v2, 20, v2
	v_and_b32_e32 v16, 0x80000000, v16
	v_lshl_add_u32 v0, v0, 23, v17
	v_or3_b32 v2, v16, v0, v2
.LBB6_3093:                             ;   in Loop: Header=BB6_2609 Depth=4
	s_or_b64 exec, exec, s[36:37]
.LBB6_3094:                             ;   in Loop: Header=BB6_2609 Depth=4
	s_or_b64 exec, exec, s[34:35]
.LBB6_3095:                             ;   in Loop: Header=BB6_2609 Depth=4
	s_or_b64 exec, exec, s[28:29]
	v_and_b32_e32 v0, 0xff, v4
	v_cmp_ne_u16_e32 vcc, 0, v0
	s_and_saveexec_b64 s[28:29], vcc
	s_cbranch_execz .LBB6_3101
; %bb.3096:                             ;   in Loop: Header=BB6_2609 Depth=4
	v_cmp_ne_u16_e32 vcc, s80, v0
	v_bfrev_b32_e32 v1, 1
	s_and_saveexec_b64 s[34:35], vcc
	s_cbranch_execz .LBB6_3100
; %bb.3097:                             ;   in Loop: Header=BB6_2609 Depth=4
	v_and_b32_e32 v16, 0x7f, v4
	v_cmp_ne_u32_e32 vcc, s81, v16
	v_mov_b32_e32 v1, 0x7f800001
	s_and_saveexec_b64 s[36:37], vcc
	s_cbranch_execz .LBB6_3099
; %bb.3098:                             ;   in Loop: Header=BB6_2609 Depth=4
	v_and_b32_e32 v17, 7, v0
	v_ffbh_u32_e32 v1, v17
	v_lshrrev_b32_e32 v18, 3, v16
	v_cmp_gt_u32_e32 vcc, 8, v16
	v_min_u32_e32 v16, 32, v1
	v_subrev_u32_e32 v1, 28, v16
	v_lshlrev_b64 v[0:1], v1, v[0:1]
	v_sub_u32_e32 v1, 29, v16
	v_and_b32_e32 v0, 7, v0
	v_cndmask_b32_e32 v1, v18, v1, vcc
	v_cndmask_b32_e32 v0, v17, v0, vcc
	v_lshlrev_b32_e32 v4, 24, v4
	v_bfrev_b32_e32 v16, 60
	v_lshlrev_b32_e32 v0, 20, v0
	v_and_b32_e32 v4, 0x80000000, v4
	v_lshl_add_u32 v1, v1, 23, v16
	v_or3_b32 v1, v4, v1, v0
.LBB6_3099:                             ;   in Loop: Header=BB6_2609 Depth=4
	s_or_b64 exec, exec, s[36:37]
.LBB6_3100:                             ;   in Loop: Header=BB6_2609 Depth=4
	s_or_b64 exec, exec, s[34:35]
.LBB6_3101:                             ;   in Loop: Header=BB6_2609 Depth=4
	s_or_b64 exec, exec, s[28:29]
	v_mul_f32_e32 v0, v2, v1
	v_and_b32_e32 v20, 0x7f800000, v0
	v_cmp_ne_u64_e32 vcc, s[62:63], v[20:21]
                                        ; implicit-def: $vgpr4
	s_and_saveexec_b64 s[28:29], vcc
	s_xor_b64 s[34:35], exec, s[28:29]
	s_cbranch_execz .LBB6_3119
; %bb.3102:                             ;   in Loop: Header=BB6_2609 Depth=4
	v_and_b32_e32 v20, 0x7fffffff, v0
	v_cmp_gt_u64_e32 vcc, s[78:79], v[20:21]
	v_and_b32_sdwa v16, v0, s80 dst_sel:DWORD dst_unused:UNUSED_PAD src0_sel:BYTE_3 src1_sel:DWORD
                                        ; implicit-def: $vgpr4
	s_and_saveexec_b64 s[28:29], vcc
	s_xor_b64 s[36:37], exec, s[28:29]
	s_cbranch_execz .LBB6_3116
; %bb.3103:                             ;   in Loop: Header=BB6_2609 Depth=4
	v_cmp_ne_u32_e32 vcc, 0, v0
	v_mov_b32_e32 v4, 0
	s_and_saveexec_b64 s[38:39], vcc
	s_cbranch_execz .LBB6_3115
; %bb.3104:                             ;   in Loop: Header=BB6_2609 Depth=4
	v_bfe_u32 v4, v0, 23, 8
	v_and_b32_e32 v1, 0x7fffff, v0
	v_cmp_gt_u32_e64 s[28:29], s47, v4
	v_sub_u32_e32 v0, 0x79, v4
	v_cmp_eq_u32_e32 vcc, 0, v4
	v_cndmask_b32_e64 v0, 0, v0, s[28:29]
	v_mov_b32_e32 v17, 0x78
	v_cndmask_b32_e32 v17, v0, v17, vcc
	v_or_b32_e32 v2, 0x800000, v1
	v_add_u32_e32 v0, 20, v17
	v_cndmask_b32_e32 v20, v2, v1, vcc
	v_lshlrev_b64 v[0:1], v0, -1
	v_add_u32_e32 v2, 19, v17
	v_lshlrev_b64 v[18:19], v2, 1
	v_bfi_b32 v1, v1, 0, 0
	v_bfi_b32 v0, v0, 0, v20
	v_cmp_eq_u64_e64 s[28:29], v[0:1], v[18:19]
	v_lshrrev_b64 v[0:1], v17, v[20:21]
	v_mov_b32_e32 v2, v1
	v_mov_b32_e32 v1, v0
	s_and_saveexec_b64 s[48:49], s[28:29]
; %bb.3105:                             ;   in Loop: Header=BB6_2609 Depth=4
	v_bfe_u32 v1, v0, 20, 1
	v_add_co_u32_e64 v1, s[28:29], v0, v1
	v_add_co_u32_e64 v1, s[28:29], -1, v1
; %bb.3106:                             ;   in Loop: Header=BB6_2609 Depth=4
	s_or_b64 exec, exec, s[48:49]
	v_add_u32_e32 v2, 0xffffff81, v4
	v_mov_b32_e32 v4, 0xffffff82
	v_cndmask_b32_e32 v2, v2, v4, vcc
	v_lshrrev_b32_e32 v4, 23, v0
	v_add3_u32 v17, v17, v2, v4
	v_add_u32_e32 v4, 6, v17
	v_and_b32_e32 v1, 0xfffff, v1
	v_add_u32_e32 v20, v1, v0
	v_cmp_ne_u32_e32 vcc, 0, v4
                                        ; implicit-def: $vgpr0_vgpr1
                                        ; implicit-def: $vgpr2
	s_and_saveexec_b64 s[28:29], vcc
	s_xor_b64 s[28:29], exec, s[28:29]
; %bb.3107:                             ;   in Loop: Header=BB6_2609 Depth=4
	v_cmp_lt_u64_e32 vcc, s[88:89], v[20:21]
	v_add_u32_e32 v0, 7, v17
	v_cndmask_b32_e32 v2, v4, v0, vcc
	v_cndmask_b32_e64 v0, 0, 1, vcc
	v_lshrrev_b64 v[0:1], v0, v[20:21]
; %bb.3108:                             ;   in Loop: Header=BB6_2609 Depth=4
	s_andn2_saveexec_b64 s[28:29], s[28:29]
; %bb.3109:                             ;   in Loop: Header=BB6_2609 Depth=4
	v_mov_b32_e32 v0, v20
	v_bfe_u32 v2, v20, 23, 1
	v_mov_b32_e32 v1, v21
; %bb.3110:                             ;   in Loop: Header=BB6_2609 Depth=4
	s_or_b64 exec, exec, s[28:29]
	v_lshrrev_b64 v[0:1], 20, v[0:1]
	v_cmp_gt_i32_e32 vcc, 16, v2
	v_cndmask_b32_e32 v1, 0, v1, vcc
	v_cndmask_b32_e32 v0, 7, v0, vcc
	v_cmp_ne_u64_e32 vcc, 0, v[0:1]
	v_cmp_ne_u32_e64 s[28:29], 0, v2
	s_or_b64 s[28:29], s[28:29], vcc
                                        ; implicit-def: $vgpr4
	s_and_saveexec_b64 vcc, s[28:29]
	s_xor_b64 s[28:29], exec, vcc
; %bb.3111:                             ;   in Loop: Header=BB6_2609 Depth=4
	v_min_i32_e32 v1, 15, v2
	v_lshl_or_b32 v1, v1, 3, v16
	v_and_or_b32 v4, v0, 7, v1
                                        ; implicit-def: $vgpr16
; %bb.3112:                             ;   in Loop: Header=BB6_2609 Depth=4
	s_andn2_saveexec_b64 s[28:29], s[28:29]
; %bb.3113:                             ;   in Loop: Header=BB6_2609 Depth=4
	v_mov_b32_e32 v4, v16
; %bb.3114:                             ;   in Loop: Header=BB6_2609 Depth=4
	s_or_b64 exec, exec, s[28:29]
.LBB6_3115:                             ;   in Loop: Header=BB6_2609 Depth=4
	s_or_b64 exec, exec, s[38:39]
                                        ; implicit-def: $vgpr16
.LBB6_3116:                             ;   in Loop: Header=BB6_2609 Depth=4
	s_andn2_saveexec_b64 s[28:29], s[36:37]
; %bb.3117:                             ;   in Loop: Header=BB6_2609 Depth=4
	v_or_b32_e32 v4, 0x7e, v16
; %bb.3118:                             ;   in Loop: Header=BB6_2609 Depth=4
	s_or_b64 exec, exec, s[28:29]
                                        ; implicit-def: $vgpr0
.LBB6_3119:                             ;   in Loop: Header=BB6_2609 Depth=4
	s_andn2_saveexec_b64 s[28:29], s[34:35]
; %bb.3120:                             ;   in Loop: Header=BB6_2609 Depth=4
	v_or_b32_sdwa v4, v0, s81 dst_sel:DWORD dst_unused:UNUSED_PAD src0_sel:BYTE_3 src1_sel:DWORD
; %bb.3121:                             ;   in Loop: Header=BB6_2609 Depth=4
	s_or_b64 exec, exec, s[28:29]
	v_and_b32_e32 v0, 0xff, v6
	v_cmp_ne_u16_e32 vcc, 0, v0
	v_mov_b32_e32 v1, 0
	v_mov_b32_e32 v2, 0
	s_and_saveexec_b64 s[28:29], vcc
	s_cbranch_execz .LBB6_3127
; %bb.3122:                             ;   in Loop: Header=BB6_2609 Depth=4
	v_cmp_ne_u16_e32 vcc, s80, v0
	v_bfrev_b32_e32 v2, 1
	s_and_saveexec_b64 s[34:35], vcc
	s_cbranch_execz .LBB6_3126
; %bb.3123:                             ;   in Loop: Header=BB6_2609 Depth=4
	v_and_b32_e32 v16, 0x7f, v6
	v_cmp_ne_u32_e32 vcc, s81, v16
	v_mov_b32_e32 v2, 0x7f800001
	s_and_saveexec_b64 s[36:37], vcc
	s_cbranch_execz .LBB6_3125
; %bb.3124:                             ;   in Loop: Header=BB6_2609 Depth=4
	v_and_b32_e32 v2, 7, v0
	v_lshrrev_b32_e32 v18, 3, v16
	v_cmp_gt_u32_e32 vcc, 8, v16
	v_ffbh_u32_e32 v16, v2
	v_min_u32_e32 v19, 32, v16
	v_subrev_u32_e32 v16, 28, v19
	v_lshlrev_b64 v[16:17], v16, v[0:1]
	v_sub_u32_e32 v0, 29, v19
	v_and_b32_e32 v16, 7, v16
	v_cndmask_b32_e32 v0, v18, v0, vcc
	v_cndmask_b32_e32 v2, v2, v16, vcc
	v_lshlrev_b32_e32 v6, 24, v6
	v_bfrev_b32_e32 v16, 60
	v_lshlrev_b32_e32 v2, 20, v2
	v_and_b32_e32 v6, 0x80000000, v6
	v_lshl_add_u32 v0, v0, 23, v16
	v_or3_b32 v2, v6, v0, v2
.LBB6_3125:                             ;   in Loop: Header=BB6_2609 Depth=4
	s_or_b64 exec, exec, s[36:37]
.LBB6_3126:                             ;   in Loop: Header=BB6_2609 Depth=4
	s_or_b64 exec, exec, s[34:35]
.LBB6_3127:                             ;   in Loop: Header=BB6_2609 Depth=4
	s_or_b64 exec, exec, s[28:29]
	v_and_b32_e32 v0, 0xff, v42
	v_cmp_ne_u16_e32 vcc, 0, v0
	s_and_saveexec_b64 s[28:29], vcc
	s_cbranch_execz .LBB6_3133
; %bb.3128:                             ;   in Loop: Header=BB6_2609 Depth=4
	v_cmp_ne_u16_e32 vcc, s80, v0
	v_bfrev_b32_e32 v1, 1
	s_and_saveexec_b64 s[34:35], vcc
	s_cbranch_execz .LBB6_3132
; %bb.3129:                             ;   in Loop: Header=BB6_2609 Depth=4
	v_and_b32_e32 v6, 0x7f, v42
	v_cmp_ne_u32_e32 vcc, s81, v6
	v_mov_b32_e32 v1, 0x7f800001
	s_and_saveexec_b64 s[36:37], vcc
	s_cbranch_execz .LBB6_3131
; %bb.3130:                             ;   in Loop: Header=BB6_2609 Depth=4
	v_and_b32_e32 v16, 7, v0
	v_ffbh_u32_e32 v1, v16
	v_lshrrev_b32_e32 v17, 3, v6
	v_cmp_gt_u32_e32 vcc, 8, v6
	v_min_u32_e32 v6, 32, v1
	v_subrev_u32_e32 v1, 28, v6
	v_lshlrev_b64 v[0:1], v1, v[0:1]
	v_sub_u32_e32 v1, 29, v6
	v_and_b32_e32 v0, 7, v0
	v_cndmask_b32_e32 v1, v17, v1, vcc
	v_cndmask_b32_e32 v0, v16, v0, vcc
	v_lshlrev_b32_e32 v6, 24, v42
	v_bfrev_b32_e32 v16, 60
	v_lshlrev_b32_e32 v0, 20, v0
	v_and_b32_e32 v6, 0x80000000, v6
	v_lshl_add_u32 v1, v1, 23, v16
	v_or3_b32 v1, v6, v1, v0
.LBB6_3131:                             ;   in Loop: Header=BB6_2609 Depth=4
	s_or_b64 exec, exec, s[36:37]
.LBB6_3132:                             ;   in Loop: Header=BB6_2609 Depth=4
	s_or_b64 exec, exec, s[34:35]
.LBB6_3133:                             ;   in Loop: Header=BB6_2609 Depth=4
	s_or_b64 exec, exec, s[28:29]
	v_mul_f32_e32 v0, v2, v1
	v_and_b32_e32 v20, 0x7f800000, v0
	v_cmp_ne_u64_e32 vcc, s[62:63], v[20:21]
                                        ; implicit-def: $vgpr6
	s_and_saveexec_b64 s[28:29], vcc
	s_xor_b64 s[34:35], exec, s[28:29]
	s_cbranch_execz .LBB6_3151
; %bb.3134:                             ;   in Loop: Header=BB6_2609 Depth=4
	v_and_b32_e32 v20, 0x7fffffff, v0
	v_cmp_gt_u64_e32 vcc, s[78:79], v[20:21]
	v_and_b32_sdwa v16, v0, s80 dst_sel:DWORD dst_unused:UNUSED_PAD src0_sel:BYTE_3 src1_sel:DWORD
                                        ; implicit-def: $vgpr6
	s_and_saveexec_b64 s[28:29], vcc
	s_xor_b64 s[36:37], exec, s[28:29]
	s_cbranch_execz .LBB6_3148
; %bb.3135:                             ;   in Loop: Header=BB6_2609 Depth=4
	v_cmp_ne_u32_e32 vcc, 0, v0
	v_mov_b32_e32 v6, 0
	s_and_saveexec_b64 s[38:39], vcc
	s_cbranch_execz .LBB6_3147
; %bb.3136:                             ;   in Loop: Header=BB6_2609 Depth=4
	v_bfe_u32 v6, v0, 23, 8
	v_and_b32_e32 v1, 0x7fffff, v0
	v_cmp_gt_u32_e64 s[28:29], s47, v6
	v_sub_u32_e32 v0, 0x79, v6
	v_cmp_eq_u32_e32 vcc, 0, v6
	v_cndmask_b32_e64 v0, 0, v0, s[28:29]
	v_mov_b32_e32 v17, 0x78
	v_cndmask_b32_e32 v17, v0, v17, vcc
	v_or_b32_e32 v2, 0x800000, v1
	v_add_u32_e32 v0, 20, v17
	v_cndmask_b32_e32 v20, v2, v1, vcc
	v_lshlrev_b64 v[0:1], v0, -1
	v_add_u32_e32 v2, 19, v17
	v_lshlrev_b64 v[18:19], v2, 1
	v_bfi_b32 v1, v1, 0, 0
	v_bfi_b32 v0, v0, 0, v20
	v_cmp_eq_u64_e64 s[28:29], v[0:1], v[18:19]
	v_lshrrev_b64 v[0:1], v17, v[20:21]
	v_mov_b32_e32 v2, v1
	v_mov_b32_e32 v1, v0
	s_and_saveexec_b64 s[48:49], s[28:29]
; %bb.3137:                             ;   in Loop: Header=BB6_2609 Depth=4
	v_bfe_u32 v1, v0, 20, 1
	v_add_co_u32_e64 v1, s[28:29], v0, v1
	v_add_co_u32_e64 v1, s[28:29], -1, v1
; %bb.3138:                             ;   in Loop: Header=BB6_2609 Depth=4
	s_or_b64 exec, exec, s[48:49]
	v_add_u32_e32 v2, 0xffffff81, v6
	v_mov_b32_e32 v6, 0xffffff82
	v_cndmask_b32_e32 v2, v2, v6, vcc
	v_lshrrev_b32_e32 v6, 23, v0
	v_add3_u32 v17, v17, v2, v6
	v_add_u32_e32 v6, 6, v17
	v_and_b32_e32 v1, 0xfffff, v1
	v_add_u32_e32 v20, v1, v0
	v_cmp_ne_u32_e32 vcc, 0, v6
                                        ; implicit-def: $vgpr0_vgpr1
                                        ; implicit-def: $vgpr2
	s_and_saveexec_b64 s[28:29], vcc
	s_xor_b64 s[28:29], exec, s[28:29]
; %bb.3139:                             ;   in Loop: Header=BB6_2609 Depth=4
	v_cmp_lt_u64_e32 vcc, s[88:89], v[20:21]
	v_add_u32_e32 v0, 7, v17
	v_cndmask_b32_e32 v2, v6, v0, vcc
	v_cndmask_b32_e64 v0, 0, 1, vcc
	v_lshrrev_b64 v[0:1], v0, v[20:21]
; %bb.3140:                             ;   in Loop: Header=BB6_2609 Depth=4
	s_andn2_saveexec_b64 s[28:29], s[28:29]
; %bb.3141:                             ;   in Loop: Header=BB6_2609 Depth=4
	v_mov_b32_e32 v0, v20
	v_bfe_u32 v2, v20, 23, 1
	v_mov_b32_e32 v1, v21
; %bb.3142:                             ;   in Loop: Header=BB6_2609 Depth=4
	s_or_b64 exec, exec, s[28:29]
	v_lshrrev_b64 v[0:1], 20, v[0:1]
	v_cmp_gt_i32_e32 vcc, 16, v2
	v_cndmask_b32_e32 v1, 0, v1, vcc
	v_cndmask_b32_e32 v0, 7, v0, vcc
	v_cmp_ne_u64_e32 vcc, 0, v[0:1]
	v_cmp_ne_u32_e64 s[28:29], 0, v2
	s_or_b64 s[28:29], s[28:29], vcc
                                        ; implicit-def: $vgpr6
	s_and_saveexec_b64 vcc, s[28:29]
	s_xor_b64 s[28:29], exec, vcc
; %bb.3143:                             ;   in Loop: Header=BB6_2609 Depth=4
	v_min_i32_e32 v1, 15, v2
	v_lshl_or_b32 v1, v1, 3, v16
	v_and_or_b32 v6, v0, 7, v1
                                        ; implicit-def: $vgpr16
; %bb.3144:                             ;   in Loop: Header=BB6_2609 Depth=4
	s_andn2_saveexec_b64 s[28:29], s[28:29]
; %bb.3145:                             ;   in Loop: Header=BB6_2609 Depth=4
	v_mov_b32_e32 v6, v16
; %bb.3146:                             ;   in Loop: Header=BB6_2609 Depth=4
	s_or_b64 exec, exec, s[28:29]
.LBB6_3147:                             ;   in Loop: Header=BB6_2609 Depth=4
	s_or_b64 exec, exec, s[38:39]
                                        ; implicit-def: $vgpr16
.LBB6_3148:                             ;   in Loop: Header=BB6_2609 Depth=4
	s_andn2_saveexec_b64 s[28:29], s[36:37]
; %bb.3149:                             ;   in Loop: Header=BB6_2609 Depth=4
	v_or_b32_e32 v6, 0x7e, v16
; %bb.3150:                             ;   in Loop: Header=BB6_2609 Depth=4
	s_or_b64 exec, exec, s[28:29]
                                        ; implicit-def: $vgpr0
.LBB6_3151:                             ;   in Loop: Header=BB6_2609 Depth=4
	s_andn2_saveexec_b64 s[28:29], s[34:35]
; %bb.3152:                             ;   in Loop: Header=BB6_2609 Depth=4
	v_or_b32_sdwa v6, v0, s81 dst_sel:DWORD dst_unused:UNUSED_PAD src0_sel:BYTE_3 src1_sel:DWORD
; %bb.3153:                             ;   in Loop: Header=BB6_2609 Depth=4
	s_or_b64 exec, exec, s[28:29]
	v_and_b32_e32 v0, 0xff, v7
	v_cmp_ne_u16_e32 vcc, 0, v0
	v_mov_b32_e32 v1, 0
	v_mov_b32_e32 v2, 0
	s_and_saveexec_b64 s[28:29], vcc
	s_cbranch_execz .LBB6_3159
; %bb.3154:                             ;   in Loop: Header=BB6_2609 Depth=4
	v_cmp_ne_u16_e32 vcc, s80, v0
	v_bfrev_b32_e32 v2, 1
	s_and_saveexec_b64 s[34:35], vcc
	s_cbranch_execz .LBB6_3158
; %bb.3155:                             ;   in Loop: Header=BB6_2609 Depth=4
	v_and_b32_e32 v16, 0x7f, v7
	v_cmp_ne_u32_e32 vcc, s81, v16
	v_mov_b32_e32 v2, 0x7f800001
	s_and_saveexec_b64 s[36:37], vcc
	s_cbranch_execz .LBB6_3157
; %bb.3156:                             ;   in Loop: Header=BB6_2609 Depth=4
	v_and_b32_e32 v2, 7, v0
	v_lshrrev_b32_e32 v18, 3, v16
	v_cmp_gt_u32_e32 vcc, 8, v16
	v_ffbh_u32_e32 v16, v2
	v_min_u32_e32 v19, 32, v16
	v_subrev_u32_e32 v16, 28, v19
	v_lshlrev_b64 v[16:17], v16, v[0:1]
	v_sub_u32_e32 v0, 29, v19
	v_and_b32_e32 v16, 7, v16
	v_cndmask_b32_e32 v0, v18, v0, vcc
	v_cndmask_b32_e32 v2, v2, v16, vcc
	v_lshlrev_b32_e32 v7, 24, v7
	v_bfrev_b32_e32 v16, 60
	v_lshlrev_b32_e32 v2, 20, v2
	v_and_b32_e32 v7, 0x80000000, v7
	v_lshl_add_u32 v0, v0, 23, v16
	v_or3_b32 v2, v7, v0, v2
.LBB6_3157:                             ;   in Loop: Header=BB6_2609 Depth=4
	s_or_b64 exec, exec, s[36:37]
.LBB6_3158:                             ;   in Loop: Header=BB6_2609 Depth=4
	s_or_b64 exec, exec, s[34:35]
.LBB6_3159:                             ;   in Loop: Header=BB6_2609 Depth=4
	s_or_b64 exec, exec, s[28:29]
	v_and_b32_e32 v0, 0xff, v3
	v_cmp_ne_u16_e32 vcc, 0, v0
	s_and_saveexec_b64 s[28:29], vcc
	s_cbranch_execz .LBB6_3165
; %bb.3160:                             ;   in Loop: Header=BB6_2609 Depth=4
	v_cmp_ne_u16_e32 vcc, s80, v0
	v_bfrev_b32_e32 v1, 1
	s_and_saveexec_b64 s[34:35], vcc
	s_cbranch_execz .LBB6_3164
; %bb.3161:                             ;   in Loop: Header=BB6_2609 Depth=4
	v_and_b32_e32 v7, 0x7f, v3
	v_cmp_ne_u32_e32 vcc, s81, v7
	v_mov_b32_e32 v1, 0x7f800001
	s_and_saveexec_b64 s[36:37], vcc
	s_cbranch_execz .LBB6_3163
; %bb.3162:                             ;   in Loop: Header=BB6_2609 Depth=4
	v_and_b32_e32 v16, 7, v0
	v_ffbh_u32_e32 v1, v16
	v_lshrrev_b32_e32 v17, 3, v7
	v_cmp_gt_u32_e32 vcc, 8, v7
	v_min_u32_e32 v7, 32, v1
	v_subrev_u32_e32 v1, 28, v7
	v_lshlrev_b64 v[0:1], v1, v[0:1]
	v_sub_u32_e32 v1, 29, v7
	v_and_b32_e32 v0, 7, v0
	v_cndmask_b32_e32 v1, v17, v1, vcc
	v_cndmask_b32_e32 v0, v16, v0, vcc
	v_lshlrev_b32_e32 v3, 24, v3
	v_bfrev_b32_e32 v7, 60
	v_lshlrev_b32_e32 v0, 20, v0
	v_and_b32_e32 v3, 0x80000000, v3
	v_lshl_add_u32 v1, v1, 23, v7
	v_or3_b32 v1, v3, v1, v0
.LBB6_3163:                             ;   in Loop: Header=BB6_2609 Depth=4
	s_or_b64 exec, exec, s[36:37]
.LBB6_3164:                             ;   in Loop: Header=BB6_2609 Depth=4
	s_or_b64 exec, exec, s[34:35]
.LBB6_3165:                             ;   in Loop: Header=BB6_2609 Depth=4
	s_or_b64 exec, exec, s[28:29]
	v_mul_f32_e32 v0, v2, v1
	v_and_b32_e32 v20, 0x7f800000, v0
	v_cmp_ne_u64_e32 vcc, s[62:63], v[20:21]
                                        ; implicit-def: $vgpr3
	s_and_saveexec_b64 s[28:29], vcc
	s_xor_b64 s[34:35], exec, s[28:29]
	s_cbranch_execz .LBB6_3183
; %bb.3166:                             ;   in Loop: Header=BB6_2609 Depth=4
	v_and_b32_e32 v20, 0x7fffffff, v0
	v_cmp_gt_u64_e32 vcc, s[78:79], v[20:21]
	v_and_b32_sdwa v7, v0, s80 dst_sel:DWORD dst_unused:UNUSED_PAD src0_sel:BYTE_3 src1_sel:DWORD
                                        ; implicit-def: $vgpr3
	s_and_saveexec_b64 s[28:29], vcc
	s_xor_b64 s[36:37], exec, s[28:29]
	s_cbranch_execz .LBB6_3180
; %bb.3167:                             ;   in Loop: Header=BB6_2609 Depth=4
	v_cmp_ne_u32_e32 vcc, 0, v0
	v_mov_b32_e32 v3, 0
	s_and_saveexec_b64 s[38:39], vcc
	s_cbranch_execz .LBB6_3179
; %bb.3168:                             ;   in Loop: Header=BB6_2609 Depth=4
	v_bfe_u32 v3, v0, 23, 8
	v_and_b32_e32 v1, 0x7fffff, v0
	v_cmp_gt_u32_e64 s[28:29], s47, v3
	v_sub_u32_e32 v0, 0x79, v3
	v_cmp_eq_u32_e32 vcc, 0, v3
	v_cndmask_b32_e64 v0, 0, v0, s[28:29]
	v_mov_b32_e32 v16, 0x78
	v_cndmask_b32_e32 v16, v0, v16, vcc
	v_or_b32_e32 v2, 0x800000, v1
	v_add_u32_e32 v0, 20, v16
	v_cndmask_b32_e32 v20, v2, v1, vcc
	v_lshlrev_b64 v[0:1], v0, -1
	v_add_u32_e32 v2, 19, v16
	v_lshlrev_b64 v[17:18], v2, 1
	v_bfi_b32 v1, v1, 0, 0
	v_bfi_b32 v0, v0, 0, v20
	v_cmp_eq_u64_e64 s[28:29], v[0:1], v[17:18]
	v_lshrrev_b64 v[0:1], v16, v[20:21]
	v_mov_b32_e32 v2, v1
	v_mov_b32_e32 v1, v0
	s_and_saveexec_b64 s[48:49], s[28:29]
; %bb.3169:                             ;   in Loop: Header=BB6_2609 Depth=4
	v_bfe_u32 v1, v0, 20, 1
	v_add_co_u32_e64 v1, s[28:29], v0, v1
	v_add_co_u32_e64 v1, s[28:29], -1, v1
; %bb.3170:                             ;   in Loop: Header=BB6_2609 Depth=4
	s_or_b64 exec, exec, s[48:49]
	v_add_u32_e32 v2, 0xffffff81, v3
	v_mov_b32_e32 v3, 0xffffff82
	v_cndmask_b32_e32 v2, v2, v3, vcc
	v_lshrrev_b32_e32 v3, 23, v0
	v_add3_u32 v16, v16, v2, v3
	v_add_u32_e32 v3, 6, v16
	v_and_b32_e32 v1, 0xfffff, v1
	v_add_u32_e32 v20, v1, v0
	v_cmp_ne_u32_e32 vcc, 0, v3
                                        ; implicit-def: $vgpr0_vgpr1
                                        ; implicit-def: $vgpr2
	s_and_saveexec_b64 s[28:29], vcc
	s_xor_b64 s[28:29], exec, s[28:29]
; %bb.3171:                             ;   in Loop: Header=BB6_2609 Depth=4
	v_cmp_lt_u64_e32 vcc, s[88:89], v[20:21]
	v_add_u32_e32 v0, 7, v16
	v_cndmask_b32_e32 v2, v3, v0, vcc
	v_cndmask_b32_e64 v0, 0, 1, vcc
	v_lshrrev_b64 v[0:1], v0, v[20:21]
; %bb.3172:                             ;   in Loop: Header=BB6_2609 Depth=4
	s_andn2_saveexec_b64 s[28:29], s[28:29]
; %bb.3173:                             ;   in Loop: Header=BB6_2609 Depth=4
	v_mov_b32_e32 v0, v20
	v_bfe_u32 v2, v20, 23, 1
	v_mov_b32_e32 v1, v21
; %bb.3174:                             ;   in Loop: Header=BB6_2609 Depth=4
	s_or_b64 exec, exec, s[28:29]
	v_lshrrev_b64 v[0:1], 20, v[0:1]
	v_cmp_gt_i32_e32 vcc, 16, v2
	v_cndmask_b32_e32 v1, 0, v1, vcc
	v_cndmask_b32_e32 v0, 7, v0, vcc
	v_cmp_ne_u64_e32 vcc, 0, v[0:1]
	v_cmp_ne_u32_e64 s[28:29], 0, v2
	s_or_b64 s[28:29], s[28:29], vcc
                                        ; implicit-def: $vgpr3
	s_and_saveexec_b64 vcc, s[28:29]
	s_xor_b64 s[28:29], exec, vcc
; %bb.3175:                             ;   in Loop: Header=BB6_2609 Depth=4
	v_min_i32_e32 v1, 15, v2
	v_lshl_or_b32 v1, v1, 3, v7
	v_and_or_b32 v3, v0, 7, v1
                                        ; implicit-def: $vgpr7
; %bb.3176:                             ;   in Loop: Header=BB6_2609 Depth=4
	s_andn2_saveexec_b64 s[28:29], s[28:29]
; %bb.3177:                             ;   in Loop: Header=BB6_2609 Depth=4
	v_mov_b32_e32 v3, v7
; %bb.3178:                             ;   in Loop: Header=BB6_2609 Depth=4
	s_or_b64 exec, exec, s[28:29]
.LBB6_3179:                             ;   in Loop: Header=BB6_2609 Depth=4
	s_or_b64 exec, exec, s[38:39]
                                        ; implicit-def: $vgpr7
.LBB6_3180:                             ;   in Loop: Header=BB6_2609 Depth=4
	s_andn2_saveexec_b64 s[28:29], s[36:37]
; %bb.3181:                             ;   in Loop: Header=BB6_2609 Depth=4
	v_or_b32_e32 v3, 0x7e, v7
; %bb.3182:                             ;   in Loop: Header=BB6_2609 Depth=4
	s_or_b64 exec, exec, s[28:29]
                                        ; implicit-def: $vgpr0
.LBB6_3183:                             ;   in Loop: Header=BB6_2609 Depth=4
	s_andn2_saveexec_b64 s[28:29], s[34:35]
; %bb.3184:                             ;   in Loop: Header=BB6_2609 Depth=4
	v_or_b32_sdwa v3, v0, s81 dst_sel:DWORD dst_unused:UNUSED_PAD src0_sel:BYTE_3 src1_sel:DWORD
; %bb.3185:                             ;   in Loop: Header=BB6_2609 Depth=4
	s_or_b64 exec, exec, s[28:29]
	v_and_b32_e32 v0, 0xff, v14
	v_cmp_ne_u16_e32 vcc, 0, v0
	v_mov_b32_e32 v1, 0
	v_mov_b32_e32 v2, 0
	s_and_saveexec_b64 s[28:29], vcc
	s_cbranch_execz .LBB6_3191
; %bb.3186:                             ;   in Loop: Header=BB6_2609 Depth=4
	v_cmp_ne_u16_e32 vcc, s80, v0
	v_bfrev_b32_e32 v2, 1
	s_and_saveexec_b64 s[34:35], vcc
	s_cbranch_execz .LBB6_3190
; %bb.3187:                             ;   in Loop: Header=BB6_2609 Depth=4
	v_and_b32_e32 v7, 0x7f, v14
	v_cmp_ne_u32_e32 vcc, s81, v7
	v_mov_b32_e32 v2, 0x7f800001
	s_and_saveexec_b64 s[36:37], vcc
	s_cbranch_execz .LBB6_3189
; %bb.3188:                             ;   in Loop: Header=BB6_2609 Depth=4
	v_and_b32_e32 v2, 7, v0
	v_lshrrev_b32_e32 v18, 3, v7
	v_cmp_gt_u32_e32 vcc, 8, v7
	v_ffbh_u32_e32 v7, v2
	v_min_u32_e32 v7, 32, v7
	v_subrev_u32_e32 v16, 28, v7
	v_lshlrev_b64 v[16:17], v16, v[0:1]
	v_sub_u32_e32 v0, 29, v7
	v_and_b32_e32 v7, 7, v16
	v_cndmask_b32_e32 v0, v18, v0, vcc
	v_cndmask_b32_e32 v2, v2, v7, vcc
	v_lshlrev_b32_e32 v7, 24, v14
	v_bfrev_b32_e32 v14, 60
	v_lshlrev_b32_e32 v2, 20, v2
	v_and_b32_e32 v7, 0x80000000, v7
	v_lshl_add_u32 v0, v0, 23, v14
	v_or3_b32 v2, v7, v0, v2
.LBB6_3189:                             ;   in Loop: Header=BB6_2609 Depth=4
	s_or_b64 exec, exec, s[36:37]
.LBB6_3190:                             ;   in Loop: Header=BB6_2609 Depth=4
	s_or_b64 exec, exec, s[34:35]
.LBB6_3191:                             ;   in Loop: Header=BB6_2609 Depth=4
	s_or_b64 exec, exec, s[28:29]
	v_and_b32_e32 v0, 0xff, v61
	v_cmp_ne_u16_e32 vcc, 0, v0
	s_and_saveexec_b64 s[28:29], vcc
	s_cbranch_execz .LBB6_3197
; %bb.3192:                             ;   in Loop: Header=BB6_2609 Depth=4
	v_cmp_ne_u16_e32 vcc, s80, v0
	v_bfrev_b32_e32 v1, 1
	s_and_saveexec_b64 s[34:35], vcc
	s_cbranch_execz .LBB6_3196
; %bb.3193:                             ;   in Loop: Header=BB6_2609 Depth=4
	v_and_b32_e32 v7, 0x7f, v61
	v_cmp_ne_u32_e32 vcc, s81, v7
	v_mov_b32_e32 v1, 0x7f800001
	s_and_saveexec_b64 s[36:37], vcc
	s_cbranch_execz .LBB6_3195
; %bb.3194:                             ;   in Loop: Header=BB6_2609 Depth=4
	v_and_b32_e32 v14, 7, v0
	v_ffbh_u32_e32 v1, v14
	v_lshrrev_b32_e32 v16, 3, v7
	v_cmp_gt_u32_e32 vcc, 8, v7
	v_min_u32_e32 v7, 32, v1
	v_subrev_u32_e32 v1, 28, v7
	v_lshlrev_b64 v[0:1], v1, v[0:1]
	v_sub_u32_e32 v1, 29, v7
	v_and_b32_e32 v0, 7, v0
	v_cndmask_b32_e32 v1, v16, v1, vcc
	v_cndmask_b32_e32 v0, v14, v0, vcc
	v_lshlrev_b32_e32 v7, 24, v61
	v_bfrev_b32_e32 v14, 60
	v_lshlrev_b32_e32 v0, 20, v0
	v_and_b32_e32 v7, 0x80000000, v7
	v_lshl_add_u32 v1, v1, 23, v14
	v_or3_b32 v1, v7, v1, v0
.LBB6_3195:                             ;   in Loop: Header=BB6_2609 Depth=4
	s_or_b64 exec, exec, s[36:37]
.LBB6_3196:                             ;   in Loop: Header=BB6_2609 Depth=4
	s_or_b64 exec, exec, s[34:35]
.LBB6_3197:                             ;   in Loop: Header=BB6_2609 Depth=4
	s_or_b64 exec, exec, s[28:29]
	v_mul_f32_e32 v0, v2, v1
	v_and_b32_e32 v20, 0x7f800000, v0
	v_cmp_ne_u64_e32 vcc, s[62:63], v[20:21]
                                        ; implicit-def: $vgpr7
	s_and_saveexec_b64 s[28:29], vcc
	s_xor_b64 s[34:35], exec, s[28:29]
	s_cbranch_execz .LBB6_3215
; %bb.3198:                             ;   in Loop: Header=BB6_2609 Depth=4
	v_and_b32_e32 v20, 0x7fffffff, v0
	v_cmp_gt_u64_e32 vcc, s[78:79], v[20:21]
	v_and_b32_sdwa v14, v0, s80 dst_sel:DWORD dst_unused:UNUSED_PAD src0_sel:BYTE_3 src1_sel:DWORD
                                        ; implicit-def: $vgpr7
	s_and_saveexec_b64 s[28:29], vcc
	s_xor_b64 s[36:37], exec, s[28:29]
	s_cbranch_execz .LBB6_3212
; %bb.3199:                             ;   in Loop: Header=BB6_2609 Depth=4
	v_cmp_ne_u32_e32 vcc, 0, v0
	v_mov_b32_e32 v7, 0
	s_and_saveexec_b64 s[38:39], vcc
	s_cbranch_execz .LBB6_3211
; %bb.3200:                             ;   in Loop: Header=BB6_2609 Depth=4
	v_bfe_u32 v7, v0, 23, 8
	v_and_b32_e32 v1, 0x7fffff, v0
	v_cmp_gt_u32_e64 s[28:29], s47, v7
	v_sub_u32_e32 v0, 0x79, v7
	v_cmp_eq_u32_e32 vcc, 0, v7
	v_cndmask_b32_e64 v0, 0, v0, s[28:29]
	v_mov_b32_e32 v16, 0x78
	v_cndmask_b32_e32 v16, v0, v16, vcc
	v_or_b32_e32 v2, 0x800000, v1
	v_add_u32_e32 v0, 20, v16
	v_cndmask_b32_e32 v20, v2, v1, vcc
	v_lshlrev_b64 v[0:1], v0, -1
	v_add_u32_e32 v2, 19, v16
	v_lshlrev_b64 v[17:18], v2, 1
	v_bfi_b32 v1, v1, 0, 0
	v_bfi_b32 v0, v0, 0, v20
	v_cmp_eq_u64_e64 s[28:29], v[0:1], v[17:18]
	v_lshrrev_b64 v[0:1], v16, v[20:21]
	v_mov_b32_e32 v2, v1
	v_mov_b32_e32 v1, v0
	s_and_saveexec_b64 s[48:49], s[28:29]
; %bb.3201:                             ;   in Loop: Header=BB6_2609 Depth=4
	v_bfe_u32 v1, v0, 20, 1
	v_add_co_u32_e64 v1, s[28:29], v0, v1
	v_add_co_u32_e64 v1, s[28:29], -1, v1
; %bb.3202:                             ;   in Loop: Header=BB6_2609 Depth=4
	s_or_b64 exec, exec, s[48:49]
	v_add_u32_e32 v2, 0xffffff81, v7
	v_mov_b32_e32 v7, 0xffffff82
	v_cndmask_b32_e32 v2, v2, v7, vcc
	v_lshrrev_b32_e32 v7, 23, v0
	v_add3_u32 v16, v16, v2, v7
	v_add_u32_e32 v7, 6, v16
	v_and_b32_e32 v1, 0xfffff, v1
	v_add_u32_e32 v20, v1, v0
	v_cmp_ne_u32_e32 vcc, 0, v7
                                        ; implicit-def: $vgpr0_vgpr1
                                        ; implicit-def: $vgpr2
	s_and_saveexec_b64 s[28:29], vcc
	s_xor_b64 s[28:29], exec, s[28:29]
; %bb.3203:                             ;   in Loop: Header=BB6_2609 Depth=4
	v_cmp_lt_u64_e32 vcc, s[88:89], v[20:21]
	v_add_u32_e32 v0, 7, v16
	v_cndmask_b32_e32 v2, v7, v0, vcc
	v_cndmask_b32_e64 v0, 0, 1, vcc
	v_lshrrev_b64 v[0:1], v0, v[20:21]
; %bb.3204:                             ;   in Loop: Header=BB6_2609 Depth=4
	s_andn2_saveexec_b64 s[28:29], s[28:29]
; %bb.3205:                             ;   in Loop: Header=BB6_2609 Depth=4
	v_mov_b32_e32 v0, v20
	v_bfe_u32 v2, v20, 23, 1
	v_mov_b32_e32 v1, v21
; %bb.3206:                             ;   in Loop: Header=BB6_2609 Depth=4
	s_or_b64 exec, exec, s[28:29]
	v_lshrrev_b64 v[0:1], 20, v[0:1]
	v_cmp_gt_i32_e32 vcc, 16, v2
	v_cndmask_b32_e32 v1, 0, v1, vcc
	v_cndmask_b32_e32 v0, 7, v0, vcc
	v_cmp_ne_u64_e32 vcc, 0, v[0:1]
	v_cmp_ne_u32_e64 s[28:29], 0, v2
	s_or_b64 s[28:29], s[28:29], vcc
                                        ; implicit-def: $vgpr7
	s_and_saveexec_b64 vcc, s[28:29]
	s_xor_b64 s[28:29], exec, vcc
; %bb.3207:                             ;   in Loop: Header=BB6_2609 Depth=4
	v_min_i32_e32 v1, 15, v2
	v_lshl_or_b32 v1, v1, 3, v14
	v_and_or_b32 v7, v0, 7, v1
                                        ; implicit-def: $vgpr14
; %bb.3208:                             ;   in Loop: Header=BB6_2609 Depth=4
	s_andn2_saveexec_b64 s[28:29], s[28:29]
; %bb.3209:                             ;   in Loop: Header=BB6_2609 Depth=4
	v_mov_b32_e32 v7, v14
; %bb.3210:                             ;   in Loop: Header=BB6_2609 Depth=4
	s_or_b64 exec, exec, s[28:29]
.LBB6_3211:                             ;   in Loop: Header=BB6_2609 Depth=4
	s_or_b64 exec, exec, s[38:39]
                                        ; implicit-def: $vgpr14
.LBB6_3212:                             ;   in Loop: Header=BB6_2609 Depth=4
	s_andn2_saveexec_b64 s[28:29], s[36:37]
; %bb.3213:                             ;   in Loop: Header=BB6_2609 Depth=4
	v_or_b32_e32 v7, 0x7e, v14
; %bb.3214:                             ;   in Loop: Header=BB6_2609 Depth=4
	s_or_b64 exec, exec, s[28:29]
                                        ; implicit-def: $vgpr0
.LBB6_3215:                             ;   in Loop: Header=BB6_2609 Depth=4
	s_andn2_saveexec_b64 s[28:29], s[34:35]
; %bb.3216:                             ;   in Loop: Header=BB6_2609 Depth=4
	v_or_b32_sdwa v7, v0, s81 dst_sel:DWORD dst_unused:UNUSED_PAD src0_sel:BYTE_3 src1_sel:DWORD
; %bb.3217:                             ;   in Loop: Header=BB6_2609 Depth=4
	s_or_b64 exec, exec, s[28:29]
	v_and_b32_e32 v0, 0xff, v59
	v_cmp_ne_u16_e32 vcc, 0, v0
	v_mov_b32_e32 v1, 0
	v_mov_b32_e32 v2, 0
	s_and_saveexec_b64 s[28:29], vcc
	s_cbranch_execz .LBB6_3223
; %bb.3218:                             ;   in Loop: Header=BB6_2609 Depth=4
	v_cmp_ne_u16_e32 vcc, s80, v0
	v_bfrev_b32_e32 v2, 1
	s_and_saveexec_b64 s[34:35], vcc
	s_cbranch_execz .LBB6_3222
; %bb.3219:                             ;   in Loop: Header=BB6_2609 Depth=4
	v_and_b32_e32 v14, 0x7f, v59
	v_cmp_ne_u32_e32 vcc, s81, v14
	v_mov_b32_e32 v2, 0x7f800001
	s_and_saveexec_b64 s[36:37], vcc
	s_cbranch_execz .LBB6_3221
; %bb.3220:                             ;   in Loop: Header=BB6_2609 Depth=4
	v_and_b32_e32 v2, 7, v0
	v_lshrrev_b32_e32 v18, 3, v14
	v_cmp_gt_u32_e32 vcc, 8, v14
	v_ffbh_u32_e32 v14, v2
	v_min_u32_e32 v14, 32, v14
	v_subrev_u32_e32 v16, 28, v14
	v_lshlrev_b64 v[16:17], v16, v[0:1]
	v_sub_u32_e32 v0, 29, v14
	v_and_b32_e32 v14, 7, v16
	v_cndmask_b32_e32 v0, v18, v0, vcc
	v_cndmask_b32_e32 v2, v2, v14, vcc
	v_lshlrev_b32_e32 v14, 24, v59
	v_bfrev_b32_e32 v16, 60
	v_lshlrev_b32_e32 v2, 20, v2
	v_and_b32_e32 v14, 0x80000000, v14
	v_lshl_add_u32 v0, v0, 23, v16
	v_or3_b32 v2, v14, v0, v2
.LBB6_3221:                             ;   in Loop: Header=BB6_2609 Depth=4
	s_or_b64 exec, exec, s[36:37]
.LBB6_3222:                             ;   in Loop: Header=BB6_2609 Depth=4
	s_or_b64 exec, exec, s[34:35]
.LBB6_3223:                             ;   in Loop: Header=BB6_2609 Depth=4
	s_or_b64 exec, exec, s[28:29]
	v_and_b32_e32 v0, 0xff, v58
	v_cmp_ne_u16_e32 vcc, 0, v0
	s_and_saveexec_b64 s[28:29], vcc
	s_cbranch_execz .LBB6_3229
; %bb.3224:                             ;   in Loop: Header=BB6_2609 Depth=4
	v_cmp_ne_u16_e32 vcc, s80, v0
	v_bfrev_b32_e32 v1, 1
	s_and_saveexec_b64 s[34:35], vcc
	s_cbranch_execz .LBB6_3228
; %bb.3225:                             ;   in Loop: Header=BB6_2609 Depth=4
	v_and_b32_e32 v14, 0x7f, v58
	v_cmp_ne_u32_e32 vcc, s81, v14
	v_mov_b32_e32 v1, 0x7f800001
	s_and_saveexec_b64 s[36:37], vcc
	s_cbranch_execz .LBB6_3227
; %bb.3226:                             ;   in Loop: Header=BB6_2609 Depth=4
	v_and_b32_e32 v16, 7, v0
	v_ffbh_u32_e32 v1, v16
	v_lshrrev_b32_e32 v17, 3, v14
	v_cmp_gt_u32_e32 vcc, 8, v14
	v_min_u32_e32 v14, 32, v1
	v_subrev_u32_e32 v1, 28, v14
	v_lshlrev_b64 v[0:1], v1, v[0:1]
	v_sub_u32_e32 v1, 29, v14
	v_and_b32_e32 v0, 7, v0
	v_cndmask_b32_e32 v1, v17, v1, vcc
	v_cndmask_b32_e32 v0, v16, v0, vcc
	v_lshlrev_b32_e32 v14, 24, v58
	v_bfrev_b32_e32 v16, 60
	v_lshlrev_b32_e32 v0, 20, v0
	v_and_b32_e32 v14, 0x80000000, v14
	v_lshl_add_u32 v1, v1, 23, v16
	v_or3_b32 v1, v14, v1, v0
.LBB6_3227:                             ;   in Loop: Header=BB6_2609 Depth=4
	s_or_b64 exec, exec, s[36:37]
.LBB6_3228:                             ;   in Loop: Header=BB6_2609 Depth=4
	s_or_b64 exec, exec, s[34:35]
.LBB6_3229:                             ;   in Loop: Header=BB6_2609 Depth=4
	s_or_b64 exec, exec, s[28:29]
	v_mul_f32_e32 v0, v2, v1
	v_and_b32_e32 v20, 0x7f800000, v0
	v_cmp_ne_u64_e32 vcc, s[62:63], v[20:21]
                                        ; implicit-def: $vgpr14
	s_and_saveexec_b64 s[28:29], vcc
	s_xor_b64 s[34:35], exec, s[28:29]
	s_cbranch_execz .LBB6_3247
; %bb.3230:                             ;   in Loop: Header=BB6_2609 Depth=4
	v_and_b32_e32 v20, 0x7fffffff, v0
	v_cmp_gt_u64_e32 vcc, s[78:79], v[20:21]
	v_and_b32_sdwa v16, v0, s80 dst_sel:DWORD dst_unused:UNUSED_PAD src0_sel:BYTE_3 src1_sel:DWORD
                                        ; implicit-def: $vgpr14
	s_and_saveexec_b64 s[28:29], vcc
	s_xor_b64 s[36:37], exec, s[28:29]
	s_cbranch_execz .LBB6_3244
; %bb.3231:                             ;   in Loop: Header=BB6_2609 Depth=4
	v_cmp_ne_u32_e32 vcc, 0, v0
	v_mov_b32_e32 v14, 0
	s_and_saveexec_b64 s[38:39], vcc
	s_cbranch_execz .LBB6_3243
; %bb.3232:                             ;   in Loop: Header=BB6_2609 Depth=4
	v_bfe_u32 v14, v0, 23, 8
	v_and_b32_e32 v1, 0x7fffff, v0
	v_cmp_gt_u32_e64 s[28:29], s47, v14
	v_sub_u32_e32 v0, 0x79, v14
	v_cmp_eq_u32_e32 vcc, 0, v14
	v_cndmask_b32_e64 v0, 0, v0, s[28:29]
	v_mov_b32_e32 v17, 0x78
	v_cndmask_b32_e32 v17, v0, v17, vcc
	v_or_b32_e32 v2, 0x800000, v1
	v_add_u32_e32 v0, 20, v17
	v_cndmask_b32_e32 v20, v2, v1, vcc
	v_lshlrev_b64 v[0:1], v0, -1
	v_add_u32_e32 v2, 19, v17
	v_lshlrev_b64 v[18:19], v2, 1
	v_bfi_b32 v1, v1, 0, 0
	v_bfi_b32 v0, v0, 0, v20
	v_cmp_eq_u64_e64 s[28:29], v[0:1], v[18:19]
	v_lshrrev_b64 v[0:1], v17, v[20:21]
	v_mov_b32_e32 v2, v1
	v_mov_b32_e32 v1, v0
	s_and_saveexec_b64 s[48:49], s[28:29]
; %bb.3233:                             ;   in Loop: Header=BB6_2609 Depth=4
	v_bfe_u32 v1, v0, 20, 1
	v_add_co_u32_e64 v1, s[28:29], v0, v1
	v_add_co_u32_e64 v1, s[28:29], -1, v1
; %bb.3234:                             ;   in Loop: Header=BB6_2609 Depth=4
	s_or_b64 exec, exec, s[48:49]
	v_add_u32_e32 v2, 0xffffff81, v14
	v_mov_b32_e32 v14, 0xffffff82
	v_cndmask_b32_e32 v2, v2, v14, vcc
	v_lshrrev_b32_e32 v14, 23, v0
	v_add3_u32 v17, v17, v2, v14
	v_add_u32_e32 v14, 6, v17
	v_and_b32_e32 v1, 0xfffff, v1
	v_add_u32_e32 v20, v1, v0
	v_cmp_ne_u32_e32 vcc, 0, v14
                                        ; implicit-def: $vgpr0_vgpr1
                                        ; implicit-def: $vgpr2
	s_and_saveexec_b64 s[28:29], vcc
	s_xor_b64 s[28:29], exec, s[28:29]
; %bb.3235:                             ;   in Loop: Header=BB6_2609 Depth=4
	v_cmp_lt_u64_e32 vcc, s[88:89], v[20:21]
	v_add_u32_e32 v0, 7, v17
	v_cndmask_b32_e32 v2, v14, v0, vcc
	v_cndmask_b32_e64 v0, 0, 1, vcc
	v_lshrrev_b64 v[0:1], v0, v[20:21]
; %bb.3236:                             ;   in Loop: Header=BB6_2609 Depth=4
	s_andn2_saveexec_b64 s[28:29], s[28:29]
; %bb.3237:                             ;   in Loop: Header=BB6_2609 Depth=4
	v_mov_b32_e32 v0, v20
	v_bfe_u32 v2, v20, 23, 1
	v_mov_b32_e32 v1, v21
; %bb.3238:                             ;   in Loop: Header=BB6_2609 Depth=4
	s_or_b64 exec, exec, s[28:29]
	v_lshrrev_b64 v[0:1], 20, v[0:1]
	v_cmp_gt_i32_e32 vcc, 16, v2
	v_cndmask_b32_e32 v1, 0, v1, vcc
	v_cndmask_b32_e32 v0, 7, v0, vcc
	v_cmp_ne_u64_e32 vcc, 0, v[0:1]
	v_cmp_ne_u32_e64 s[28:29], 0, v2
	s_or_b64 s[28:29], s[28:29], vcc
                                        ; implicit-def: $vgpr14
	s_and_saveexec_b64 vcc, s[28:29]
	s_xor_b64 s[28:29], exec, vcc
; %bb.3239:                             ;   in Loop: Header=BB6_2609 Depth=4
	v_min_i32_e32 v1, 15, v2
	v_lshl_or_b32 v1, v1, 3, v16
	v_and_or_b32 v14, v0, 7, v1
                                        ; implicit-def: $vgpr16
; %bb.3240:                             ;   in Loop: Header=BB6_2609 Depth=4
	s_andn2_saveexec_b64 s[28:29], s[28:29]
; %bb.3241:                             ;   in Loop: Header=BB6_2609 Depth=4
	v_mov_b32_e32 v14, v16
; %bb.3242:                             ;   in Loop: Header=BB6_2609 Depth=4
	s_or_b64 exec, exec, s[28:29]
.LBB6_3243:                             ;   in Loop: Header=BB6_2609 Depth=4
	s_or_b64 exec, exec, s[38:39]
                                        ; implicit-def: $vgpr16
.LBB6_3244:                             ;   in Loop: Header=BB6_2609 Depth=4
	s_andn2_saveexec_b64 s[28:29], s[36:37]
; %bb.3245:                             ;   in Loop: Header=BB6_2609 Depth=4
	v_or_b32_e32 v14, 0x7e, v16
; %bb.3246:                             ;   in Loop: Header=BB6_2609 Depth=4
	s_or_b64 exec, exec, s[28:29]
                                        ; implicit-def: $vgpr0
.LBB6_3247:                             ;   in Loop: Header=BB6_2609 Depth=4
	s_andn2_saveexec_b64 s[28:29], s[34:35]
; %bb.3248:                             ;   in Loop: Header=BB6_2609 Depth=4
	v_or_b32_sdwa v14, v0, s81 dst_sel:DWORD dst_unused:UNUSED_PAD src0_sel:BYTE_3 src1_sel:DWORD
; %bb.3249:                             ;   in Loop: Header=BB6_2609 Depth=4
	s_or_b64 exec, exec, s[28:29]
	v_and_b32_e32 v0, 0xff, v56
	v_cmp_ne_u16_e32 vcc, 0, v0
	v_mov_b32_e32 v1, 0
	v_mov_b32_e32 v2, 0
	s_and_saveexec_b64 s[28:29], vcc
	s_cbranch_execz .LBB6_3255
; %bb.3250:                             ;   in Loop: Header=BB6_2609 Depth=4
	v_cmp_ne_u16_e32 vcc, s80, v0
	v_bfrev_b32_e32 v2, 1
	s_and_saveexec_b64 s[34:35], vcc
	s_cbranch_execz .LBB6_3254
; %bb.3251:                             ;   in Loop: Header=BB6_2609 Depth=4
	v_and_b32_e32 v16, 0x7f, v56
	v_cmp_ne_u32_e32 vcc, s81, v16
	v_mov_b32_e32 v2, 0x7f800001
	s_and_saveexec_b64 s[36:37], vcc
	s_cbranch_execz .LBB6_3253
; %bb.3252:                             ;   in Loop: Header=BB6_2609 Depth=4
	v_and_b32_e32 v2, 7, v0
	v_lshrrev_b32_e32 v18, 3, v16
	v_cmp_gt_u32_e32 vcc, 8, v16
	v_ffbh_u32_e32 v16, v2
	v_min_u32_e32 v19, 32, v16
	v_subrev_u32_e32 v16, 28, v19
	v_lshlrev_b64 v[16:17], v16, v[0:1]
	v_sub_u32_e32 v0, 29, v19
	v_and_b32_e32 v16, 7, v16
	v_cndmask_b32_e32 v0, v18, v0, vcc
	v_cndmask_b32_e32 v2, v2, v16, vcc
	v_lshlrev_b32_e32 v16, 24, v56
	v_bfrev_b32_e32 v17, 60
	v_lshlrev_b32_e32 v2, 20, v2
	v_and_b32_e32 v16, 0x80000000, v16
	v_lshl_add_u32 v0, v0, 23, v17
	v_or3_b32 v2, v16, v0, v2
.LBB6_3253:                             ;   in Loop: Header=BB6_2609 Depth=4
	s_or_b64 exec, exec, s[36:37]
.LBB6_3254:                             ;   in Loop: Header=BB6_2609 Depth=4
	s_or_b64 exec, exec, s[34:35]
.LBB6_3255:                             ;   in Loop: Header=BB6_2609 Depth=4
	s_or_b64 exec, exec, s[28:29]
	v_and_b32_e32 v0, 0xff, v45
	v_cmp_ne_u16_e32 vcc, 0, v0
	s_and_saveexec_b64 s[28:29], vcc
	s_cbranch_execz .LBB6_3261
; %bb.3256:                             ;   in Loop: Header=BB6_2609 Depth=4
	v_cmp_ne_u16_e32 vcc, s80, v0
	v_bfrev_b32_e32 v1, 1
	s_and_saveexec_b64 s[34:35], vcc
	s_cbranch_execz .LBB6_3260
; %bb.3257:                             ;   in Loop: Header=BB6_2609 Depth=4
	v_and_b32_e32 v16, 0x7f, v45
	v_cmp_ne_u32_e32 vcc, s81, v16
	v_mov_b32_e32 v1, 0x7f800001
	s_and_saveexec_b64 s[36:37], vcc
	s_cbranch_execz .LBB6_3259
; %bb.3258:                             ;   in Loop: Header=BB6_2609 Depth=4
	v_and_b32_e32 v17, 7, v0
	v_ffbh_u32_e32 v1, v17
	v_lshrrev_b32_e32 v18, 3, v16
	v_cmp_gt_u32_e32 vcc, 8, v16
	v_min_u32_e32 v16, 32, v1
	v_subrev_u32_e32 v1, 28, v16
	v_lshlrev_b64 v[0:1], v1, v[0:1]
	v_sub_u32_e32 v1, 29, v16
	v_and_b32_e32 v0, 7, v0
	v_cndmask_b32_e32 v1, v18, v1, vcc
	v_cndmask_b32_e32 v0, v17, v0, vcc
	v_lshlrev_b32_e32 v16, 24, v45
	v_bfrev_b32_e32 v17, 60
	v_lshlrev_b32_e32 v0, 20, v0
	v_and_b32_e32 v16, 0x80000000, v16
	v_lshl_add_u32 v1, v1, 23, v17
	v_or3_b32 v1, v16, v1, v0
.LBB6_3259:                             ;   in Loop: Header=BB6_2609 Depth=4
	s_or_b64 exec, exec, s[36:37]
.LBB6_3260:                             ;   in Loop: Header=BB6_2609 Depth=4
	s_or_b64 exec, exec, s[34:35]
.LBB6_3261:                             ;   in Loop: Header=BB6_2609 Depth=4
	s_or_b64 exec, exec, s[28:29]
	v_mul_f32_e32 v0, v2, v1
	v_and_b32_e32 v20, 0x7f800000, v0
	v_cmp_ne_u64_e32 vcc, s[62:63], v[20:21]
                                        ; implicit-def: $vgpr18
	s_and_saveexec_b64 s[28:29], vcc
	s_xor_b64 s[34:35], exec, s[28:29]
	s_cbranch_execz .LBB6_3279
; %bb.3262:                             ;   in Loop: Header=BB6_2609 Depth=4
	v_and_b32_e32 v20, 0x7fffffff, v0
	v_cmp_gt_u64_e32 vcc, s[78:79], v[20:21]
	v_and_b32_sdwa v16, v0, s80 dst_sel:DWORD dst_unused:UNUSED_PAD src0_sel:BYTE_3 src1_sel:DWORD
                                        ; implicit-def: $vgpr18
	s_and_saveexec_b64 s[28:29], vcc
	s_xor_b64 s[36:37], exec, s[28:29]
	s_cbranch_execz .LBB6_3276
; %bb.3263:                             ;   in Loop: Header=BB6_2609 Depth=4
	v_cmp_ne_u32_e32 vcc, 0, v0
	v_mov_b32_e32 v18, 0
	s_and_saveexec_b64 s[38:39], vcc
	s_cbranch_execz .LBB6_3275
; %bb.3264:                             ;   in Loop: Header=BB6_2609 Depth=4
	v_bfe_u32 v17, v0, 23, 8
	v_and_b32_e32 v1, 0x7fffff, v0
	v_cmp_gt_u32_e64 s[28:29], s47, v17
	v_sub_u32_e32 v0, 0x79, v17
	v_cmp_eq_u32_e32 vcc, 0, v17
	v_cndmask_b32_e64 v0, 0, v0, s[28:29]
	v_mov_b32_e32 v18, 0x78
	v_cndmask_b32_e32 v18, v0, v18, vcc
	v_or_b32_e32 v2, 0x800000, v1
	v_add_u32_e32 v0, 20, v18
	v_cndmask_b32_e32 v20, v2, v1, vcc
	v_lshlrev_b64 v[0:1], v0, -1
	v_add_u32_e32 v2, 19, v18
	v_lshlrev_b64 v[22:23], v2, 1
	v_bfi_b32 v1, v1, 0, 0
	v_bfi_b32 v0, v0, 0, v20
	v_cmp_eq_u64_e64 s[28:29], v[0:1], v[22:23]
	v_lshrrev_b64 v[0:1], v18, v[20:21]
	v_mov_b32_e32 v2, v1
	v_mov_b32_e32 v1, v0
	s_and_saveexec_b64 s[48:49], s[28:29]
; %bb.3265:                             ;   in Loop: Header=BB6_2609 Depth=4
	v_bfe_u32 v1, v0, 20, 1
	v_add_co_u32_e64 v1, s[28:29], v0, v1
	v_add_co_u32_e64 v1, s[28:29], -1, v1
; %bb.3266:                             ;   in Loop: Header=BB6_2609 Depth=4
	s_or_b64 exec, exec, s[48:49]
	v_add_u32_e32 v2, 0xffffff81, v17
	v_mov_b32_e32 v17, 0xffffff82
	v_cndmask_b32_e32 v2, v2, v17, vcc
	v_lshrrev_b32_e32 v17, 23, v0
	v_add3_u32 v18, v18, v2, v17
	v_add_u32_e32 v17, 6, v18
	v_and_b32_e32 v1, 0xfffff, v1
	v_add_u32_e32 v20, v1, v0
	v_cmp_ne_u32_e32 vcc, 0, v17
                                        ; implicit-def: $vgpr0_vgpr1
                                        ; implicit-def: $vgpr2
	s_and_saveexec_b64 s[28:29], vcc
	s_xor_b64 s[28:29], exec, s[28:29]
; %bb.3267:                             ;   in Loop: Header=BB6_2609 Depth=4
	v_cmp_lt_u64_e32 vcc, s[88:89], v[20:21]
	v_add_u32_e32 v0, 7, v18
	v_cndmask_b32_e32 v2, v17, v0, vcc
	v_cndmask_b32_e64 v0, 0, 1, vcc
	v_lshrrev_b64 v[0:1], v0, v[20:21]
; %bb.3268:                             ;   in Loop: Header=BB6_2609 Depth=4
	s_andn2_saveexec_b64 s[28:29], s[28:29]
; %bb.3269:                             ;   in Loop: Header=BB6_2609 Depth=4
	v_mov_b32_e32 v0, v20
	v_bfe_u32 v2, v20, 23, 1
	v_mov_b32_e32 v1, v21
; %bb.3270:                             ;   in Loop: Header=BB6_2609 Depth=4
	s_or_b64 exec, exec, s[28:29]
	v_lshrrev_b64 v[0:1], 20, v[0:1]
	v_cmp_gt_i32_e32 vcc, 16, v2
	v_cndmask_b32_e32 v1, 0, v1, vcc
	v_cndmask_b32_e32 v0, 7, v0, vcc
	v_cmp_ne_u64_e32 vcc, 0, v[0:1]
	v_cmp_ne_u32_e64 s[28:29], 0, v2
	s_or_b64 s[28:29], s[28:29], vcc
                                        ; implicit-def: $vgpr18
	s_and_saveexec_b64 vcc, s[28:29]
	s_xor_b64 s[28:29], exec, vcc
; %bb.3271:                             ;   in Loop: Header=BB6_2609 Depth=4
	v_min_i32_e32 v1, 15, v2
	v_lshl_or_b32 v1, v1, 3, v16
	v_and_or_b32 v18, v0, 7, v1
                                        ; implicit-def: $vgpr16
; %bb.3272:                             ;   in Loop: Header=BB6_2609 Depth=4
	s_andn2_saveexec_b64 s[28:29], s[28:29]
; %bb.3273:                             ;   in Loop: Header=BB6_2609 Depth=4
	v_mov_b32_e32 v18, v16
; %bb.3274:                             ;   in Loop: Header=BB6_2609 Depth=4
	s_or_b64 exec, exec, s[28:29]
.LBB6_3275:                             ;   in Loop: Header=BB6_2609 Depth=4
	s_or_b64 exec, exec, s[38:39]
                                        ; implicit-def: $vgpr16
.LBB6_3276:                             ;   in Loop: Header=BB6_2609 Depth=4
	s_andn2_saveexec_b64 s[28:29], s[36:37]
; %bb.3277:                             ;   in Loop: Header=BB6_2609 Depth=4
	v_or_b32_e32 v18, 0x7e, v16
; %bb.3278:                             ;   in Loop: Header=BB6_2609 Depth=4
	s_or_b64 exec, exec, s[28:29]
                                        ; implicit-def: $vgpr0
.LBB6_3279:                             ;   in Loop: Header=BB6_2609 Depth=4
	s_andn2_saveexec_b64 s[28:29], s[34:35]
; %bb.3280:                             ;   in Loop: Header=BB6_2609 Depth=4
	v_or_b32_sdwa v18, v0, s81 dst_sel:DWORD dst_unused:UNUSED_PAD src0_sel:BYTE_3 src1_sel:DWORD
; %bb.3281:                             ;   in Loop: Header=BB6_2609 Depth=4
	s_or_b64 exec, exec, s[28:29]
	v_and_b32_e32 v0, 0xff, v43
	v_cmp_ne_u16_e32 vcc, 0, v0
	v_mov_b32_e32 v1, 0
	v_mov_b32_e32 v2, 0
	s_and_saveexec_b64 s[28:29], vcc
	s_cbranch_execz .LBB6_3287
; %bb.3282:                             ;   in Loop: Header=BB6_2609 Depth=4
	v_cmp_ne_u16_e32 vcc, s80, v0
	v_bfrev_b32_e32 v2, 1
	s_and_saveexec_b64 s[34:35], vcc
	s_cbranch_execz .LBB6_3286
; %bb.3283:                             ;   in Loop: Header=BB6_2609 Depth=4
	v_and_b32_e32 v16, 0x7f, v43
	v_cmp_ne_u32_e32 vcc, s81, v16
	v_mov_b32_e32 v2, 0x7f800001
	s_and_saveexec_b64 s[36:37], vcc
	s_cbranch_execz .LBB6_3285
; %bb.3284:                             ;   in Loop: Header=BB6_2609 Depth=4
	v_and_b32_e32 v2, 7, v0
	v_lshrrev_b32_e32 v19, 3, v16
	v_cmp_gt_u32_e32 vcc, 8, v16
	v_ffbh_u32_e32 v16, v2
	v_min_u32_e32 v20, 32, v16
	v_subrev_u32_e32 v16, 28, v20
	v_lshlrev_b64 v[16:17], v16, v[0:1]
	v_sub_u32_e32 v0, 29, v20
	v_and_b32_e32 v16, 7, v16
	v_cndmask_b32_e32 v0, v19, v0, vcc
	v_cndmask_b32_e32 v2, v2, v16, vcc
	v_lshlrev_b32_e32 v16, 24, v43
	v_bfrev_b32_e32 v17, 60
	v_lshlrev_b32_e32 v2, 20, v2
	v_and_b32_e32 v16, 0x80000000, v16
	v_lshl_add_u32 v0, v0, 23, v17
	v_or3_b32 v2, v16, v0, v2
.LBB6_3285:                             ;   in Loop: Header=BB6_2609 Depth=4
	s_or_b64 exec, exec, s[36:37]
.LBB6_3286:                             ;   in Loop: Header=BB6_2609 Depth=4
	s_or_b64 exec, exec, s[34:35]
.LBB6_3287:                             ;   in Loop: Header=BB6_2609 Depth=4
	s_or_b64 exec, exec, s[28:29]
	v_and_b32_e32 v0, 0xff, v41
	v_cmp_ne_u16_e32 vcc, 0, v0
	s_and_saveexec_b64 s[28:29], vcc
	s_cbranch_execz .LBB6_3293
; %bb.3288:                             ;   in Loop: Header=BB6_2609 Depth=4
	v_cmp_ne_u16_e32 vcc, s80, v0
	v_bfrev_b32_e32 v1, 1
	s_and_saveexec_b64 s[34:35], vcc
	s_cbranch_execz .LBB6_3292
; %bb.3289:                             ;   in Loop: Header=BB6_2609 Depth=4
	v_and_b32_e32 v16, 0x7f, v41
	v_cmp_ne_u32_e32 vcc, s81, v16
	v_mov_b32_e32 v1, 0x7f800001
	s_and_saveexec_b64 s[36:37], vcc
	s_cbranch_execz .LBB6_3291
; %bb.3290:                             ;   in Loop: Header=BB6_2609 Depth=4
	v_and_b32_e32 v17, 7, v0
	v_ffbh_u32_e32 v1, v17
	v_lshrrev_b32_e32 v19, 3, v16
	v_cmp_gt_u32_e32 vcc, 8, v16
	v_min_u32_e32 v16, 32, v1
	v_subrev_u32_e32 v1, 28, v16
	v_lshlrev_b64 v[0:1], v1, v[0:1]
	v_sub_u32_e32 v1, 29, v16
	v_and_b32_e32 v0, 7, v0
	v_cndmask_b32_e32 v1, v19, v1, vcc
	v_cndmask_b32_e32 v0, v17, v0, vcc
	v_lshlrev_b32_e32 v16, 24, v41
	v_bfrev_b32_e32 v17, 60
	v_lshlrev_b32_e32 v0, 20, v0
	v_and_b32_e32 v16, 0x80000000, v16
	v_lshl_add_u32 v1, v1, 23, v17
	v_or3_b32 v1, v16, v1, v0
.LBB6_3291:                             ;   in Loop: Header=BB6_2609 Depth=4
	s_or_b64 exec, exec, s[36:37]
.LBB6_3292:                             ;   in Loop: Header=BB6_2609 Depth=4
	s_or_b64 exec, exec, s[34:35]
.LBB6_3293:                             ;   in Loop: Header=BB6_2609 Depth=4
	s_or_b64 exec, exec, s[28:29]
	v_mul_f32_e32 v0, v2, v1
	v_and_b32_e32 v20, 0x7f800000, v0
	v_cmp_ne_u64_e32 vcc, s[62:63], v[20:21]
                                        ; implicit-def: $vgpr23
	s_and_saveexec_b64 s[28:29], vcc
	s_xor_b64 s[34:35], exec, s[28:29]
	s_cbranch_execz .LBB6_3311
; %bb.3294:                             ;   in Loop: Header=BB6_2609 Depth=4
	v_and_b32_e32 v20, 0x7fffffff, v0
	v_cmp_gt_u64_e32 vcc, s[78:79], v[20:21]
	v_and_b32_sdwa v16, v0, s80 dst_sel:DWORD dst_unused:UNUSED_PAD src0_sel:BYTE_3 src1_sel:DWORD
                                        ; implicit-def: $vgpr23
	s_and_saveexec_b64 s[28:29], vcc
	s_xor_b64 s[36:37], exec, s[28:29]
	s_cbranch_execz .LBB6_3308
; %bb.3295:                             ;   in Loop: Header=BB6_2609 Depth=4
	v_cmp_ne_u32_e32 vcc, 0, v0
	v_mov_b32_e32 v23, 0
	s_and_saveexec_b64 s[38:39], vcc
	s_cbranch_execz .LBB6_3307
; %bb.3296:                             ;   in Loop: Header=BB6_2609 Depth=4
	v_bfe_u32 v17, v0, 23, 8
	v_and_b32_e32 v1, 0x7fffff, v0
	v_cmp_gt_u32_e64 s[28:29], s47, v17
	v_sub_u32_e32 v0, 0x79, v17
	v_cmp_eq_u32_e32 vcc, 0, v17
	v_cndmask_b32_e64 v0, 0, v0, s[28:29]
	v_mov_b32_e32 v19, 0x78
	v_cndmask_b32_e32 v19, v0, v19, vcc
	v_or_b32_e32 v2, 0x800000, v1
	v_add_u32_e32 v0, 20, v19
	v_cndmask_b32_e32 v20, v2, v1, vcc
	v_lshlrev_b64 v[0:1], v0, -1
	v_add_u32_e32 v2, 19, v19
	v_lshlrev_b64 v[22:23], v2, 1
	v_bfi_b32 v1, v1, 0, 0
	v_bfi_b32 v0, v0, 0, v20
	v_cmp_eq_u64_e64 s[28:29], v[0:1], v[22:23]
	v_lshrrev_b64 v[0:1], v19, v[20:21]
	v_mov_b32_e32 v2, v1
	v_mov_b32_e32 v1, v0
	s_and_saveexec_b64 s[48:49], s[28:29]
; %bb.3297:                             ;   in Loop: Header=BB6_2609 Depth=4
	v_bfe_u32 v1, v0, 20, 1
	v_add_co_u32_e64 v1, s[28:29], v0, v1
	v_add_co_u32_e64 v1, s[28:29], -1, v1
; %bb.3298:                             ;   in Loop: Header=BB6_2609 Depth=4
	s_or_b64 exec, exec, s[48:49]
	v_add_u32_e32 v2, 0xffffff81, v17
	v_mov_b32_e32 v17, 0xffffff82
	v_cndmask_b32_e32 v2, v2, v17, vcc
	v_lshrrev_b32_e32 v17, 23, v0
	v_add3_u32 v19, v19, v2, v17
	v_add_u32_e32 v17, 6, v19
	v_and_b32_e32 v1, 0xfffff, v1
	v_add_u32_e32 v20, v1, v0
	v_cmp_ne_u32_e32 vcc, 0, v17
                                        ; implicit-def: $vgpr0_vgpr1
                                        ; implicit-def: $vgpr2
	s_and_saveexec_b64 s[28:29], vcc
	s_xor_b64 s[28:29], exec, s[28:29]
; %bb.3299:                             ;   in Loop: Header=BB6_2609 Depth=4
	v_cmp_lt_u64_e32 vcc, s[88:89], v[20:21]
	v_add_u32_e32 v0, 7, v19
	v_cndmask_b32_e32 v2, v17, v0, vcc
	v_cndmask_b32_e64 v0, 0, 1, vcc
	v_lshrrev_b64 v[0:1], v0, v[20:21]
; %bb.3300:                             ;   in Loop: Header=BB6_2609 Depth=4
	s_andn2_saveexec_b64 s[28:29], s[28:29]
; %bb.3301:                             ;   in Loop: Header=BB6_2609 Depth=4
	v_mov_b32_e32 v0, v20
	v_bfe_u32 v2, v20, 23, 1
	v_mov_b32_e32 v1, v21
; %bb.3302:                             ;   in Loop: Header=BB6_2609 Depth=4
	s_or_b64 exec, exec, s[28:29]
	v_lshrrev_b64 v[0:1], 20, v[0:1]
	v_cmp_gt_i32_e32 vcc, 16, v2
	v_cndmask_b32_e32 v1, 0, v1, vcc
	v_cndmask_b32_e32 v0, 7, v0, vcc
	v_cmp_ne_u64_e32 vcc, 0, v[0:1]
	v_cmp_ne_u32_e64 s[28:29], 0, v2
	s_or_b64 s[28:29], s[28:29], vcc
                                        ; implicit-def: $vgpr23
	s_and_saveexec_b64 vcc, s[28:29]
	s_xor_b64 s[28:29], exec, vcc
; %bb.3303:                             ;   in Loop: Header=BB6_2609 Depth=4
	v_min_i32_e32 v1, 15, v2
	v_lshl_or_b32 v1, v1, 3, v16
	v_and_or_b32 v23, v0, 7, v1
                                        ; implicit-def: $vgpr16
; %bb.3304:                             ;   in Loop: Header=BB6_2609 Depth=4
	s_andn2_saveexec_b64 s[28:29], s[28:29]
; %bb.3305:                             ;   in Loop: Header=BB6_2609 Depth=4
	v_mov_b32_e32 v23, v16
; %bb.3306:                             ;   in Loop: Header=BB6_2609 Depth=4
	s_or_b64 exec, exec, s[28:29]
.LBB6_3307:                             ;   in Loop: Header=BB6_2609 Depth=4
	s_or_b64 exec, exec, s[38:39]
                                        ; implicit-def: $vgpr16
.LBB6_3308:                             ;   in Loop: Header=BB6_2609 Depth=4
	s_andn2_saveexec_b64 s[28:29], s[36:37]
; %bb.3309:                             ;   in Loop: Header=BB6_2609 Depth=4
	v_or_b32_e32 v23, 0x7e, v16
; %bb.3310:                             ;   in Loop: Header=BB6_2609 Depth=4
	s_or_b64 exec, exec, s[28:29]
                                        ; implicit-def: $vgpr0
.LBB6_3311:                             ;   in Loop: Header=BB6_2609 Depth=4
	s_andn2_saveexec_b64 s[28:29], s[34:35]
; %bb.3312:                             ;   in Loop: Header=BB6_2609 Depth=4
	v_or_b32_sdwa v23, v0, s81 dst_sel:DWORD dst_unused:UNUSED_PAD src0_sel:BYTE_3 src1_sel:DWORD
; %bb.3313:                             ;   in Loop: Header=BB6_2609 Depth=4
	s_or_b64 exec, exec, s[28:29]
	buffer_load_dword v0, off, s[0:3], s33 offset:164 ; 4-byte Folded Reload
	v_mov_b32_e32 v1, 0
	v_mov_b32_e32 v2, 0
	s_waitcnt vmcnt(0)
	v_and_b32_e32 v0, 0xff, v0
	v_cmp_ne_u16_e32 vcc, 0, v0
	s_and_saveexec_b64 s[28:29], vcc
	s_cbranch_execz .LBB6_3319
; %bb.3314:                             ;   in Loop: Header=BB6_2609 Depth=4
	v_cmp_ne_u16_e32 vcc, s80, v0
	v_bfrev_b32_e32 v2, 1
	s_and_saveexec_b64 s[34:35], vcc
	s_cbranch_execz .LBB6_3318
; %bb.3315:                             ;   in Loop: Header=BB6_2609 Depth=4
	buffer_load_dword v22, off, s[0:3], s33 offset:164 ; 4-byte Folded Reload
	v_mov_b32_e32 v2, 0x7f800001
	s_waitcnt vmcnt(0)
	v_and_b32_e32 v16, 0x7f, v22
	v_cmp_ne_u32_e32 vcc, s81, v16
	s_and_saveexec_b64 s[36:37], vcc
	s_cbranch_execz .LBB6_3317
; %bb.3316:                             ;   in Loop: Header=BB6_2609 Depth=4
	v_and_b32_e32 v2, 7, v0
	v_lshrrev_b32_e32 v19, 3, v16
	v_cmp_gt_u32_e32 vcc, 8, v16
	v_ffbh_u32_e32 v16, v2
	v_min_u32_e32 v20, 32, v16
	v_subrev_u32_e32 v16, 28, v20
	v_lshlrev_b64 v[16:17], v16, v[0:1]
	v_sub_u32_e32 v0, 29, v20
	v_and_b32_e32 v16, 7, v16
	v_cndmask_b32_e32 v0, v19, v0, vcc
	v_cndmask_b32_e32 v2, v2, v16, vcc
	v_lshlrev_b32_e32 v16, 24, v22
	v_bfrev_b32_e32 v17, 60
	v_lshlrev_b32_e32 v2, 20, v2
	v_and_b32_e32 v16, 0x80000000, v16
	v_lshl_add_u32 v0, v0, 23, v17
	v_or3_b32 v2, v16, v0, v2
.LBB6_3317:                             ;   in Loop: Header=BB6_2609 Depth=4
	s_or_b64 exec, exec, s[36:37]
.LBB6_3318:                             ;   in Loop: Header=BB6_2609 Depth=4
	s_or_b64 exec, exec, s[34:35]
.LBB6_3319:                             ;   in Loop: Header=BB6_2609 Depth=4
	s_or_b64 exec, exec, s[28:29]
	buffer_load_dword v0, off, s[0:3], s33 offset:160 ; 4-byte Folded Reload
	s_waitcnt vmcnt(0)
	v_and_b32_e32 v0, 0xff, v0
	v_cmp_ne_u16_e32 vcc, 0, v0
	s_and_saveexec_b64 s[28:29], vcc
	s_cbranch_execz .LBB6_3325
; %bb.3320:                             ;   in Loop: Header=BB6_2609 Depth=4
	v_cmp_ne_u16_e32 vcc, s80, v0
	v_bfrev_b32_e32 v1, 1
	s_and_saveexec_b64 s[34:35], vcc
	s_cbranch_execz .LBB6_3324
; %bb.3321:                             ;   in Loop: Header=BB6_2609 Depth=4
	buffer_load_dword v20, off, s[0:3], s33 offset:160 ; 4-byte Folded Reload
	v_mov_b32_e32 v1, 0x7f800001
	s_waitcnt vmcnt(0)
	v_and_b32_e32 v16, 0x7f, v20
	v_cmp_ne_u32_e32 vcc, s81, v16
	s_and_saveexec_b64 s[36:37], vcc
	s_cbranch_execz .LBB6_3323
; %bb.3322:                             ;   in Loop: Header=BB6_2609 Depth=4
	v_and_b32_e32 v17, 7, v0
	v_ffbh_u32_e32 v1, v17
	v_lshrrev_b32_e32 v19, 3, v16
	v_cmp_gt_u32_e32 vcc, 8, v16
	v_min_u32_e32 v16, 32, v1
	v_subrev_u32_e32 v1, 28, v16
	v_lshlrev_b64 v[0:1], v1, v[0:1]
	v_sub_u32_e32 v1, 29, v16
	v_and_b32_e32 v0, 7, v0
	v_cndmask_b32_e32 v1, v19, v1, vcc
	v_cndmask_b32_e32 v0, v17, v0, vcc
	v_lshlrev_b32_e32 v16, 24, v20
	v_bfrev_b32_e32 v17, 60
	v_lshlrev_b32_e32 v0, 20, v0
	v_and_b32_e32 v16, 0x80000000, v16
	v_lshl_add_u32 v1, v1, 23, v17
	v_or3_b32 v1, v16, v1, v0
.LBB6_3323:                             ;   in Loop: Header=BB6_2609 Depth=4
	s_or_b64 exec, exec, s[36:37]
.LBB6_3324:                             ;   in Loop: Header=BB6_2609 Depth=4
	s_or_b64 exec, exec, s[34:35]
.LBB6_3325:                             ;   in Loop: Header=BB6_2609 Depth=4
	s_or_b64 exec, exec, s[28:29]
	v_mul_f32_e32 v0, v2, v1
	v_and_b32_e32 v20, 0x7f800000, v0
	v_cmp_ne_u64_e32 vcc, s[62:63], v[20:21]
                                        ; implicit-def: $vgpr24
	s_and_saveexec_b64 s[28:29], vcc
	s_xor_b64 s[34:35], exec, s[28:29]
	s_cbranch_execz .LBB6_3343
; %bb.3326:                             ;   in Loop: Header=BB6_2609 Depth=4
	v_and_b32_e32 v20, 0x7fffffff, v0
	v_cmp_gt_u64_e32 vcc, s[78:79], v[20:21]
	v_and_b32_sdwa v16, v0, s80 dst_sel:DWORD dst_unused:UNUSED_PAD src0_sel:BYTE_3 src1_sel:DWORD
                                        ; implicit-def: $vgpr24
	s_and_saveexec_b64 s[28:29], vcc
	s_xor_b64 s[36:37], exec, s[28:29]
	s_cbranch_execz .LBB6_3340
; %bb.3327:                             ;   in Loop: Header=BB6_2609 Depth=4
	v_cmp_ne_u32_e32 vcc, 0, v0
	v_mov_b32_e32 v24, 0
	s_and_saveexec_b64 s[38:39], vcc
	s_cbranch_execz .LBB6_3339
; %bb.3328:                             ;   in Loop: Header=BB6_2609 Depth=4
	v_bfe_u32 v17, v0, 23, 8
	v_and_b32_e32 v1, 0x7fffff, v0
	v_cmp_gt_u32_e64 s[28:29], s47, v17
	v_sub_u32_e32 v0, 0x79, v17
	v_cmp_eq_u32_e32 vcc, 0, v17
	v_cndmask_b32_e64 v0, 0, v0, s[28:29]
	v_mov_b32_e32 v19, 0x78
	v_cndmask_b32_e32 v19, v0, v19, vcc
	v_or_b32_e32 v2, 0x800000, v1
	v_add_u32_e32 v0, 20, v19
	v_cndmask_b32_e32 v20, v2, v1, vcc
	v_lshlrev_b64 v[0:1], v0, -1
	v_add_u32_e32 v2, 19, v19
	v_lshlrev_b64 v[24:25], v2, 1
	v_bfi_b32 v1, v1, 0, 0
	v_bfi_b32 v0, v0, 0, v20
	v_cmp_eq_u64_e64 s[28:29], v[0:1], v[24:25]
	v_lshrrev_b64 v[0:1], v19, v[20:21]
	v_mov_b32_e32 v2, v1
	v_mov_b32_e32 v1, v0
	s_and_saveexec_b64 s[48:49], s[28:29]
; %bb.3329:                             ;   in Loop: Header=BB6_2609 Depth=4
	v_bfe_u32 v1, v0, 20, 1
	v_add_co_u32_e64 v1, s[28:29], v0, v1
	v_add_co_u32_e64 v1, s[28:29], -1, v1
; %bb.3330:                             ;   in Loop: Header=BB6_2609 Depth=4
	s_or_b64 exec, exec, s[48:49]
	v_add_u32_e32 v2, 0xffffff81, v17
	v_mov_b32_e32 v17, 0xffffff82
	v_cndmask_b32_e32 v2, v2, v17, vcc
	v_lshrrev_b32_e32 v17, 23, v0
	v_add3_u32 v19, v19, v2, v17
	v_add_u32_e32 v17, 6, v19
	v_and_b32_e32 v1, 0xfffff, v1
	v_add_u32_e32 v20, v1, v0
	v_cmp_ne_u32_e32 vcc, 0, v17
                                        ; implicit-def: $vgpr0_vgpr1
                                        ; implicit-def: $vgpr2
	s_and_saveexec_b64 s[28:29], vcc
	s_xor_b64 s[28:29], exec, s[28:29]
; %bb.3331:                             ;   in Loop: Header=BB6_2609 Depth=4
	v_cmp_lt_u64_e32 vcc, s[88:89], v[20:21]
	v_add_u32_e32 v0, 7, v19
	v_cndmask_b32_e32 v2, v17, v0, vcc
	v_cndmask_b32_e64 v0, 0, 1, vcc
	v_lshrrev_b64 v[0:1], v0, v[20:21]
; %bb.3332:                             ;   in Loop: Header=BB6_2609 Depth=4
	s_andn2_saveexec_b64 s[28:29], s[28:29]
; %bb.3333:                             ;   in Loop: Header=BB6_2609 Depth=4
	v_mov_b32_e32 v0, v20
	v_bfe_u32 v2, v20, 23, 1
	v_mov_b32_e32 v1, v21
; %bb.3334:                             ;   in Loop: Header=BB6_2609 Depth=4
	s_or_b64 exec, exec, s[28:29]
	v_lshrrev_b64 v[0:1], 20, v[0:1]
	v_cmp_gt_i32_e32 vcc, 16, v2
	v_cndmask_b32_e32 v1, 0, v1, vcc
	v_cndmask_b32_e32 v0, 7, v0, vcc
	v_cmp_ne_u64_e32 vcc, 0, v[0:1]
	v_cmp_ne_u32_e64 s[28:29], 0, v2
	s_or_b64 s[28:29], s[28:29], vcc
                                        ; implicit-def: $vgpr24
	s_and_saveexec_b64 vcc, s[28:29]
	s_xor_b64 s[28:29], exec, vcc
; %bb.3335:                             ;   in Loop: Header=BB6_2609 Depth=4
	v_min_i32_e32 v1, 15, v2
	v_lshl_or_b32 v1, v1, 3, v16
	v_and_or_b32 v24, v0, 7, v1
                                        ; implicit-def: $vgpr16
; %bb.3336:                             ;   in Loop: Header=BB6_2609 Depth=4
	s_andn2_saveexec_b64 s[28:29], s[28:29]
; %bb.3337:                             ;   in Loop: Header=BB6_2609 Depth=4
	v_mov_b32_e32 v24, v16
; %bb.3338:                             ;   in Loop: Header=BB6_2609 Depth=4
	s_or_b64 exec, exec, s[28:29]
.LBB6_3339:                             ;   in Loop: Header=BB6_2609 Depth=4
	s_or_b64 exec, exec, s[38:39]
                                        ; implicit-def: $vgpr16
.LBB6_3340:                             ;   in Loop: Header=BB6_2609 Depth=4
	s_andn2_saveexec_b64 s[28:29], s[36:37]
; %bb.3341:                             ;   in Loop: Header=BB6_2609 Depth=4
	v_or_b32_e32 v24, 0x7e, v16
; %bb.3342:                             ;   in Loop: Header=BB6_2609 Depth=4
	s_or_b64 exec, exec, s[28:29]
                                        ; implicit-def: $vgpr0
.LBB6_3343:                             ;   in Loop: Header=BB6_2609 Depth=4
	s_andn2_saveexec_b64 s[28:29], s[34:35]
; %bb.3344:                             ;   in Loop: Header=BB6_2609 Depth=4
	v_or_b32_sdwa v24, v0, s81 dst_sel:DWORD dst_unused:UNUSED_PAD src0_sel:BYTE_3 src1_sel:DWORD
; %bb.3345:                             ;   in Loop: Header=BB6_2609 Depth=4
	s_or_b64 exec, exec, s[28:29]
	buffer_load_dword v0, off, s[0:3], s33 offset:156 ; 4-byte Folded Reload
	v_mov_b32_e32 v1, 0
	v_mov_b32_e32 v2, 0
	s_waitcnt vmcnt(0)
	v_and_b32_e32 v0, 0xff, v0
	v_cmp_ne_u16_e32 vcc, 0, v0
	s_and_saveexec_b64 s[28:29], vcc
	s_cbranch_execz .LBB6_3351
; %bb.3346:                             ;   in Loop: Header=BB6_2609 Depth=4
	v_cmp_ne_u16_e32 vcc, s80, v0
	v_bfrev_b32_e32 v2, 1
	s_and_saveexec_b64 s[34:35], vcc
	s_cbranch_execz .LBB6_3350
; %bb.3347:                             ;   in Loop: Header=BB6_2609 Depth=4
	buffer_load_dword v22, off, s[0:3], s33 offset:156 ; 4-byte Folded Reload
	v_mov_b32_e32 v2, 0x7f800001
	s_waitcnt vmcnt(0)
	v_and_b32_e32 v16, 0x7f, v22
	v_cmp_ne_u32_e32 vcc, s81, v16
	s_and_saveexec_b64 s[36:37], vcc
	s_cbranch_execz .LBB6_3349
; %bb.3348:                             ;   in Loop: Header=BB6_2609 Depth=4
	v_and_b32_e32 v2, 7, v0
	v_lshrrev_b32_e32 v19, 3, v16
	v_cmp_gt_u32_e32 vcc, 8, v16
	v_ffbh_u32_e32 v16, v2
	v_min_u32_e32 v20, 32, v16
	v_subrev_u32_e32 v16, 28, v20
	v_lshlrev_b64 v[16:17], v16, v[0:1]
	v_sub_u32_e32 v0, 29, v20
	v_and_b32_e32 v16, 7, v16
	v_cndmask_b32_e32 v0, v19, v0, vcc
	v_cndmask_b32_e32 v2, v2, v16, vcc
	v_lshlrev_b32_e32 v16, 24, v22
	v_bfrev_b32_e32 v17, 60
	v_lshlrev_b32_e32 v2, 20, v2
	v_and_b32_e32 v16, 0x80000000, v16
	v_lshl_add_u32 v0, v0, 23, v17
	v_or3_b32 v2, v16, v0, v2
.LBB6_3349:                             ;   in Loop: Header=BB6_2609 Depth=4
	s_or_b64 exec, exec, s[36:37]
.LBB6_3350:                             ;   in Loop: Header=BB6_2609 Depth=4
	s_or_b64 exec, exec, s[34:35]
.LBB6_3351:                             ;   in Loop: Header=BB6_2609 Depth=4
	s_or_b64 exec, exec, s[28:29]
	buffer_load_dword v0, off, s[0:3], s33 offset:152 ; 4-byte Folded Reload
	s_waitcnt vmcnt(0)
	v_and_b32_e32 v0, 0xff, v0
	v_cmp_ne_u16_e32 vcc, 0, v0
	s_and_saveexec_b64 s[28:29], vcc
	s_cbranch_execz .LBB6_3357
; %bb.3352:                             ;   in Loop: Header=BB6_2609 Depth=4
	v_cmp_ne_u16_e32 vcc, s80, v0
	v_bfrev_b32_e32 v1, 1
	s_and_saveexec_b64 s[34:35], vcc
	s_cbranch_execz .LBB6_3356
; %bb.3353:                             ;   in Loop: Header=BB6_2609 Depth=4
	buffer_load_dword v20, off, s[0:3], s33 offset:152 ; 4-byte Folded Reload
	v_mov_b32_e32 v1, 0x7f800001
	s_waitcnt vmcnt(0)
	v_and_b32_e32 v16, 0x7f, v20
	v_cmp_ne_u32_e32 vcc, s81, v16
	s_and_saveexec_b64 s[36:37], vcc
	s_cbranch_execz .LBB6_3355
; %bb.3354:                             ;   in Loop: Header=BB6_2609 Depth=4
	v_and_b32_e32 v17, 7, v0
	v_ffbh_u32_e32 v1, v17
	v_lshrrev_b32_e32 v19, 3, v16
	v_cmp_gt_u32_e32 vcc, 8, v16
	v_min_u32_e32 v16, 32, v1
	v_subrev_u32_e32 v1, 28, v16
	v_lshlrev_b64 v[0:1], v1, v[0:1]
	v_sub_u32_e32 v1, 29, v16
	v_and_b32_e32 v0, 7, v0
	v_cndmask_b32_e32 v1, v19, v1, vcc
	v_cndmask_b32_e32 v0, v17, v0, vcc
	v_lshlrev_b32_e32 v16, 24, v20
	v_bfrev_b32_e32 v17, 60
	v_lshlrev_b32_e32 v0, 20, v0
	v_and_b32_e32 v16, 0x80000000, v16
	v_lshl_add_u32 v1, v1, 23, v17
	v_or3_b32 v1, v16, v1, v0
.LBB6_3355:                             ;   in Loop: Header=BB6_2609 Depth=4
	s_or_b64 exec, exec, s[36:37]
.LBB6_3356:                             ;   in Loop: Header=BB6_2609 Depth=4
	s_or_b64 exec, exec, s[34:35]
.LBB6_3357:                             ;   in Loop: Header=BB6_2609 Depth=4
	s_or_b64 exec, exec, s[28:29]
	v_mul_f32_e32 v0, v2, v1
	v_and_b32_e32 v20, 0x7f800000, v0
	v_cmp_ne_u64_e32 vcc, s[62:63], v[20:21]
                                        ; implicit-def: $vgpr16
	s_and_saveexec_b64 s[28:29], vcc
	s_xor_b64 s[34:35], exec, s[28:29]
	s_cbranch_execz .LBB6_3375
; %bb.3358:                             ;   in Loop: Header=BB6_2609 Depth=4
	v_and_b32_e32 v20, 0x7fffffff, v0
	v_cmp_gt_u64_e32 vcc, s[78:79], v[20:21]
	v_and_b32_sdwa v17, v0, s80 dst_sel:DWORD dst_unused:UNUSED_PAD src0_sel:BYTE_3 src1_sel:DWORD
                                        ; implicit-def: $vgpr16
	s_and_saveexec_b64 s[28:29], vcc
	s_xor_b64 s[36:37], exec, s[28:29]
	s_cbranch_execz .LBB6_3372
; %bb.3359:                             ;   in Loop: Header=BB6_2609 Depth=4
	v_cmp_ne_u32_e32 vcc, 0, v0
	v_mov_b32_e32 v16, 0
	s_and_saveexec_b64 s[38:39], vcc
	s_cbranch_execz .LBB6_3371
; %bb.3360:                             ;   in Loop: Header=BB6_2609 Depth=4
	v_bfe_u32 v16, v0, 23, 8
	v_and_b32_e32 v1, 0x7fffff, v0
	v_cmp_gt_u32_e64 s[28:29], s47, v16
	v_sub_u32_e32 v0, 0x79, v16
	v_cmp_eq_u32_e32 vcc, 0, v16
	v_cndmask_b32_e64 v0, 0, v0, s[28:29]
	v_mov_b32_e32 v19, 0x78
	v_cndmask_b32_e32 v19, v0, v19, vcc
	v_or_b32_e32 v2, 0x800000, v1
	v_add_u32_e32 v0, 20, v19
	v_cndmask_b32_e32 v20, v2, v1, vcc
	v_lshlrev_b64 v[0:1], v0, -1
	v_add_u32_e32 v2, 19, v19
	v_lshlrev_b64 v[25:26], v2, 1
	v_bfi_b32 v1, v1, 0, 0
	v_bfi_b32 v0, v0, 0, v20
	v_cmp_eq_u64_e64 s[28:29], v[0:1], v[25:26]
	v_lshrrev_b64 v[0:1], v19, v[20:21]
	v_mov_b32_e32 v2, v1
	v_mov_b32_e32 v1, v0
	s_and_saveexec_b64 s[48:49], s[28:29]
; %bb.3361:                             ;   in Loop: Header=BB6_2609 Depth=4
	v_bfe_u32 v1, v0, 20, 1
	v_add_co_u32_e64 v1, s[28:29], v0, v1
	v_add_co_u32_e64 v1, s[28:29], -1, v1
; %bb.3362:                             ;   in Loop: Header=BB6_2609 Depth=4
	s_or_b64 exec, exec, s[48:49]
	v_add_u32_e32 v2, 0xffffff81, v16
	v_mov_b32_e32 v16, 0xffffff82
	v_cndmask_b32_e32 v2, v2, v16, vcc
	v_lshrrev_b32_e32 v16, 23, v0
	v_add3_u32 v19, v19, v2, v16
	v_add_u32_e32 v16, 6, v19
	v_and_b32_e32 v1, 0xfffff, v1
	v_add_u32_e32 v20, v1, v0
	v_cmp_ne_u32_e32 vcc, 0, v16
                                        ; implicit-def: $vgpr0_vgpr1
                                        ; implicit-def: $vgpr2
	s_and_saveexec_b64 s[28:29], vcc
	s_xor_b64 s[28:29], exec, s[28:29]
; %bb.3363:                             ;   in Loop: Header=BB6_2609 Depth=4
	v_cmp_lt_u64_e32 vcc, s[88:89], v[20:21]
	v_add_u32_e32 v0, 7, v19
	v_cndmask_b32_e32 v2, v16, v0, vcc
	v_cndmask_b32_e64 v0, 0, 1, vcc
	v_lshrrev_b64 v[0:1], v0, v[20:21]
; %bb.3364:                             ;   in Loop: Header=BB6_2609 Depth=4
	s_andn2_saveexec_b64 s[28:29], s[28:29]
; %bb.3365:                             ;   in Loop: Header=BB6_2609 Depth=4
	v_mov_b32_e32 v0, v20
	v_bfe_u32 v2, v20, 23, 1
	v_mov_b32_e32 v1, v21
; %bb.3366:                             ;   in Loop: Header=BB6_2609 Depth=4
	s_or_b64 exec, exec, s[28:29]
	v_lshrrev_b64 v[0:1], 20, v[0:1]
	v_cmp_gt_i32_e32 vcc, 16, v2
	v_cndmask_b32_e32 v1, 0, v1, vcc
	v_cndmask_b32_e32 v0, 7, v0, vcc
	v_cmp_ne_u64_e32 vcc, 0, v[0:1]
	v_cmp_ne_u32_e64 s[28:29], 0, v2
	s_or_b64 s[28:29], s[28:29], vcc
                                        ; implicit-def: $vgpr16
	s_and_saveexec_b64 vcc, s[28:29]
	s_xor_b64 s[28:29], exec, vcc
; %bb.3367:                             ;   in Loop: Header=BB6_2609 Depth=4
	v_min_i32_e32 v1, 15, v2
	v_lshl_or_b32 v1, v1, 3, v17
	v_and_or_b32 v16, v0, 7, v1
                                        ; implicit-def: $vgpr17
; %bb.3368:                             ;   in Loop: Header=BB6_2609 Depth=4
	s_andn2_saveexec_b64 s[28:29], s[28:29]
; %bb.3369:                             ;   in Loop: Header=BB6_2609 Depth=4
	v_mov_b32_e32 v16, v17
; %bb.3370:                             ;   in Loop: Header=BB6_2609 Depth=4
	s_or_b64 exec, exec, s[28:29]
.LBB6_3371:                             ;   in Loop: Header=BB6_2609 Depth=4
	s_or_b64 exec, exec, s[38:39]
                                        ; implicit-def: $vgpr17
.LBB6_3372:                             ;   in Loop: Header=BB6_2609 Depth=4
	s_andn2_saveexec_b64 s[28:29], s[36:37]
; %bb.3373:                             ;   in Loop: Header=BB6_2609 Depth=4
	v_or_b32_e32 v16, 0x7e, v17
; %bb.3374:                             ;   in Loop: Header=BB6_2609 Depth=4
	s_or_b64 exec, exec, s[28:29]
                                        ; implicit-def: $vgpr0
.LBB6_3375:                             ;   in Loop: Header=BB6_2609 Depth=4
	s_andn2_saveexec_b64 s[28:29], s[34:35]
; %bb.3376:                             ;   in Loop: Header=BB6_2609 Depth=4
	v_or_b32_sdwa v16, v0, s81 dst_sel:DWORD dst_unused:UNUSED_PAD src0_sel:BYTE_3 src1_sel:DWORD
; %bb.3377:                             ;   in Loop: Header=BB6_2609 Depth=4
	s_or_b64 exec, exec, s[28:29]
	buffer_load_dword v0, off, s[0:3], s33 offset:148 ; 4-byte Folded Reload
	v_mov_b32_e32 v1, 0
	v_mov_b32_e32 v2, 0
	s_waitcnt vmcnt(0)
	v_and_b32_e32 v0, 0xff, v0
	v_cmp_ne_u16_e32 vcc, 0, v0
	s_and_saveexec_b64 s[28:29], vcc
	s_cbranch_execz .LBB6_3383
; %bb.3378:                             ;   in Loop: Header=BB6_2609 Depth=4
	v_cmp_ne_u16_e32 vcc, s80, v0
	v_bfrev_b32_e32 v2, 1
	s_and_saveexec_b64 s[34:35], vcc
	s_cbranch_execz .LBB6_3382
; %bb.3379:                             ;   in Loop: Header=BB6_2609 Depth=4
	buffer_load_dword v25, off, s[0:3], s33 offset:148 ; 4-byte Folded Reload
	v_mov_b32_e32 v2, 0x7f800001
	s_waitcnt vmcnt(0)
	v_and_b32_e32 v17, 0x7f, v25
	v_cmp_ne_u32_e32 vcc, s81, v17
	s_and_saveexec_b64 s[36:37], vcc
	s_cbranch_execz .LBB6_3381
; %bb.3380:                             ;   in Loop: Header=BB6_2609 Depth=4
	v_and_b32_e32 v2, 7, v0
	v_lshrrev_b32_e32 v22, 3, v17
	v_cmp_gt_u32_e32 vcc, 8, v17
	v_ffbh_u32_e32 v17, v2
	v_min_u32_e32 v17, 32, v17
	v_subrev_u32_e32 v19, 28, v17
	v_lshlrev_b64 v[19:20], v19, v[0:1]
	v_sub_u32_e32 v0, 29, v17
	v_and_b32_e32 v17, 7, v19
	v_cndmask_b32_e32 v0, v22, v0, vcc
	v_cndmask_b32_e32 v2, v2, v17, vcc
	v_lshlrev_b32_e32 v17, 24, v25
	v_bfrev_b32_e32 v19, 60
	v_lshlrev_b32_e32 v2, 20, v2
	v_and_b32_e32 v17, 0x80000000, v17
	v_lshl_add_u32 v0, v0, 23, v19
	v_or3_b32 v2, v17, v0, v2
.LBB6_3381:                             ;   in Loop: Header=BB6_2609 Depth=4
	s_or_b64 exec, exec, s[36:37]
.LBB6_3382:                             ;   in Loop: Header=BB6_2609 Depth=4
	s_or_b64 exec, exec, s[34:35]
.LBB6_3383:                             ;   in Loop: Header=BB6_2609 Depth=4
	s_or_b64 exec, exec, s[28:29]
	buffer_load_dword v0, off, s[0:3], s33 offset:144 ; 4-byte Folded Reload
	s_waitcnt vmcnt(0)
	v_and_b32_e32 v0, 0xff, v0
	v_cmp_ne_u16_e32 vcc, 0, v0
	s_and_saveexec_b64 s[28:29], vcc
	s_cbranch_execz .LBB6_3389
; %bb.3384:                             ;   in Loop: Header=BB6_2609 Depth=4
	v_cmp_ne_u16_e32 vcc, s80, v0
	v_bfrev_b32_e32 v1, 1
	s_and_saveexec_b64 s[34:35], vcc
	s_cbranch_execz .LBB6_3388
; %bb.3385:                             ;   in Loop: Header=BB6_2609 Depth=4
	buffer_load_dword v22, off, s[0:3], s33 offset:144 ; 4-byte Folded Reload
	v_mov_b32_e32 v1, 0x7f800001
	s_waitcnt vmcnt(0)
	v_and_b32_e32 v17, 0x7f, v22
	v_cmp_ne_u32_e32 vcc, s81, v17
	s_and_saveexec_b64 s[36:37], vcc
	s_cbranch_execz .LBB6_3387
; %bb.3386:                             ;   in Loop: Header=BB6_2609 Depth=4
	v_and_b32_e32 v19, 7, v0
	v_ffbh_u32_e32 v1, v19
	v_lshrrev_b32_e32 v20, 3, v17
	v_cmp_gt_u32_e32 vcc, 8, v17
	v_min_u32_e32 v17, 32, v1
	v_subrev_u32_e32 v1, 28, v17
	v_lshlrev_b64 v[0:1], v1, v[0:1]
	v_sub_u32_e32 v1, 29, v17
	v_and_b32_e32 v0, 7, v0
	v_cndmask_b32_e32 v1, v20, v1, vcc
	v_cndmask_b32_e32 v0, v19, v0, vcc
	v_lshlrev_b32_e32 v17, 24, v22
	v_bfrev_b32_e32 v19, 60
	v_lshlrev_b32_e32 v0, 20, v0
	v_and_b32_e32 v17, 0x80000000, v17
	v_lshl_add_u32 v1, v1, 23, v19
	v_or3_b32 v1, v17, v1, v0
.LBB6_3387:                             ;   in Loop: Header=BB6_2609 Depth=4
	s_or_b64 exec, exec, s[36:37]
.LBB6_3388:                             ;   in Loop: Header=BB6_2609 Depth=4
	s_or_b64 exec, exec, s[34:35]
.LBB6_3389:                             ;   in Loop: Header=BB6_2609 Depth=4
	s_or_b64 exec, exec, s[28:29]
	v_mul_f32_e32 v0, v2, v1
	v_and_b32_e32 v20, 0x7f800000, v0
	v_cmp_ne_u64_e32 vcc, s[62:63], v[20:21]
                                        ; implicit-def: $vgpr17
	s_and_saveexec_b64 s[28:29], vcc
	s_xor_b64 s[34:35], exec, s[28:29]
	s_cbranch_execz .LBB6_3407
; %bb.3390:                             ;   in Loop: Header=BB6_2609 Depth=4
	v_and_b32_e32 v20, 0x7fffffff, v0
	v_cmp_gt_u64_e32 vcc, s[78:79], v[20:21]
	v_and_b32_sdwa v19, v0, s80 dst_sel:DWORD dst_unused:UNUSED_PAD src0_sel:BYTE_3 src1_sel:DWORD
                                        ; implicit-def: $vgpr17
	s_and_saveexec_b64 s[28:29], vcc
	s_xor_b64 s[36:37], exec, s[28:29]
	s_cbranch_execz .LBB6_3404
; %bb.3391:                             ;   in Loop: Header=BB6_2609 Depth=4
	v_cmp_ne_u32_e32 vcc, 0, v0
	v_mov_b32_e32 v17, 0
	s_and_saveexec_b64 s[38:39], vcc
	s_cbranch_execz .LBB6_3403
; %bb.3392:                             ;   in Loop: Header=BB6_2609 Depth=4
	v_bfe_u32 v17, v0, 23, 8
	v_and_b32_e32 v1, 0x7fffff, v0
	v_cmp_gt_u32_e64 s[28:29], s47, v17
	v_sub_u32_e32 v0, 0x79, v17
	v_cmp_eq_u32_e32 vcc, 0, v17
	v_cndmask_b32_e64 v0, 0, v0, s[28:29]
	v_mov_b32_e32 v20, 0x78
	v_cndmask_b32_e32 v22, v0, v20, vcc
	v_or_b32_e32 v2, 0x800000, v1
	v_add_u32_e32 v0, 20, v22
	v_cndmask_b32_e32 v20, v2, v1, vcc
	v_lshlrev_b64 v[0:1], v0, -1
	v_add_u32_e32 v2, 19, v22
	v_lshlrev_b64 v[25:26], v2, 1
	v_bfi_b32 v1, v1, 0, 0
	v_bfi_b32 v0, v0, 0, v20
	v_cmp_eq_u64_e64 s[28:29], v[0:1], v[25:26]
	v_lshrrev_b64 v[0:1], v22, v[20:21]
	v_mov_b32_e32 v2, v1
	v_mov_b32_e32 v1, v0
	s_and_saveexec_b64 s[48:49], s[28:29]
; %bb.3393:                             ;   in Loop: Header=BB6_2609 Depth=4
	v_bfe_u32 v1, v0, 20, 1
	v_add_co_u32_e64 v1, s[28:29], v0, v1
	v_add_co_u32_e64 v1, s[28:29], -1, v1
; %bb.3394:                             ;   in Loop: Header=BB6_2609 Depth=4
	s_or_b64 exec, exec, s[48:49]
	v_add_u32_e32 v2, 0xffffff81, v17
	v_mov_b32_e32 v17, 0xffffff82
	v_cndmask_b32_e32 v2, v2, v17, vcc
	v_lshrrev_b32_e32 v17, 23, v0
	v_add3_u32 v22, v22, v2, v17
	v_add_u32_e32 v17, 6, v22
	v_and_b32_e32 v1, 0xfffff, v1
	v_add_u32_e32 v20, v1, v0
	v_cmp_ne_u32_e32 vcc, 0, v17
                                        ; implicit-def: $vgpr0_vgpr1
                                        ; implicit-def: $vgpr2
	s_and_saveexec_b64 s[28:29], vcc
	s_xor_b64 s[28:29], exec, s[28:29]
; %bb.3395:                             ;   in Loop: Header=BB6_2609 Depth=4
	v_cmp_lt_u64_e32 vcc, s[88:89], v[20:21]
	v_add_u32_e32 v0, 7, v22
	v_cndmask_b32_e32 v2, v17, v0, vcc
	v_cndmask_b32_e64 v0, 0, 1, vcc
	v_lshrrev_b64 v[0:1], v0, v[20:21]
; %bb.3396:                             ;   in Loop: Header=BB6_2609 Depth=4
	s_andn2_saveexec_b64 s[28:29], s[28:29]
; %bb.3397:                             ;   in Loop: Header=BB6_2609 Depth=4
	v_mov_b32_e32 v0, v20
	v_bfe_u32 v2, v20, 23, 1
	v_mov_b32_e32 v1, v21
; %bb.3398:                             ;   in Loop: Header=BB6_2609 Depth=4
	s_or_b64 exec, exec, s[28:29]
	v_lshrrev_b64 v[0:1], 20, v[0:1]
	v_cmp_gt_i32_e32 vcc, 16, v2
	v_cndmask_b32_e32 v1, 0, v1, vcc
	v_cndmask_b32_e32 v0, 7, v0, vcc
	v_cmp_ne_u64_e32 vcc, 0, v[0:1]
	v_cmp_ne_u32_e64 s[28:29], 0, v2
	s_or_b64 s[28:29], s[28:29], vcc
                                        ; implicit-def: $vgpr17
	s_and_saveexec_b64 vcc, s[28:29]
	s_xor_b64 s[28:29], exec, vcc
; %bb.3399:                             ;   in Loop: Header=BB6_2609 Depth=4
	v_min_i32_e32 v1, 15, v2
	v_lshl_or_b32 v1, v1, 3, v19
	v_and_or_b32 v17, v0, 7, v1
                                        ; implicit-def: $vgpr19
; %bb.3400:                             ;   in Loop: Header=BB6_2609 Depth=4
	s_andn2_saveexec_b64 s[28:29], s[28:29]
; %bb.3401:                             ;   in Loop: Header=BB6_2609 Depth=4
	v_mov_b32_e32 v17, v19
; %bb.3402:                             ;   in Loop: Header=BB6_2609 Depth=4
	s_or_b64 exec, exec, s[28:29]
.LBB6_3403:                             ;   in Loop: Header=BB6_2609 Depth=4
	s_or_b64 exec, exec, s[38:39]
                                        ; implicit-def: $vgpr19
.LBB6_3404:                             ;   in Loop: Header=BB6_2609 Depth=4
	s_andn2_saveexec_b64 s[28:29], s[36:37]
; %bb.3405:                             ;   in Loop: Header=BB6_2609 Depth=4
	v_or_b32_e32 v17, 0x7e, v19
; %bb.3406:                             ;   in Loop: Header=BB6_2609 Depth=4
	s_or_b64 exec, exec, s[28:29]
                                        ; implicit-def: $vgpr0
.LBB6_3407:                             ;   in Loop: Header=BB6_2609 Depth=4
	s_andn2_saveexec_b64 s[28:29], s[34:35]
; %bb.3408:                             ;   in Loop: Header=BB6_2609 Depth=4
	v_or_b32_sdwa v17, v0, s81 dst_sel:DWORD dst_unused:UNUSED_PAD src0_sel:BYTE_3 src1_sel:DWORD
; %bb.3409:                             ;   in Loop: Header=BB6_2609 Depth=4
	s_or_b64 exec, exec, s[28:29]
	buffer_load_dword v0, off, s[0:3], s33 offset:140 ; 4-byte Folded Reload
	v_mov_b32_e32 v1, 0
	v_mov_b32_e32 v2, 0
	s_waitcnt vmcnt(0)
	v_and_b32_e32 v0, 0xff, v0
	v_cmp_ne_u16_e32 vcc, 0, v0
	s_and_saveexec_b64 s[28:29], vcc
	s_cbranch_execz .LBB6_3415
; %bb.3410:                             ;   in Loop: Header=BB6_2609 Depth=4
	v_cmp_ne_u16_e32 vcc, s80, v0
	v_bfrev_b32_e32 v2, 1
	s_and_saveexec_b64 s[34:35], vcc
	s_cbranch_execz .LBB6_3414
; %bb.3411:                             ;   in Loop: Header=BB6_2609 Depth=4
	buffer_load_dword v26, off, s[0:3], s33 offset:140 ; 4-byte Folded Reload
	v_mov_b32_e32 v2, 0x7f800001
	s_waitcnt vmcnt(0)
	v_and_b32_e32 v19, 0x7f, v26
	v_cmp_ne_u32_e32 vcc, s81, v19
	s_and_saveexec_b64 s[36:37], vcc
	s_cbranch_execz .LBB6_3413
; %bb.3412:                             ;   in Loop: Header=BB6_2609 Depth=4
	v_and_b32_e32 v2, 7, v0
	v_lshrrev_b32_e32 v22, 3, v19
	v_cmp_gt_u32_e32 vcc, 8, v19
	v_ffbh_u32_e32 v19, v2
	v_min_u32_e32 v25, 32, v19
	v_subrev_u32_e32 v19, 28, v25
	v_lshlrev_b64 v[19:20], v19, v[0:1]
	v_sub_u32_e32 v0, 29, v25
	v_and_b32_e32 v19, 7, v19
	v_cndmask_b32_e32 v0, v22, v0, vcc
	v_cndmask_b32_e32 v2, v2, v19, vcc
	v_lshlrev_b32_e32 v19, 24, v26
	v_bfrev_b32_e32 v20, 60
	v_lshlrev_b32_e32 v2, 20, v2
	v_and_b32_e32 v19, 0x80000000, v19
	v_lshl_add_u32 v0, v0, 23, v20
	v_or3_b32 v2, v19, v0, v2
.LBB6_3413:                             ;   in Loop: Header=BB6_2609 Depth=4
	s_or_b64 exec, exec, s[36:37]
.LBB6_3414:                             ;   in Loop: Header=BB6_2609 Depth=4
	s_or_b64 exec, exec, s[34:35]
.LBB6_3415:                             ;   in Loop: Header=BB6_2609 Depth=4
	s_or_b64 exec, exec, s[28:29]
	buffer_load_dword v0, off, s[0:3], s33 offset:136 ; 4-byte Folded Reload
	s_waitcnt vmcnt(0)
	v_and_b32_e32 v0, 0xff, v0
	v_cmp_ne_u16_e32 vcc, 0, v0
	s_and_saveexec_b64 s[28:29], vcc
	s_cbranch_execz .LBB6_3421
; %bb.3416:                             ;   in Loop: Header=BB6_2609 Depth=4
	v_cmp_ne_u16_e32 vcc, s80, v0
	v_bfrev_b32_e32 v1, 1
	s_and_saveexec_b64 s[34:35], vcc
	s_cbranch_execz .LBB6_3420
; %bb.3417:                             ;   in Loop: Header=BB6_2609 Depth=4
	buffer_load_dword v25, off, s[0:3], s33 offset:136 ; 4-byte Folded Reload
	v_mov_b32_e32 v1, 0x7f800001
	s_waitcnt vmcnt(0)
	v_and_b32_e32 v19, 0x7f, v25
	v_cmp_ne_u32_e32 vcc, s81, v19
	s_and_saveexec_b64 s[36:37], vcc
	s_cbranch_execz .LBB6_3419
; %bb.3418:                             ;   in Loop: Header=BB6_2609 Depth=4
	v_and_b32_e32 v20, 7, v0
	v_ffbh_u32_e32 v1, v20
	v_lshrrev_b32_e32 v22, 3, v19
	v_cmp_gt_u32_e32 vcc, 8, v19
	v_min_u32_e32 v19, 32, v1
	v_subrev_u32_e32 v1, 28, v19
	v_lshlrev_b64 v[0:1], v1, v[0:1]
	v_sub_u32_e32 v1, 29, v19
	v_and_b32_e32 v0, 7, v0
	v_cndmask_b32_e32 v1, v22, v1, vcc
	v_cndmask_b32_e32 v0, v20, v0, vcc
	v_lshlrev_b32_e32 v19, 24, v25
	v_bfrev_b32_e32 v20, 60
	v_lshlrev_b32_e32 v0, 20, v0
	v_and_b32_e32 v19, 0x80000000, v19
	v_lshl_add_u32 v1, v1, 23, v20
	v_or3_b32 v1, v19, v1, v0
.LBB6_3419:                             ;   in Loop: Header=BB6_2609 Depth=4
	s_or_b64 exec, exec, s[36:37]
.LBB6_3420:                             ;   in Loop: Header=BB6_2609 Depth=4
	s_or_b64 exec, exec, s[34:35]
.LBB6_3421:                             ;   in Loop: Header=BB6_2609 Depth=4
	s_or_b64 exec, exec, s[28:29]
	v_mul_f32_e32 v0, v2, v1
	v_and_b32_e32 v20, 0x7f800000, v0
	v_cmp_ne_u64_e32 vcc, s[62:63], v[20:21]
                                        ; implicit-def: $vgpr19
	s_and_saveexec_b64 s[28:29], vcc
	s_xor_b64 s[34:35], exec, s[28:29]
	s_cbranch_execz .LBB6_3439
; %bb.3422:                             ;   in Loop: Header=BB6_2609 Depth=4
	v_and_b32_e32 v20, 0x7fffffff, v0
	v_cmp_gt_u64_e32 vcc, s[78:79], v[20:21]
	v_and_b32_sdwa v22, v0, s80 dst_sel:DWORD dst_unused:UNUSED_PAD src0_sel:BYTE_3 src1_sel:DWORD
                                        ; implicit-def: $vgpr19
	s_and_saveexec_b64 s[28:29], vcc
	s_xor_b64 s[36:37], exec, s[28:29]
	s_cbranch_execz .LBB6_3436
; %bb.3423:                             ;   in Loop: Header=BB6_2609 Depth=4
	v_cmp_ne_u32_e32 vcc, 0, v0
	v_mov_b32_e32 v19, 0
	s_and_saveexec_b64 s[38:39], vcc
	s_cbranch_execz .LBB6_3435
; %bb.3424:                             ;   in Loop: Header=BB6_2609 Depth=4
	v_bfe_u32 v19, v0, 23, 8
	v_and_b32_e32 v1, 0x7fffff, v0
	v_cmp_gt_u32_e64 s[28:29], s47, v19
	v_sub_u32_e32 v0, 0x79, v19
	v_cmp_eq_u32_e32 vcc, 0, v19
	v_cndmask_b32_e64 v0, 0, v0, s[28:29]
	v_mov_b32_e32 v20, 0x78
	v_cndmask_b32_e32 v25, v0, v20, vcc
	v_or_b32_e32 v2, 0x800000, v1
	v_add_u32_e32 v0, 20, v25
	v_cndmask_b32_e32 v20, v2, v1, vcc
	v_lshlrev_b64 v[0:1], v0, -1
	v_add_u32_e32 v2, 19, v25
	v_lshlrev_b64 v[26:27], v2, 1
	v_bfi_b32 v1, v1, 0, 0
	v_bfi_b32 v0, v0, 0, v20
	v_cmp_eq_u64_e64 s[28:29], v[0:1], v[26:27]
	v_lshrrev_b64 v[0:1], v25, v[20:21]
	v_mov_b32_e32 v2, v1
	v_mov_b32_e32 v1, v0
	s_and_saveexec_b64 s[48:49], s[28:29]
; %bb.3425:                             ;   in Loop: Header=BB6_2609 Depth=4
	v_bfe_u32 v1, v0, 20, 1
	v_add_co_u32_e64 v1, s[28:29], v0, v1
	v_add_co_u32_e64 v1, s[28:29], -1, v1
; %bb.3426:                             ;   in Loop: Header=BB6_2609 Depth=4
	s_or_b64 exec, exec, s[48:49]
	v_add_u32_e32 v2, 0xffffff81, v19
	v_mov_b32_e32 v19, 0xffffff82
	v_cndmask_b32_e32 v2, v2, v19, vcc
	v_lshrrev_b32_e32 v19, 23, v0
	v_add3_u32 v25, v25, v2, v19
	v_add_u32_e32 v19, 6, v25
	v_and_b32_e32 v1, 0xfffff, v1
	v_add_u32_e32 v20, v1, v0
	v_cmp_ne_u32_e32 vcc, 0, v19
                                        ; implicit-def: $vgpr0_vgpr1
                                        ; implicit-def: $vgpr2
	s_and_saveexec_b64 s[28:29], vcc
	s_xor_b64 s[28:29], exec, s[28:29]
; %bb.3427:                             ;   in Loop: Header=BB6_2609 Depth=4
	v_cmp_lt_u64_e32 vcc, s[88:89], v[20:21]
	v_add_u32_e32 v0, 7, v25
	v_cndmask_b32_e32 v2, v19, v0, vcc
	v_cndmask_b32_e64 v0, 0, 1, vcc
	v_lshrrev_b64 v[0:1], v0, v[20:21]
; %bb.3428:                             ;   in Loop: Header=BB6_2609 Depth=4
	s_andn2_saveexec_b64 s[28:29], s[28:29]
; %bb.3429:                             ;   in Loop: Header=BB6_2609 Depth=4
	v_mov_b32_e32 v0, v20
	v_bfe_u32 v2, v20, 23, 1
	v_mov_b32_e32 v1, v21
; %bb.3430:                             ;   in Loop: Header=BB6_2609 Depth=4
	s_or_b64 exec, exec, s[28:29]
	v_lshrrev_b64 v[0:1], 20, v[0:1]
	v_cmp_gt_i32_e32 vcc, 16, v2
	v_cndmask_b32_e32 v1, 0, v1, vcc
	v_cndmask_b32_e32 v0, 7, v0, vcc
	v_cmp_ne_u64_e32 vcc, 0, v[0:1]
	v_cmp_ne_u32_e64 s[28:29], 0, v2
	s_or_b64 s[28:29], s[28:29], vcc
                                        ; implicit-def: $vgpr19
	s_and_saveexec_b64 vcc, s[28:29]
	s_xor_b64 s[28:29], exec, vcc
; %bb.3431:                             ;   in Loop: Header=BB6_2609 Depth=4
	v_min_i32_e32 v1, 15, v2
	v_lshl_or_b32 v1, v1, 3, v22
	v_and_or_b32 v19, v0, 7, v1
                                        ; implicit-def: $vgpr22
; %bb.3432:                             ;   in Loop: Header=BB6_2609 Depth=4
	s_andn2_saveexec_b64 s[28:29], s[28:29]
; %bb.3433:                             ;   in Loop: Header=BB6_2609 Depth=4
	v_mov_b32_e32 v19, v22
; %bb.3434:                             ;   in Loop: Header=BB6_2609 Depth=4
	s_or_b64 exec, exec, s[28:29]
.LBB6_3435:                             ;   in Loop: Header=BB6_2609 Depth=4
	s_or_b64 exec, exec, s[38:39]
                                        ; implicit-def: $vgpr22
.LBB6_3436:                             ;   in Loop: Header=BB6_2609 Depth=4
	s_andn2_saveexec_b64 s[28:29], s[36:37]
; %bb.3437:                             ;   in Loop: Header=BB6_2609 Depth=4
	v_or_b32_e32 v19, 0x7e, v22
; %bb.3438:                             ;   in Loop: Header=BB6_2609 Depth=4
	s_or_b64 exec, exec, s[28:29]
                                        ; implicit-def: $vgpr0
.LBB6_3439:                             ;   in Loop: Header=BB6_2609 Depth=4
	s_andn2_saveexec_b64 s[28:29], s[34:35]
; %bb.3440:                             ;   in Loop: Header=BB6_2609 Depth=4
	v_or_b32_sdwa v19, v0, s81 dst_sel:DWORD dst_unused:UNUSED_PAD src0_sel:BYTE_3 src1_sel:DWORD
; %bb.3441:                             ;   in Loop: Header=BB6_2609 Depth=4
	s_or_b64 exec, exec, s[28:29]
	buffer_load_dword v0, off, s[0:3], s33 offset:132 ; 4-byte Folded Reload
	v_mov_b32_e32 v1, 0
	v_mov_b32_e32 v2, 0
	s_waitcnt vmcnt(0)
	v_and_b32_e32 v0, 0xff, v0
	v_cmp_ne_u16_e32 vcc, 0, v0
	s_and_saveexec_b64 s[28:29], vcc
	s_cbranch_execz .LBB6_3447
; %bb.3442:                             ;   in Loop: Header=BB6_2609 Depth=4
	v_cmp_ne_u16_e32 vcc, s80, v0
	v_bfrev_b32_e32 v2, 1
	s_and_saveexec_b64 s[34:35], vcc
	s_cbranch_execz .LBB6_3446
; %bb.3443:                             ;   in Loop: Header=BB6_2609 Depth=4
	buffer_load_dword v27, off, s[0:3], s33 offset:132 ; 4-byte Folded Reload
	v_mov_b32_e32 v2, 0x7f800001
	s_waitcnt vmcnt(0)
	v_and_b32_e32 v20, 0x7f, v27
	v_cmp_ne_u32_e32 vcc, s81, v20
	s_and_saveexec_b64 s[36:37], vcc
	s_cbranch_execz .LBB6_3445
; %bb.3444:                             ;   in Loop: Header=BB6_2609 Depth=4
	v_and_b32_e32 v2, 7, v0
	v_lshrrev_b32_e32 v22, 3, v20
	v_cmp_gt_u32_e32 vcc, 8, v20
	v_ffbh_u32_e32 v20, v2
	v_min_u32_e32 v20, 32, v20
	v_subrev_u32_e32 v25, 28, v20
	v_lshlrev_b64 v[25:26], v25, v[0:1]
	v_sub_u32_e32 v0, 29, v20
	v_and_b32_e32 v20, 7, v25
	v_cndmask_b32_e32 v0, v22, v0, vcc
	v_cndmask_b32_e32 v2, v2, v20, vcc
	v_lshlrev_b32_e32 v20, 24, v27
	v_bfrev_b32_e32 v22, 60
	v_lshlrev_b32_e32 v2, 20, v2
	v_and_b32_e32 v20, 0x80000000, v20
	v_lshl_add_u32 v0, v0, 23, v22
	v_or3_b32 v2, v20, v0, v2
.LBB6_3445:                             ;   in Loop: Header=BB6_2609 Depth=4
	s_or_b64 exec, exec, s[36:37]
.LBB6_3446:                             ;   in Loop: Header=BB6_2609 Depth=4
	s_or_b64 exec, exec, s[34:35]
.LBB6_3447:                             ;   in Loop: Header=BB6_2609 Depth=4
	s_or_b64 exec, exec, s[28:29]
	buffer_load_dword v0, off, s[0:3], s33 offset:128 ; 4-byte Folded Reload
	s_waitcnt vmcnt(0)
	v_and_b32_e32 v0, 0xff, v0
	v_cmp_ne_u16_e32 vcc, 0, v0
	s_and_saveexec_b64 s[28:29], vcc
	s_cbranch_execz .LBB6_3453
; %bb.3448:                             ;   in Loop: Header=BB6_2609 Depth=4
	v_cmp_ne_u16_e32 vcc, s80, v0
	v_bfrev_b32_e32 v1, 1
	s_and_saveexec_b64 s[34:35], vcc
	s_cbranch_execz .LBB6_3452
; %bb.3449:                             ;   in Loop: Header=BB6_2609 Depth=4
	buffer_load_dword v26, off, s[0:3], s33 offset:128 ; 4-byte Folded Reload
	v_mov_b32_e32 v1, 0x7f800001
	s_waitcnt vmcnt(0)
	v_and_b32_e32 v20, 0x7f, v26
	v_cmp_ne_u32_e32 vcc, s81, v20
	s_and_saveexec_b64 s[36:37], vcc
	s_cbranch_execz .LBB6_3451
; %bb.3450:                             ;   in Loop: Header=BB6_2609 Depth=4
	v_and_b32_e32 v22, 7, v0
	v_ffbh_u32_e32 v1, v22
	v_lshrrev_b32_e32 v25, 3, v20
	v_cmp_gt_u32_e32 vcc, 8, v20
	v_min_u32_e32 v20, 32, v1
	v_subrev_u32_e32 v1, 28, v20
	v_lshlrev_b64 v[0:1], v1, v[0:1]
	v_sub_u32_e32 v1, 29, v20
	v_and_b32_e32 v0, 7, v0
	v_cndmask_b32_e32 v1, v25, v1, vcc
	v_cndmask_b32_e32 v0, v22, v0, vcc
	v_lshlrev_b32_e32 v20, 24, v26
	v_bfrev_b32_e32 v22, 60
	v_lshlrev_b32_e32 v0, 20, v0
	v_and_b32_e32 v20, 0x80000000, v20
	v_lshl_add_u32 v1, v1, 23, v22
	v_or3_b32 v1, v20, v1, v0
.LBB6_3451:                             ;   in Loop: Header=BB6_2609 Depth=4
	s_or_b64 exec, exec, s[36:37]
.LBB6_3452:                             ;   in Loop: Header=BB6_2609 Depth=4
	s_or_b64 exec, exec, s[34:35]
.LBB6_3453:                             ;   in Loop: Header=BB6_2609 Depth=4
	s_or_b64 exec, exec, s[28:29]
	v_mul_f32_e32 v0, v2, v1
	v_and_b32_e32 v20, 0x7f800000, v0
	v_cmp_ne_u64_e32 vcc, s[62:63], v[20:21]
                                        ; implicit-def: $vgpr22
	s_and_saveexec_b64 s[28:29], vcc
	s_xor_b64 s[34:35], exec, s[28:29]
	s_cbranch_execz .LBB6_3471
; %bb.3454:                             ;   in Loop: Header=BB6_2609 Depth=4
	v_and_b32_e32 v20, 0x7fffffff, v0
	v_cmp_gt_u64_e32 vcc, s[78:79], v[20:21]
	v_and_b32_sdwa v25, v0, s80 dst_sel:DWORD dst_unused:UNUSED_PAD src0_sel:BYTE_3 src1_sel:DWORD
                                        ; implicit-def: $vgpr22
	s_and_saveexec_b64 s[28:29], vcc
	s_xor_b64 s[36:37], exec, s[28:29]
	s_cbranch_execz .LBB6_3468
; %bb.3455:                             ;   in Loop: Header=BB6_2609 Depth=4
	v_cmp_ne_u32_e32 vcc, 0, v0
	v_mov_b32_e32 v22, 0
	s_and_saveexec_b64 s[38:39], vcc
	s_cbranch_execz .LBB6_3467
; %bb.3456:                             ;   in Loop: Header=BB6_2609 Depth=4
	v_bfe_u32 v22, v0, 23, 8
	v_and_b32_e32 v1, 0x7fffff, v0
	v_cmp_gt_u32_e64 s[28:29], s47, v22
	v_sub_u32_e32 v0, 0x79, v22
	v_cmp_eq_u32_e32 vcc, 0, v22
	v_cndmask_b32_e64 v0, 0, v0, s[28:29]
	v_mov_b32_e32 v20, 0x78
	v_cndmask_b32_e32 v26, v0, v20, vcc
	v_or_b32_e32 v2, 0x800000, v1
	v_add_u32_e32 v0, 20, v26
	v_cndmask_b32_e32 v20, v2, v1, vcc
	v_lshlrev_b64 v[0:1], v0, -1
	v_add_u32_e32 v2, 19, v26
	v_lshlrev_b64 v[27:28], v2, 1
	v_bfi_b32 v1, v1, 0, 0
	v_bfi_b32 v0, v0, 0, v20
	v_cmp_eq_u64_e64 s[28:29], v[0:1], v[27:28]
	v_lshrrev_b64 v[0:1], v26, v[20:21]
	v_mov_b32_e32 v2, v1
	v_mov_b32_e32 v1, v0
	s_and_saveexec_b64 s[48:49], s[28:29]
; %bb.3457:                             ;   in Loop: Header=BB6_2609 Depth=4
	v_bfe_u32 v1, v0, 20, 1
	v_add_co_u32_e64 v1, s[28:29], v0, v1
	v_add_co_u32_e64 v1, s[28:29], -1, v1
; %bb.3458:                             ;   in Loop: Header=BB6_2609 Depth=4
	s_or_b64 exec, exec, s[48:49]
	v_add_u32_e32 v2, 0xffffff81, v22
	v_mov_b32_e32 v20, 0xffffff82
	v_cndmask_b32_e32 v2, v2, v20, vcc
	v_lshrrev_b32_e32 v20, 23, v0
	v_add3_u32 v26, v26, v2, v20
	v_add_u32_e32 v22, 6, v26
	v_and_b32_e32 v1, 0xfffff, v1
	v_add_u32_e32 v20, v1, v0
	v_cmp_ne_u32_e32 vcc, 0, v22
                                        ; implicit-def: $vgpr0_vgpr1
                                        ; implicit-def: $vgpr2
	s_and_saveexec_b64 s[28:29], vcc
	s_xor_b64 s[28:29], exec, s[28:29]
; %bb.3459:                             ;   in Loop: Header=BB6_2609 Depth=4
	v_cmp_lt_u64_e32 vcc, s[88:89], v[20:21]
	v_add_u32_e32 v0, 7, v26
	v_cndmask_b32_e32 v2, v22, v0, vcc
	v_cndmask_b32_e64 v0, 0, 1, vcc
	v_lshrrev_b64 v[0:1], v0, v[20:21]
; %bb.3460:                             ;   in Loop: Header=BB6_2609 Depth=4
	s_andn2_saveexec_b64 s[28:29], s[28:29]
; %bb.3461:                             ;   in Loop: Header=BB6_2609 Depth=4
	v_mov_b32_e32 v0, v20
	v_bfe_u32 v2, v20, 23, 1
	v_mov_b32_e32 v1, v21
; %bb.3462:                             ;   in Loop: Header=BB6_2609 Depth=4
	s_or_b64 exec, exec, s[28:29]
	v_lshrrev_b64 v[0:1], 20, v[0:1]
	v_cmp_gt_i32_e32 vcc, 16, v2
	v_cndmask_b32_e32 v1, 0, v1, vcc
	v_cndmask_b32_e32 v0, 7, v0, vcc
	v_cmp_ne_u64_e32 vcc, 0, v[0:1]
	v_cmp_ne_u32_e64 s[28:29], 0, v2
	s_or_b64 s[28:29], s[28:29], vcc
                                        ; implicit-def: $vgpr22
	s_and_saveexec_b64 vcc, s[28:29]
	s_xor_b64 s[28:29], exec, vcc
; %bb.3463:                             ;   in Loop: Header=BB6_2609 Depth=4
	v_min_i32_e32 v1, 15, v2
	v_lshl_or_b32 v1, v1, 3, v25
	v_and_or_b32 v22, v0, 7, v1
                                        ; implicit-def: $vgpr25
; %bb.3464:                             ;   in Loop: Header=BB6_2609 Depth=4
	s_andn2_saveexec_b64 s[28:29], s[28:29]
; %bb.3465:                             ;   in Loop: Header=BB6_2609 Depth=4
	v_mov_b32_e32 v22, v25
; %bb.3466:                             ;   in Loop: Header=BB6_2609 Depth=4
	s_or_b64 exec, exec, s[28:29]
.LBB6_3467:                             ;   in Loop: Header=BB6_2609 Depth=4
	s_or_b64 exec, exec, s[38:39]
                                        ; implicit-def: $vgpr25
.LBB6_3468:                             ;   in Loop: Header=BB6_2609 Depth=4
	s_andn2_saveexec_b64 s[28:29], s[36:37]
; %bb.3469:                             ;   in Loop: Header=BB6_2609 Depth=4
	v_or_b32_e32 v22, 0x7e, v25
; %bb.3470:                             ;   in Loop: Header=BB6_2609 Depth=4
	s_or_b64 exec, exec, s[28:29]
                                        ; implicit-def: $vgpr0
.LBB6_3471:                             ;   in Loop: Header=BB6_2609 Depth=4
	s_andn2_saveexec_b64 s[28:29], s[34:35]
; %bb.3472:                             ;   in Loop: Header=BB6_2609 Depth=4
	v_or_b32_sdwa v22, v0, s81 dst_sel:DWORD dst_unused:UNUSED_PAD src0_sel:BYTE_3 src1_sel:DWORD
; %bb.3473:                             ;   in Loop: Header=BB6_2609 Depth=4
	s_or_b64 exec, exec, s[28:29]
	buffer_load_dword v0, off, s[0:3], s33 offset:124 ; 4-byte Folded Reload
	v_mov_b32_e32 v1, 0
	v_mov_b32_e32 v2, 0
	s_waitcnt vmcnt(0)
	v_and_b32_e32 v0, 0xff, v0
	v_cmp_ne_u16_e32 vcc, 0, v0
	s_and_saveexec_b64 s[28:29], vcc
	s_cbranch_execz .LBB6_3479
; %bb.3474:                             ;   in Loop: Header=BB6_2609 Depth=4
	v_cmp_ne_u16_e32 vcc, s80, v0
	v_bfrev_b32_e32 v2, 1
	s_and_saveexec_b64 s[34:35], vcc
	s_cbranch_execz .LBB6_3478
; %bb.3475:                             ;   in Loop: Header=BB6_2609 Depth=4
	buffer_load_dword v28, off, s[0:3], s33 offset:124 ; 4-byte Folded Reload
	v_mov_b32_e32 v2, 0x7f800001
	s_waitcnt vmcnt(0)
	v_and_b32_e32 v20, 0x7f, v28
	v_cmp_ne_u32_e32 vcc, s81, v20
	s_and_saveexec_b64 s[36:37], vcc
	s_cbranch_execz .LBB6_3477
; %bb.3476:                             ;   in Loop: Header=BB6_2609 Depth=4
	v_and_b32_e32 v2, 7, v0
	v_lshrrev_b32_e32 v27, 3, v20
	v_cmp_gt_u32_e32 vcc, 8, v20
	v_ffbh_u32_e32 v20, v2
	v_min_u32_e32 v20, 32, v20
	v_subrev_u32_e32 v25, 28, v20
	v_lshlrev_b64 v[25:26], v25, v[0:1]
	v_sub_u32_e32 v0, 29, v20
	v_and_b32_e32 v20, 7, v25
	v_cndmask_b32_e32 v0, v27, v0, vcc
	v_cndmask_b32_e32 v2, v2, v20, vcc
	v_lshlrev_b32_e32 v20, 24, v28
	v_bfrev_b32_e32 v25, 60
	v_lshlrev_b32_e32 v2, 20, v2
	v_and_b32_e32 v20, 0x80000000, v20
	v_lshl_add_u32 v0, v0, 23, v25
	v_or3_b32 v2, v20, v0, v2
.LBB6_3477:                             ;   in Loop: Header=BB6_2609 Depth=4
	s_or_b64 exec, exec, s[36:37]
.LBB6_3478:                             ;   in Loop: Header=BB6_2609 Depth=4
	s_or_b64 exec, exec, s[34:35]
.LBB6_3479:                             ;   in Loop: Header=BB6_2609 Depth=4
	s_or_b64 exec, exec, s[28:29]
	buffer_load_dword v0, off, s[0:3], s33 offset:120 ; 4-byte Folded Reload
	s_waitcnt vmcnt(0)
	v_and_b32_e32 v0, 0xff, v0
	v_cmp_ne_u16_e32 vcc, 0, v0
	s_and_saveexec_b64 s[28:29], vcc
	s_cbranch_execz .LBB6_3485
; %bb.3480:                             ;   in Loop: Header=BB6_2609 Depth=4
	v_cmp_ne_u16_e32 vcc, s80, v0
	v_bfrev_b32_e32 v1, 1
	s_and_saveexec_b64 s[34:35], vcc
	s_cbranch_execz .LBB6_3484
; %bb.3481:                             ;   in Loop: Header=BB6_2609 Depth=4
	buffer_load_dword v27, off, s[0:3], s33 offset:120 ; 4-byte Folded Reload
	v_mov_b32_e32 v1, 0x7f800001
	s_waitcnt vmcnt(0)
	v_and_b32_e32 v20, 0x7f, v27
	v_cmp_ne_u32_e32 vcc, s81, v20
	s_and_saveexec_b64 s[36:37], vcc
	s_cbranch_execz .LBB6_3483
; %bb.3482:                             ;   in Loop: Header=BB6_2609 Depth=4
	v_and_b32_e32 v25, 7, v0
	v_ffbh_u32_e32 v1, v25
	v_lshrrev_b32_e32 v26, 3, v20
	v_cmp_gt_u32_e32 vcc, 8, v20
	v_min_u32_e32 v20, 32, v1
	v_subrev_u32_e32 v1, 28, v20
	v_lshlrev_b64 v[0:1], v1, v[0:1]
	v_sub_u32_e32 v1, 29, v20
	v_and_b32_e32 v0, 7, v0
	v_cndmask_b32_e32 v1, v26, v1, vcc
	v_cndmask_b32_e32 v0, v25, v0, vcc
	v_lshlrev_b32_e32 v20, 24, v27
	v_bfrev_b32_e32 v25, 60
	v_lshlrev_b32_e32 v0, 20, v0
	v_and_b32_e32 v20, 0x80000000, v20
	v_lshl_add_u32 v1, v1, 23, v25
	v_or3_b32 v1, v20, v1, v0
.LBB6_3483:                             ;   in Loop: Header=BB6_2609 Depth=4
	s_or_b64 exec, exec, s[36:37]
.LBB6_3484:                             ;   in Loop: Header=BB6_2609 Depth=4
	s_or_b64 exec, exec, s[34:35]
.LBB6_3485:                             ;   in Loop: Header=BB6_2609 Depth=4
	s_or_b64 exec, exec, s[28:29]
	v_mul_f32_e32 v0, v2, v1
	v_and_b32_e32 v20, 0x7f800000, v0
	v_cmp_ne_u64_e32 vcc, s[62:63], v[20:21]
                                        ; implicit-def: $vgpr27
	s_and_saveexec_b64 s[28:29], vcc
	s_xor_b64 s[34:35], exec, s[28:29]
	s_cbranch_execz .LBB6_3503
; %bb.3486:                             ;   in Loop: Header=BB6_2609 Depth=4
	v_and_b32_e32 v20, 0x7fffffff, v0
	v_cmp_gt_u64_e32 vcc, s[78:79], v[20:21]
	v_and_b32_sdwa v25, v0, s80 dst_sel:DWORD dst_unused:UNUSED_PAD src0_sel:BYTE_3 src1_sel:DWORD
                                        ; implicit-def: $vgpr27
	s_and_saveexec_b64 s[28:29], vcc
	s_xor_b64 s[36:37], exec, s[28:29]
	s_cbranch_execz .LBB6_3500
; %bb.3487:                             ;   in Loop: Header=BB6_2609 Depth=4
	v_cmp_ne_u32_e32 vcc, 0, v0
	v_mov_b32_e32 v27, 0
	s_and_saveexec_b64 s[38:39], vcc
	s_cbranch_execz .LBB6_3499
; %bb.3488:                             ;   in Loop: Header=BB6_2609 Depth=4
	v_bfe_u32 v26, v0, 23, 8
	v_and_b32_e32 v1, 0x7fffff, v0
	v_cmp_gt_u32_e64 s[28:29], s47, v26
	v_sub_u32_e32 v0, 0x79, v26
	v_cmp_eq_u32_e32 vcc, 0, v26
	v_cndmask_b32_e64 v0, 0, v0, s[28:29]
	v_mov_b32_e32 v20, 0x78
	v_cndmask_b32_e32 v27, v0, v20, vcc
	v_or_b32_e32 v2, 0x800000, v1
	v_add_u32_e32 v0, 20, v27
	v_cndmask_b32_e32 v20, v2, v1, vcc
	v_lshlrev_b64 v[0:1], v0, -1
	v_add_u32_e32 v2, 19, v27
	v_lshlrev_b64 v[28:29], v2, 1
	v_bfi_b32 v1, v1, 0, 0
	v_bfi_b32 v0, v0, 0, v20
	v_cmp_eq_u64_e64 s[28:29], v[0:1], v[28:29]
	v_lshrrev_b64 v[0:1], v27, v[20:21]
	v_mov_b32_e32 v2, v1
	v_mov_b32_e32 v1, v0
	s_and_saveexec_b64 s[48:49], s[28:29]
; %bb.3489:                             ;   in Loop: Header=BB6_2609 Depth=4
	v_bfe_u32 v1, v0, 20, 1
	v_add_co_u32_e64 v1, s[28:29], v0, v1
	v_add_co_u32_e64 v1, s[28:29], -1, v1
; %bb.3490:                             ;   in Loop: Header=BB6_2609 Depth=4
	s_or_b64 exec, exec, s[48:49]
	v_add_u32_e32 v2, 0xffffff81, v26
	v_mov_b32_e32 v20, 0xffffff82
	v_cndmask_b32_e32 v2, v2, v20, vcc
	v_lshrrev_b32_e32 v20, 23, v0
	v_add3_u32 v27, v27, v2, v20
	v_add_u32_e32 v26, 6, v27
	v_and_b32_e32 v1, 0xfffff, v1
	v_add_u32_e32 v20, v1, v0
	v_cmp_ne_u32_e32 vcc, 0, v26
                                        ; implicit-def: $vgpr0_vgpr1
                                        ; implicit-def: $vgpr2
	s_and_saveexec_b64 s[28:29], vcc
	s_xor_b64 s[28:29], exec, s[28:29]
; %bb.3491:                             ;   in Loop: Header=BB6_2609 Depth=4
	v_cmp_lt_u64_e32 vcc, s[88:89], v[20:21]
	v_add_u32_e32 v0, 7, v27
	v_cndmask_b32_e32 v2, v26, v0, vcc
	v_cndmask_b32_e64 v0, 0, 1, vcc
	v_lshrrev_b64 v[0:1], v0, v[20:21]
; %bb.3492:                             ;   in Loop: Header=BB6_2609 Depth=4
	s_andn2_saveexec_b64 s[28:29], s[28:29]
; %bb.3493:                             ;   in Loop: Header=BB6_2609 Depth=4
	v_mov_b32_e32 v0, v20
	v_bfe_u32 v2, v20, 23, 1
	v_mov_b32_e32 v1, v21
; %bb.3494:                             ;   in Loop: Header=BB6_2609 Depth=4
	s_or_b64 exec, exec, s[28:29]
	v_lshrrev_b64 v[0:1], 20, v[0:1]
	v_cmp_gt_i32_e32 vcc, 16, v2
	v_cndmask_b32_e32 v1, 0, v1, vcc
	v_cndmask_b32_e32 v0, 7, v0, vcc
	v_cmp_ne_u64_e32 vcc, 0, v[0:1]
	v_cmp_ne_u32_e64 s[28:29], 0, v2
	s_or_b64 s[28:29], s[28:29], vcc
                                        ; implicit-def: $vgpr27
	s_and_saveexec_b64 vcc, s[28:29]
	s_xor_b64 s[28:29], exec, vcc
; %bb.3495:                             ;   in Loop: Header=BB6_2609 Depth=4
	v_min_i32_e32 v1, 15, v2
	v_lshl_or_b32 v1, v1, 3, v25
	v_and_or_b32 v27, v0, 7, v1
                                        ; implicit-def: $vgpr25
; %bb.3496:                             ;   in Loop: Header=BB6_2609 Depth=4
	s_andn2_saveexec_b64 s[28:29], s[28:29]
; %bb.3497:                             ;   in Loop: Header=BB6_2609 Depth=4
	v_mov_b32_e32 v27, v25
; %bb.3498:                             ;   in Loop: Header=BB6_2609 Depth=4
	s_or_b64 exec, exec, s[28:29]
.LBB6_3499:                             ;   in Loop: Header=BB6_2609 Depth=4
	s_or_b64 exec, exec, s[38:39]
                                        ; implicit-def: $vgpr25
.LBB6_3500:                             ;   in Loop: Header=BB6_2609 Depth=4
	s_andn2_saveexec_b64 s[28:29], s[36:37]
; %bb.3501:                             ;   in Loop: Header=BB6_2609 Depth=4
	v_or_b32_e32 v27, 0x7e, v25
; %bb.3502:                             ;   in Loop: Header=BB6_2609 Depth=4
	s_or_b64 exec, exec, s[28:29]
                                        ; implicit-def: $vgpr0
.LBB6_3503:                             ;   in Loop: Header=BB6_2609 Depth=4
	s_andn2_saveexec_b64 s[28:29], s[34:35]
; %bb.3504:                             ;   in Loop: Header=BB6_2609 Depth=4
	v_or_b32_sdwa v27, v0, s81 dst_sel:DWORD dst_unused:UNUSED_PAD src0_sel:BYTE_3 src1_sel:DWORD
; %bb.3505:                             ;   in Loop: Header=BB6_2609 Depth=4
	s_or_b64 exec, exec, s[28:29]
	buffer_load_dword v0, off, s[0:3], s33 offset:116 ; 4-byte Folded Reload
	v_mov_b32_e32 v1, 0
	v_mov_b32_e32 v2, 0
	s_waitcnt vmcnt(0)
	v_and_b32_e32 v0, 0xff, v0
	v_cmp_ne_u16_e32 vcc, 0, v0
	s_and_saveexec_b64 s[28:29], vcc
	s_cbranch_execz .LBB6_3511
; %bb.3506:                             ;   in Loop: Header=BB6_2609 Depth=4
	v_cmp_ne_u16_e32 vcc, s80, v0
	v_bfrev_b32_e32 v2, 1
	s_and_saveexec_b64 s[34:35], vcc
	s_cbranch_execz .LBB6_3510
; %bb.3507:                             ;   in Loop: Header=BB6_2609 Depth=4
	buffer_load_dword v29, off, s[0:3], s33 offset:116 ; 4-byte Folded Reload
	v_mov_b32_e32 v2, 0x7f800001
	s_waitcnt vmcnt(0)
	v_and_b32_e32 v20, 0x7f, v29
	v_cmp_ne_u32_e32 vcc, s81, v20
	s_and_saveexec_b64 s[36:37], vcc
	s_cbranch_execz .LBB6_3509
; %bb.3508:                             ;   in Loop: Header=BB6_2609 Depth=4
	v_and_b32_e32 v2, 7, v0
	v_lshrrev_b32_e32 v28, 3, v20
	v_cmp_gt_u32_e32 vcc, 8, v20
	v_ffbh_u32_e32 v20, v2
	v_min_u32_e32 v20, 32, v20
	v_subrev_u32_e32 v25, 28, v20
	v_lshlrev_b64 v[25:26], v25, v[0:1]
	v_sub_u32_e32 v0, 29, v20
	v_and_b32_e32 v20, 7, v25
	v_cndmask_b32_e32 v0, v28, v0, vcc
	v_cndmask_b32_e32 v2, v2, v20, vcc
	v_lshlrev_b32_e32 v20, 24, v29
	v_bfrev_b32_e32 v25, 60
	v_lshlrev_b32_e32 v2, 20, v2
	v_and_b32_e32 v20, 0x80000000, v20
	v_lshl_add_u32 v0, v0, 23, v25
	v_or3_b32 v2, v20, v0, v2
.LBB6_3509:                             ;   in Loop: Header=BB6_2609 Depth=4
	s_or_b64 exec, exec, s[36:37]
.LBB6_3510:                             ;   in Loop: Header=BB6_2609 Depth=4
	s_or_b64 exec, exec, s[34:35]
.LBB6_3511:                             ;   in Loop: Header=BB6_2609 Depth=4
	s_or_b64 exec, exec, s[28:29]
	buffer_load_dword v0, off, s[0:3], s33 offset:112 ; 4-byte Folded Reload
	s_waitcnt vmcnt(0)
	v_and_b32_e32 v0, 0xff, v0
	v_cmp_ne_u16_e32 vcc, 0, v0
	s_and_saveexec_b64 s[28:29], vcc
	s_cbranch_execz .LBB6_3517
; %bb.3512:                             ;   in Loop: Header=BB6_2609 Depth=4
	v_cmp_ne_u16_e32 vcc, s80, v0
	v_bfrev_b32_e32 v1, 1
	s_and_saveexec_b64 s[34:35], vcc
	s_cbranch_execz .LBB6_3516
; %bb.3513:                             ;   in Loop: Header=BB6_2609 Depth=4
	buffer_load_dword v28, off, s[0:3], s33 offset:112 ; 4-byte Folded Reload
	v_mov_b32_e32 v1, 0x7f800001
	s_waitcnt vmcnt(0)
	v_and_b32_e32 v20, 0x7f, v28
	v_cmp_ne_u32_e32 vcc, s81, v20
	s_and_saveexec_b64 s[36:37], vcc
	s_cbranch_execz .LBB6_3515
; %bb.3514:                             ;   in Loop: Header=BB6_2609 Depth=4
	v_and_b32_e32 v25, 7, v0
	v_ffbh_u32_e32 v1, v25
	v_lshrrev_b32_e32 v26, 3, v20
	v_cmp_gt_u32_e32 vcc, 8, v20
	v_min_u32_e32 v20, 32, v1
	v_subrev_u32_e32 v1, 28, v20
	v_lshlrev_b64 v[0:1], v1, v[0:1]
	v_sub_u32_e32 v1, 29, v20
	v_and_b32_e32 v0, 7, v0
	v_cndmask_b32_e32 v1, v26, v1, vcc
	v_cndmask_b32_e32 v0, v25, v0, vcc
	v_lshlrev_b32_e32 v20, 24, v28
	v_bfrev_b32_e32 v25, 60
	v_lshlrev_b32_e32 v0, 20, v0
	v_and_b32_e32 v20, 0x80000000, v20
	v_lshl_add_u32 v1, v1, 23, v25
	v_or3_b32 v1, v20, v1, v0
.LBB6_3515:                             ;   in Loop: Header=BB6_2609 Depth=4
	s_or_b64 exec, exec, s[36:37]
.LBB6_3516:                             ;   in Loop: Header=BB6_2609 Depth=4
	s_or_b64 exec, exec, s[34:35]
.LBB6_3517:                             ;   in Loop: Header=BB6_2609 Depth=4
	s_or_b64 exec, exec, s[28:29]
	v_mul_f32_e32 v0, v2, v1
	v_and_b32_e32 v20, 0x7f800000, v0
	v_cmp_ne_u64_e32 vcc, s[62:63], v[20:21]
                                        ; implicit-def: $vgpr25
	s_and_saveexec_b64 s[28:29], vcc
	s_xor_b64 s[34:35], exec, s[28:29]
	s_cbranch_execz .LBB6_3535
; %bb.3518:                             ;   in Loop: Header=BB6_2609 Depth=4
	v_and_b32_e32 v20, 0x7fffffff, v0
	v_cmp_gt_u64_e32 vcc, s[78:79], v[20:21]
	v_and_b32_sdwa v26, v0, s80 dst_sel:DWORD dst_unused:UNUSED_PAD src0_sel:BYTE_3 src1_sel:DWORD
                                        ; implicit-def: $vgpr25
	s_and_saveexec_b64 s[28:29], vcc
	s_xor_b64 s[36:37], exec, s[28:29]
	s_cbranch_execz .LBB6_3532
; %bb.3519:                             ;   in Loop: Header=BB6_2609 Depth=4
	v_cmp_ne_u32_e32 vcc, 0, v0
	v_mov_b32_e32 v25, 0
	s_and_saveexec_b64 s[38:39], vcc
	s_cbranch_execz .LBB6_3531
; %bb.3520:                             ;   in Loop: Header=BB6_2609 Depth=4
	v_bfe_u32 v25, v0, 23, 8
	v_and_b32_e32 v1, 0x7fffff, v0
	v_cmp_gt_u32_e64 s[28:29], s47, v25
	v_sub_u32_e32 v0, 0x79, v25
	v_cmp_eq_u32_e32 vcc, 0, v25
	v_cndmask_b32_e64 v0, 0, v0, s[28:29]
	v_mov_b32_e32 v20, 0x78
	v_cndmask_b32_e32 v28, v0, v20, vcc
	v_or_b32_e32 v2, 0x800000, v1
	v_add_u32_e32 v0, 20, v28
	v_cndmask_b32_e32 v20, v2, v1, vcc
	v_lshlrev_b64 v[0:1], v0, -1
	v_add_u32_e32 v2, 19, v28
	v_lshlrev_b64 v[29:30], v2, 1
	v_bfi_b32 v1, v1, 0, 0
	v_bfi_b32 v0, v0, 0, v20
	v_cmp_eq_u64_e64 s[28:29], v[0:1], v[29:30]
	v_lshrrev_b64 v[0:1], v28, v[20:21]
	v_mov_b32_e32 v2, v1
	v_mov_b32_e32 v1, v0
	s_and_saveexec_b64 s[48:49], s[28:29]
; %bb.3521:                             ;   in Loop: Header=BB6_2609 Depth=4
	v_bfe_u32 v1, v0, 20, 1
	v_add_co_u32_e64 v1, s[28:29], v0, v1
	v_add_co_u32_e64 v1, s[28:29], -1, v1
; %bb.3522:                             ;   in Loop: Header=BB6_2609 Depth=4
	s_or_b64 exec, exec, s[48:49]
	v_add_u32_e32 v2, 0xffffff81, v25
	v_mov_b32_e32 v20, 0xffffff82
	v_cndmask_b32_e32 v2, v2, v20, vcc
	v_lshrrev_b32_e32 v20, 23, v0
	v_add3_u32 v28, v28, v2, v20
	v_add_u32_e32 v25, 6, v28
	v_and_b32_e32 v1, 0xfffff, v1
	v_add_u32_e32 v20, v1, v0
	v_cmp_ne_u32_e32 vcc, 0, v25
                                        ; implicit-def: $vgpr0_vgpr1
                                        ; implicit-def: $vgpr2
	s_and_saveexec_b64 s[28:29], vcc
	s_xor_b64 s[28:29], exec, s[28:29]
; %bb.3523:                             ;   in Loop: Header=BB6_2609 Depth=4
	v_cmp_lt_u64_e32 vcc, s[88:89], v[20:21]
	v_add_u32_e32 v0, 7, v28
	v_cndmask_b32_e32 v2, v25, v0, vcc
	v_cndmask_b32_e64 v0, 0, 1, vcc
	v_lshrrev_b64 v[0:1], v0, v[20:21]
; %bb.3524:                             ;   in Loop: Header=BB6_2609 Depth=4
	s_andn2_saveexec_b64 s[28:29], s[28:29]
; %bb.3525:                             ;   in Loop: Header=BB6_2609 Depth=4
	v_mov_b32_e32 v0, v20
	v_bfe_u32 v2, v20, 23, 1
	v_mov_b32_e32 v1, v21
; %bb.3526:                             ;   in Loop: Header=BB6_2609 Depth=4
	s_or_b64 exec, exec, s[28:29]
	v_lshrrev_b64 v[0:1], 20, v[0:1]
	v_cmp_gt_i32_e32 vcc, 16, v2
	v_cndmask_b32_e32 v1, 0, v1, vcc
	v_cndmask_b32_e32 v0, 7, v0, vcc
	v_cmp_ne_u64_e32 vcc, 0, v[0:1]
	v_cmp_ne_u32_e64 s[28:29], 0, v2
	s_or_b64 s[28:29], s[28:29], vcc
                                        ; implicit-def: $vgpr25
	s_and_saveexec_b64 vcc, s[28:29]
	s_xor_b64 s[28:29], exec, vcc
; %bb.3527:                             ;   in Loop: Header=BB6_2609 Depth=4
	v_min_i32_e32 v1, 15, v2
	v_lshl_or_b32 v1, v1, 3, v26
	v_and_or_b32 v25, v0, 7, v1
                                        ; implicit-def: $vgpr26
; %bb.3528:                             ;   in Loop: Header=BB6_2609 Depth=4
	s_andn2_saveexec_b64 s[28:29], s[28:29]
; %bb.3529:                             ;   in Loop: Header=BB6_2609 Depth=4
	v_mov_b32_e32 v25, v26
; %bb.3530:                             ;   in Loop: Header=BB6_2609 Depth=4
	s_or_b64 exec, exec, s[28:29]
.LBB6_3531:                             ;   in Loop: Header=BB6_2609 Depth=4
	s_or_b64 exec, exec, s[38:39]
                                        ; implicit-def: $vgpr26
.LBB6_3532:                             ;   in Loop: Header=BB6_2609 Depth=4
	s_andn2_saveexec_b64 s[28:29], s[36:37]
; %bb.3533:                             ;   in Loop: Header=BB6_2609 Depth=4
	v_or_b32_e32 v25, 0x7e, v26
; %bb.3534:                             ;   in Loop: Header=BB6_2609 Depth=4
	s_or_b64 exec, exec, s[28:29]
                                        ; implicit-def: $vgpr0
.LBB6_3535:                             ;   in Loop: Header=BB6_2609 Depth=4
	s_andn2_saveexec_b64 s[28:29], s[34:35]
; %bb.3536:                             ;   in Loop: Header=BB6_2609 Depth=4
	v_or_b32_sdwa v25, v0, s81 dst_sel:DWORD dst_unused:UNUSED_PAD src0_sel:BYTE_3 src1_sel:DWORD
; %bb.3537:                             ;   in Loop: Header=BB6_2609 Depth=4
	s_or_b64 exec, exec, s[28:29]
	buffer_load_dword v0, off, s[0:3], s33 offset:108 ; 4-byte Folded Reload
	v_mov_b32_e32 v1, 0
	v_mov_b32_e32 v2, 0
	s_waitcnt vmcnt(0)
	v_and_b32_e32 v0, 0xff, v0
	v_cmp_ne_u16_e32 vcc, 0, v0
	s_and_saveexec_b64 s[28:29], vcc
	s_cbranch_execz .LBB6_3543
; %bb.3538:                             ;   in Loop: Header=BB6_2609 Depth=4
	v_cmp_ne_u16_e32 vcc, s80, v0
	v_bfrev_b32_e32 v2, 1
	s_and_saveexec_b64 s[34:35], vcc
	s_cbranch_execz .LBB6_3542
; %bb.3539:                             ;   in Loop: Header=BB6_2609 Depth=4
	buffer_load_dword v30, off, s[0:3], s33 offset:108 ; 4-byte Folded Reload
	v_mov_b32_e32 v2, 0x7f800001
	s_waitcnt vmcnt(0)
	v_and_b32_e32 v20, 0x7f, v30
	v_cmp_ne_u32_e32 vcc, s81, v20
	s_and_saveexec_b64 s[36:37], vcc
	s_cbranch_execz .LBB6_3541
; %bb.3540:                             ;   in Loop: Header=BB6_2609 Depth=4
	v_and_b32_e32 v2, 7, v0
	v_lshrrev_b32_e32 v26, 3, v20
	v_cmp_gt_u32_e32 vcc, 8, v20
	v_ffbh_u32_e32 v20, v2
	v_min_u32_e32 v20, 32, v20
	v_subrev_u32_e32 v28, 28, v20
	v_lshlrev_b64 v[28:29], v28, v[0:1]
	v_sub_u32_e32 v0, 29, v20
	v_and_b32_e32 v20, 7, v28
	v_cndmask_b32_e32 v0, v26, v0, vcc
	v_cndmask_b32_e32 v2, v2, v20, vcc
	v_lshlrev_b32_e32 v20, 24, v30
	v_bfrev_b32_e32 v26, 60
	v_lshlrev_b32_e32 v2, 20, v2
	v_and_b32_e32 v20, 0x80000000, v20
	v_lshl_add_u32 v0, v0, 23, v26
	v_or3_b32 v2, v20, v0, v2
.LBB6_3541:                             ;   in Loop: Header=BB6_2609 Depth=4
	s_or_b64 exec, exec, s[36:37]
.LBB6_3542:                             ;   in Loop: Header=BB6_2609 Depth=4
	s_or_b64 exec, exec, s[34:35]
.LBB6_3543:                             ;   in Loop: Header=BB6_2609 Depth=4
	s_or_b64 exec, exec, s[28:29]
	buffer_load_dword v0, off, s[0:3], s33 offset:104 ; 4-byte Folded Reload
	s_waitcnt vmcnt(0)
	v_and_b32_e32 v0, 0xff, v0
	v_cmp_ne_u16_e32 vcc, 0, v0
	s_and_saveexec_b64 s[28:29], vcc
	s_cbranch_execz .LBB6_3549
; %bb.3544:                             ;   in Loop: Header=BB6_2609 Depth=4
	v_cmp_ne_u16_e32 vcc, s80, v0
	v_bfrev_b32_e32 v1, 1
	s_and_saveexec_b64 s[34:35], vcc
	s_cbranch_execz .LBB6_3548
; %bb.3545:                             ;   in Loop: Header=BB6_2609 Depth=4
	buffer_load_dword v29, off, s[0:3], s33 offset:104 ; 4-byte Folded Reload
	v_mov_b32_e32 v1, 0x7f800001
	s_waitcnt vmcnt(0)
	v_and_b32_e32 v20, 0x7f, v29
	v_cmp_ne_u32_e32 vcc, s81, v20
	s_and_saveexec_b64 s[36:37], vcc
	s_cbranch_execz .LBB6_3547
; %bb.3546:                             ;   in Loop: Header=BB6_2609 Depth=4
	v_and_b32_e32 v26, 7, v0
	v_ffbh_u32_e32 v1, v26
	v_lshrrev_b32_e32 v28, 3, v20
	v_cmp_gt_u32_e32 vcc, 8, v20
	v_min_u32_e32 v20, 32, v1
	v_subrev_u32_e32 v1, 28, v20
	v_lshlrev_b64 v[0:1], v1, v[0:1]
	v_sub_u32_e32 v1, 29, v20
	v_and_b32_e32 v0, 7, v0
	v_cndmask_b32_e32 v1, v28, v1, vcc
	v_cndmask_b32_e32 v0, v26, v0, vcc
	v_lshlrev_b32_e32 v20, 24, v29
	v_bfrev_b32_e32 v26, 60
	v_lshlrev_b32_e32 v0, 20, v0
	v_and_b32_e32 v20, 0x80000000, v20
	v_lshl_add_u32 v1, v1, 23, v26
	v_or3_b32 v1, v20, v1, v0
.LBB6_3547:                             ;   in Loop: Header=BB6_2609 Depth=4
	s_or_b64 exec, exec, s[36:37]
.LBB6_3548:                             ;   in Loop: Header=BB6_2609 Depth=4
	s_or_b64 exec, exec, s[34:35]
.LBB6_3549:                             ;   in Loop: Header=BB6_2609 Depth=4
	s_or_b64 exec, exec, s[28:29]
	v_mul_f32_e32 v0, v2, v1
	v_and_b32_e32 v20, 0x7f800000, v0
	v_cmp_ne_u64_e32 vcc, s[62:63], v[20:21]
                                        ; implicit-def: $vgpr26
	s_and_saveexec_b64 s[28:29], vcc
	s_xor_b64 s[34:35], exec, s[28:29]
	s_cbranch_execz .LBB6_3567
; %bb.3550:                             ;   in Loop: Header=BB6_2609 Depth=4
	v_and_b32_e32 v20, 0x7fffffff, v0
	v_cmp_gt_u64_e32 vcc, s[78:79], v[20:21]
	v_and_b32_sdwa v28, v0, s80 dst_sel:DWORD dst_unused:UNUSED_PAD src0_sel:BYTE_3 src1_sel:DWORD
                                        ; implicit-def: $vgpr26
	s_and_saveexec_b64 s[28:29], vcc
	s_xor_b64 s[36:37], exec, s[28:29]
	s_cbranch_execz .LBB6_3564
; %bb.3551:                             ;   in Loop: Header=BB6_2609 Depth=4
	v_cmp_ne_u32_e32 vcc, 0, v0
	v_mov_b32_e32 v26, 0
	s_and_saveexec_b64 s[38:39], vcc
	s_cbranch_execz .LBB6_3563
; %bb.3552:                             ;   in Loop: Header=BB6_2609 Depth=4
	v_bfe_u32 v26, v0, 23, 8
	v_and_b32_e32 v1, 0x7fffff, v0
	v_cmp_gt_u32_e64 s[28:29], s47, v26
	v_sub_u32_e32 v0, 0x79, v26
	v_cmp_eq_u32_e32 vcc, 0, v26
	v_cndmask_b32_e64 v0, 0, v0, s[28:29]
	v_mov_b32_e32 v20, 0x78
	v_cndmask_b32_e32 v29, v0, v20, vcc
	v_or_b32_e32 v2, 0x800000, v1
	v_add_u32_e32 v0, 20, v29
	v_cndmask_b32_e32 v20, v2, v1, vcc
	v_lshlrev_b64 v[0:1], v0, -1
	v_add_u32_e32 v2, 19, v29
	v_lshlrev_b64 v[30:31], v2, 1
	v_bfi_b32 v1, v1, 0, 0
	v_bfi_b32 v0, v0, 0, v20
	v_cmp_eq_u64_e64 s[28:29], v[0:1], v[30:31]
	v_lshrrev_b64 v[0:1], v29, v[20:21]
	v_mov_b32_e32 v2, v1
	v_mov_b32_e32 v1, v0
	s_and_saveexec_b64 s[48:49], s[28:29]
; %bb.3553:                             ;   in Loop: Header=BB6_2609 Depth=4
	v_bfe_u32 v1, v0, 20, 1
	v_add_co_u32_e64 v1, s[28:29], v0, v1
	v_add_co_u32_e64 v1, s[28:29], -1, v1
; %bb.3554:                             ;   in Loop: Header=BB6_2609 Depth=4
	s_or_b64 exec, exec, s[48:49]
	v_add_u32_e32 v2, 0xffffff81, v26
	v_mov_b32_e32 v20, 0xffffff82
	v_cndmask_b32_e32 v2, v2, v20, vcc
	v_lshrrev_b32_e32 v20, 23, v0
	v_add3_u32 v29, v29, v2, v20
	v_add_u32_e32 v26, 6, v29
	v_and_b32_e32 v1, 0xfffff, v1
	v_add_u32_e32 v20, v1, v0
	v_cmp_ne_u32_e32 vcc, 0, v26
                                        ; implicit-def: $vgpr0_vgpr1
                                        ; implicit-def: $vgpr2
	s_and_saveexec_b64 s[28:29], vcc
	s_xor_b64 s[28:29], exec, s[28:29]
; %bb.3555:                             ;   in Loop: Header=BB6_2609 Depth=4
	v_cmp_lt_u64_e32 vcc, s[88:89], v[20:21]
	v_add_u32_e32 v0, 7, v29
	v_cndmask_b32_e32 v2, v26, v0, vcc
	v_cndmask_b32_e64 v0, 0, 1, vcc
	v_lshrrev_b64 v[0:1], v0, v[20:21]
; %bb.3556:                             ;   in Loop: Header=BB6_2609 Depth=4
	s_andn2_saveexec_b64 s[28:29], s[28:29]
; %bb.3557:                             ;   in Loop: Header=BB6_2609 Depth=4
	v_mov_b32_e32 v0, v20
	v_bfe_u32 v2, v20, 23, 1
	v_mov_b32_e32 v1, v21
; %bb.3558:                             ;   in Loop: Header=BB6_2609 Depth=4
	s_or_b64 exec, exec, s[28:29]
	v_lshrrev_b64 v[0:1], 20, v[0:1]
	v_cmp_gt_i32_e32 vcc, 16, v2
	v_cndmask_b32_e32 v1, 0, v1, vcc
	v_cndmask_b32_e32 v0, 7, v0, vcc
	v_cmp_ne_u64_e32 vcc, 0, v[0:1]
	v_cmp_ne_u32_e64 s[28:29], 0, v2
	s_or_b64 s[28:29], s[28:29], vcc
                                        ; implicit-def: $vgpr26
	s_and_saveexec_b64 vcc, s[28:29]
	s_xor_b64 s[28:29], exec, vcc
; %bb.3559:                             ;   in Loop: Header=BB6_2609 Depth=4
	v_min_i32_e32 v1, 15, v2
	v_lshl_or_b32 v1, v1, 3, v28
	v_and_or_b32 v26, v0, 7, v1
                                        ; implicit-def: $vgpr28
; %bb.3560:                             ;   in Loop: Header=BB6_2609 Depth=4
	s_andn2_saveexec_b64 s[28:29], s[28:29]
; %bb.3561:                             ;   in Loop: Header=BB6_2609 Depth=4
	v_mov_b32_e32 v26, v28
; %bb.3562:                             ;   in Loop: Header=BB6_2609 Depth=4
	s_or_b64 exec, exec, s[28:29]
.LBB6_3563:                             ;   in Loop: Header=BB6_2609 Depth=4
	s_or_b64 exec, exec, s[38:39]
                                        ; implicit-def: $vgpr28
.LBB6_3564:                             ;   in Loop: Header=BB6_2609 Depth=4
	s_andn2_saveexec_b64 s[28:29], s[36:37]
; %bb.3565:                             ;   in Loop: Header=BB6_2609 Depth=4
	v_or_b32_e32 v26, 0x7e, v28
; %bb.3566:                             ;   in Loop: Header=BB6_2609 Depth=4
	s_or_b64 exec, exec, s[28:29]
                                        ; implicit-def: $vgpr0
.LBB6_3567:                             ;   in Loop: Header=BB6_2609 Depth=4
	s_andn2_saveexec_b64 s[28:29], s[34:35]
; %bb.3568:                             ;   in Loop: Header=BB6_2609 Depth=4
	v_or_b32_sdwa v26, v0, s81 dst_sel:DWORD dst_unused:UNUSED_PAD src0_sel:BYTE_3 src1_sel:DWORD
; %bb.3569:                             ;   in Loop: Header=BB6_2609 Depth=4
	s_or_b64 exec, exec, s[28:29]
	buffer_load_dword v0, off, s[0:3], s33 offset:100 ; 4-byte Folded Reload
	v_mov_b32_e32 v1, 0
	v_mov_b32_e32 v2, 0
	s_waitcnt vmcnt(0)
	v_and_b32_e32 v0, 0xff, v0
	v_cmp_ne_u16_e32 vcc, 0, v0
	s_and_saveexec_b64 s[28:29], vcc
	s_cbranch_execz .LBB6_3575
; %bb.3570:                             ;   in Loop: Header=BB6_2609 Depth=4
	v_cmp_ne_u16_e32 vcc, s80, v0
	v_bfrev_b32_e32 v2, 1
	s_and_saveexec_b64 s[34:35], vcc
	s_cbranch_execz .LBB6_3574
; %bb.3571:                             ;   in Loop: Header=BB6_2609 Depth=4
	buffer_load_dword v31, off, s[0:3], s33 offset:100 ; 4-byte Folded Reload
	v_mov_b32_e32 v2, 0x7f800001
	s_waitcnt vmcnt(0)
	v_and_b32_e32 v20, 0x7f, v31
	v_cmp_ne_u32_e32 vcc, s81, v20
	s_and_saveexec_b64 s[36:37], vcc
	s_cbranch_execz .LBB6_3573
; %bb.3572:                             ;   in Loop: Header=BB6_2609 Depth=4
	v_and_b32_e32 v2, 7, v0
	v_lshrrev_b32_e32 v30, 3, v20
	v_cmp_gt_u32_e32 vcc, 8, v20
	v_ffbh_u32_e32 v20, v2
	v_min_u32_e32 v20, 32, v20
	v_subrev_u32_e32 v28, 28, v20
	v_lshlrev_b64 v[28:29], v28, v[0:1]
	v_sub_u32_e32 v0, 29, v20
	v_and_b32_e32 v20, 7, v28
	v_cndmask_b32_e32 v0, v30, v0, vcc
	v_cndmask_b32_e32 v2, v2, v20, vcc
	v_lshlrev_b32_e32 v20, 24, v31
	v_bfrev_b32_e32 v28, 60
	v_lshlrev_b32_e32 v2, 20, v2
	v_and_b32_e32 v20, 0x80000000, v20
	v_lshl_add_u32 v0, v0, 23, v28
	v_or3_b32 v2, v20, v0, v2
.LBB6_3573:                             ;   in Loop: Header=BB6_2609 Depth=4
	s_or_b64 exec, exec, s[36:37]
.LBB6_3574:                             ;   in Loop: Header=BB6_2609 Depth=4
	s_or_b64 exec, exec, s[34:35]
.LBB6_3575:                             ;   in Loop: Header=BB6_2609 Depth=4
	s_or_b64 exec, exec, s[28:29]
	buffer_load_dword v0, off, s[0:3], s33 offset:96 ; 4-byte Folded Reload
	s_waitcnt vmcnt(0)
	v_and_b32_e32 v0, 0xff, v0
	v_cmp_ne_u16_e32 vcc, 0, v0
	s_and_saveexec_b64 s[28:29], vcc
	s_cbranch_execz .LBB6_3581
; %bb.3576:                             ;   in Loop: Header=BB6_2609 Depth=4
	v_cmp_ne_u16_e32 vcc, s80, v0
	v_bfrev_b32_e32 v1, 1
	s_and_saveexec_b64 s[34:35], vcc
	s_cbranch_execz .LBB6_3580
; %bb.3577:                             ;   in Loop: Header=BB6_2609 Depth=4
	buffer_load_dword v30, off, s[0:3], s33 offset:96 ; 4-byte Folded Reload
	v_mov_b32_e32 v1, 0x7f800001
	s_waitcnt vmcnt(0)
	v_and_b32_e32 v20, 0x7f, v30
	v_cmp_ne_u32_e32 vcc, s81, v20
	s_and_saveexec_b64 s[36:37], vcc
	s_cbranch_execz .LBB6_3579
; %bb.3578:                             ;   in Loop: Header=BB6_2609 Depth=4
	v_and_b32_e32 v28, 7, v0
	v_ffbh_u32_e32 v1, v28
	v_lshrrev_b32_e32 v29, 3, v20
	v_cmp_gt_u32_e32 vcc, 8, v20
	v_min_u32_e32 v20, 32, v1
	v_subrev_u32_e32 v1, 28, v20
	v_lshlrev_b64 v[0:1], v1, v[0:1]
	v_sub_u32_e32 v1, 29, v20
	v_and_b32_e32 v0, 7, v0
	v_cndmask_b32_e32 v1, v29, v1, vcc
	v_cndmask_b32_e32 v0, v28, v0, vcc
	v_lshlrev_b32_e32 v20, 24, v30
	v_bfrev_b32_e32 v28, 60
	v_lshlrev_b32_e32 v0, 20, v0
	v_and_b32_e32 v20, 0x80000000, v20
	v_lshl_add_u32 v1, v1, 23, v28
	v_or3_b32 v1, v20, v1, v0
.LBB6_3579:                             ;   in Loop: Header=BB6_2609 Depth=4
	s_or_b64 exec, exec, s[36:37]
.LBB6_3580:                             ;   in Loop: Header=BB6_2609 Depth=4
	s_or_b64 exec, exec, s[34:35]
.LBB6_3581:                             ;   in Loop: Header=BB6_2609 Depth=4
	s_or_b64 exec, exec, s[28:29]
	v_mul_f32_e32 v0, v2, v1
	v_and_b32_e32 v20, 0x7f800000, v0
	v_cmp_ne_u64_e32 vcc, s[62:63], v[20:21]
                                        ; implicit-def: $vgpr28
	s_and_saveexec_b64 s[28:29], vcc
	s_xor_b64 s[34:35], exec, s[28:29]
	s_cbranch_execz .LBB6_3599
; %bb.3582:                             ;   in Loop: Header=BB6_2609 Depth=4
	v_and_b32_e32 v20, 0x7fffffff, v0
	v_cmp_gt_u64_e32 vcc, s[78:79], v[20:21]
	v_and_b32_sdwa v29, v0, s80 dst_sel:DWORD dst_unused:UNUSED_PAD src0_sel:BYTE_3 src1_sel:DWORD
                                        ; implicit-def: $vgpr28
	s_and_saveexec_b64 s[28:29], vcc
	s_xor_b64 s[36:37], exec, s[28:29]
	s_cbranch_execz .LBB6_3596
; %bb.3583:                             ;   in Loop: Header=BB6_2609 Depth=4
	v_cmp_ne_u32_e32 vcc, 0, v0
	v_mov_b32_e32 v28, 0
	s_and_saveexec_b64 s[38:39], vcc
	s_cbranch_execz .LBB6_3595
; %bb.3584:                             ;   in Loop: Header=BB6_2609 Depth=4
	v_bfe_u32 v28, v0, 23, 8
	v_and_b32_e32 v1, 0x7fffff, v0
	v_cmp_gt_u32_e64 s[28:29], s47, v28
	v_sub_u32_e32 v0, 0x79, v28
	v_cmp_eq_u32_e32 vcc, 0, v28
	v_cndmask_b32_e64 v0, 0, v0, s[28:29]
	v_mov_b32_e32 v20, 0x78
	v_cndmask_b32_e32 v30, v0, v20, vcc
	v_or_b32_e32 v2, 0x800000, v1
	v_add_u32_e32 v0, 20, v30
	v_cndmask_b32_e32 v20, v2, v1, vcc
	v_lshlrev_b64 v[0:1], v0, -1
	v_add_u32_e32 v2, 19, v30
	v_lshlrev_b64 v[31:32], v2, 1
	v_bfi_b32 v1, v1, 0, 0
	v_bfi_b32 v0, v0, 0, v20
	v_cmp_eq_u64_e64 s[28:29], v[0:1], v[31:32]
	v_lshrrev_b64 v[0:1], v30, v[20:21]
	v_mov_b32_e32 v2, v1
	v_mov_b32_e32 v1, v0
	s_and_saveexec_b64 s[48:49], s[28:29]
; %bb.3585:                             ;   in Loop: Header=BB6_2609 Depth=4
	v_bfe_u32 v1, v0, 20, 1
	v_add_co_u32_e64 v1, s[28:29], v0, v1
	v_add_co_u32_e64 v1, s[28:29], -1, v1
; %bb.3586:                             ;   in Loop: Header=BB6_2609 Depth=4
	s_or_b64 exec, exec, s[48:49]
	v_add_u32_e32 v2, 0xffffff81, v28
	v_mov_b32_e32 v20, 0xffffff82
	v_cndmask_b32_e32 v2, v2, v20, vcc
	v_lshrrev_b32_e32 v20, 23, v0
	v_add3_u32 v30, v30, v2, v20
	v_add_u32_e32 v28, 6, v30
	v_and_b32_e32 v1, 0xfffff, v1
	v_add_u32_e32 v20, v1, v0
	v_cmp_ne_u32_e32 vcc, 0, v28
                                        ; implicit-def: $vgpr0_vgpr1
                                        ; implicit-def: $vgpr2
	s_and_saveexec_b64 s[28:29], vcc
	s_xor_b64 s[28:29], exec, s[28:29]
; %bb.3587:                             ;   in Loop: Header=BB6_2609 Depth=4
	v_cmp_lt_u64_e32 vcc, s[88:89], v[20:21]
	v_add_u32_e32 v0, 7, v30
	v_cndmask_b32_e32 v2, v28, v0, vcc
	v_cndmask_b32_e64 v0, 0, 1, vcc
	v_lshrrev_b64 v[0:1], v0, v[20:21]
; %bb.3588:                             ;   in Loop: Header=BB6_2609 Depth=4
	s_andn2_saveexec_b64 s[28:29], s[28:29]
; %bb.3589:                             ;   in Loop: Header=BB6_2609 Depth=4
	v_mov_b32_e32 v0, v20
	v_bfe_u32 v2, v20, 23, 1
	v_mov_b32_e32 v1, v21
; %bb.3590:                             ;   in Loop: Header=BB6_2609 Depth=4
	s_or_b64 exec, exec, s[28:29]
	v_lshrrev_b64 v[0:1], 20, v[0:1]
	v_cmp_gt_i32_e32 vcc, 16, v2
	v_cndmask_b32_e32 v1, 0, v1, vcc
	v_cndmask_b32_e32 v0, 7, v0, vcc
	v_cmp_ne_u64_e32 vcc, 0, v[0:1]
	v_cmp_ne_u32_e64 s[28:29], 0, v2
	s_or_b64 s[28:29], s[28:29], vcc
                                        ; implicit-def: $vgpr28
	s_and_saveexec_b64 vcc, s[28:29]
	s_xor_b64 s[28:29], exec, vcc
; %bb.3591:                             ;   in Loop: Header=BB6_2609 Depth=4
	v_min_i32_e32 v1, 15, v2
	v_lshl_or_b32 v1, v1, 3, v29
	v_and_or_b32 v28, v0, 7, v1
                                        ; implicit-def: $vgpr29
; %bb.3592:                             ;   in Loop: Header=BB6_2609 Depth=4
	s_andn2_saveexec_b64 s[28:29], s[28:29]
; %bb.3593:                             ;   in Loop: Header=BB6_2609 Depth=4
	v_mov_b32_e32 v28, v29
; %bb.3594:                             ;   in Loop: Header=BB6_2609 Depth=4
	s_or_b64 exec, exec, s[28:29]
.LBB6_3595:                             ;   in Loop: Header=BB6_2609 Depth=4
	s_or_b64 exec, exec, s[38:39]
                                        ; implicit-def: $vgpr29
.LBB6_3596:                             ;   in Loop: Header=BB6_2609 Depth=4
	s_andn2_saveexec_b64 s[28:29], s[36:37]
; %bb.3597:                             ;   in Loop: Header=BB6_2609 Depth=4
	v_or_b32_e32 v28, 0x7e, v29
; %bb.3598:                             ;   in Loop: Header=BB6_2609 Depth=4
	s_or_b64 exec, exec, s[28:29]
                                        ; implicit-def: $vgpr0
.LBB6_3599:                             ;   in Loop: Header=BB6_2609 Depth=4
	s_andn2_saveexec_b64 s[28:29], s[34:35]
; %bb.3600:                             ;   in Loop: Header=BB6_2609 Depth=4
	v_or_b32_sdwa v28, v0, s81 dst_sel:DWORD dst_unused:UNUSED_PAD src0_sel:BYTE_3 src1_sel:DWORD
; %bb.3601:                             ;   in Loop: Header=BB6_2609 Depth=4
	s_or_b64 exec, exec, s[28:29]
	v_and_b32_e32 v0, 0xff, v51
	v_cmp_ne_u16_e32 vcc, 0, v0
	v_mov_b32_e32 v1, 0
	v_mov_b32_e32 v2, 0
	s_and_saveexec_b64 s[28:29], vcc
	s_cbranch_execz .LBB6_3607
; %bb.3602:                             ;   in Loop: Header=BB6_2609 Depth=4
	v_cmp_ne_u16_e32 vcc, s80, v0
	v_bfrev_b32_e32 v2, 1
	s_and_saveexec_b64 s[34:35], vcc
	s_cbranch_execz .LBB6_3606
; %bb.3603:                             ;   in Loop: Header=BB6_2609 Depth=4
	v_and_b32_e32 v20, 0x7f, v51
	v_cmp_ne_u32_e32 vcc, s81, v20
	v_mov_b32_e32 v2, 0x7f800001
	s_and_saveexec_b64 s[36:37], vcc
	s_cbranch_execz .LBB6_3605
; %bb.3604:                             ;   in Loop: Header=BB6_2609 Depth=4
	v_and_b32_e32 v2, 7, v0
	v_lshrrev_b32_e32 v31, 3, v20
	v_cmp_gt_u32_e32 vcc, 8, v20
	v_ffbh_u32_e32 v20, v2
	v_min_u32_e32 v20, 32, v20
	v_subrev_u32_e32 v29, 28, v20
	v_lshlrev_b64 v[29:30], v29, v[0:1]
	v_sub_u32_e32 v0, 29, v20
	v_and_b32_e32 v20, 7, v29
	v_cndmask_b32_e32 v0, v31, v0, vcc
	v_cndmask_b32_e32 v2, v2, v20, vcc
	v_lshlrev_b32_e32 v20, 24, v51
	v_bfrev_b32_e32 v29, 60
	v_lshlrev_b32_e32 v2, 20, v2
	v_and_b32_e32 v20, 0x80000000, v20
	v_lshl_add_u32 v0, v0, 23, v29
	v_or3_b32 v2, v20, v0, v2
.LBB6_3605:                             ;   in Loop: Header=BB6_2609 Depth=4
	s_or_b64 exec, exec, s[36:37]
.LBB6_3606:                             ;   in Loop: Header=BB6_2609 Depth=4
	s_or_b64 exec, exec, s[34:35]
.LBB6_3607:                             ;   in Loop: Header=BB6_2609 Depth=4
	s_or_b64 exec, exec, s[28:29]
	v_and_b32_e32 v0, 0xff, v52
	v_cmp_ne_u16_e32 vcc, 0, v0
	s_and_saveexec_b64 s[28:29], vcc
	s_cbranch_execz .LBB6_3613
; %bb.3608:                             ;   in Loop: Header=BB6_2609 Depth=4
	v_cmp_ne_u16_e32 vcc, s80, v0
	v_bfrev_b32_e32 v1, 1
	s_and_saveexec_b64 s[34:35], vcc
	s_cbranch_execz .LBB6_3612
; %bb.3609:                             ;   in Loop: Header=BB6_2609 Depth=4
	v_and_b32_e32 v20, 0x7f, v52
	v_cmp_ne_u32_e32 vcc, s81, v20
	v_mov_b32_e32 v1, 0x7f800001
	s_and_saveexec_b64 s[36:37], vcc
	s_cbranch_execz .LBB6_3611
; %bb.3610:                             ;   in Loop: Header=BB6_2609 Depth=4
	v_and_b32_e32 v29, 7, v0
	v_ffbh_u32_e32 v1, v29
	v_lshrrev_b32_e32 v30, 3, v20
	v_cmp_gt_u32_e32 vcc, 8, v20
	v_min_u32_e32 v20, 32, v1
	v_subrev_u32_e32 v1, 28, v20
	v_lshlrev_b64 v[0:1], v1, v[0:1]
	v_sub_u32_e32 v1, 29, v20
	v_and_b32_e32 v0, 7, v0
	v_cndmask_b32_e32 v1, v30, v1, vcc
	v_cndmask_b32_e32 v0, v29, v0, vcc
	v_lshlrev_b32_e32 v20, 24, v52
	v_bfrev_b32_e32 v29, 60
	v_lshlrev_b32_e32 v0, 20, v0
	v_and_b32_e32 v20, 0x80000000, v20
	v_lshl_add_u32 v1, v1, 23, v29
	v_or3_b32 v1, v20, v1, v0
.LBB6_3611:                             ;   in Loop: Header=BB6_2609 Depth=4
	s_or_b64 exec, exec, s[36:37]
.LBB6_3612:                             ;   in Loop: Header=BB6_2609 Depth=4
	s_or_b64 exec, exec, s[34:35]
.LBB6_3613:                             ;   in Loop: Header=BB6_2609 Depth=4
	s_or_b64 exec, exec, s[28:29]
	v_mul_f32_e32 v0, v2, v1
	v_and_b32_e32 v20, 0x7f800000, v0
	v_cmp_ne_u64_e32 vcc, s[62:63], v[20:21]
                                        ; implicit-def: $vgpr1
	s_and_saveexec_b64 s[28:29], vcc
	s_xor_b64 s[34:35], exec, s[28:29]
	s_cbranch_execz .LBB6_3631
; %bb.3614:                             ;   in Loop: Header=BB6_2609 Depth=4
	v_and_b32_e32 v20, 0x7fffffff, v0
	v_cmp_gt_u64_e32 vcc, s[78:79], v[20:21]
	v_and_b32_sdwa v29, v0, s80 dst_sel:DWORD dst_unused:UNUSED_PAD src0_sel:BYTE_3 src1_sel:DWORD
                                        ; implicit-def: $vgpr1
	s_and_saveexec_b64 s[28:29], vcc
	s_xor_b64 s[36:37], exec, s[28:29]
	s_cbranch_execz .LBB6_3628
; %bb.3615:                             ;   in Loop: Header=BB6_2609 Depth=4
	v_cmp_ne_u32_e32 vcc, 0, v0
	v_mov_b32_e32 v1, 0
	s_and_saveexec_b64 s[38:39], vcc
	s_cbranch_execz .LBB6_3627
; %bb.3616:                             ;   in Loop: Header=BB6_2609 Depth=4
	v_bfe_u32 v30, v0, 23, 8
	v_and_b32_e32 v1, 0x7fffff, v0
	v_cmp_gt_u32_e64 s[28:29], s47, v30
	v_sub_u32_e32 v0, 0x79, v30
	v_cmp_eq_u32_e32 vcc, 0, v30
	v_cndmask_b32_e64 v0, 0, v0, s[28:29]
	v_mov_b32_e32 v20, 0x78
	v_cndmask_b32_e32 v31, v0, v20, vcc
	v_or_b32_e32 v2, 0x800000, v1
	v_add_u32_e32 v0, 20, v31
	v_cndmask_b32_e32 v20, v2, v1, vcc
	v_lshlrev_b64 v[0:1], v0, -1
	v_add_u32_e32 v2, 19, v31
	v_lshlrev_b64 v[34:35], v2, 1
	v_bfi_b32 v1, v1, 0, 0
	v_bfi_b32 v0, v0, 0, v20
	v_cmp_eq_u64_e64 s[28:29], v[0:1], v[34:35]
	v_lshrrev_b64 v[0:1], v31, v[20:21]
	v_mov_b32_e32 v2, v1
	v_mov_b32_e32 v1, v0
	s_and_saveexec_b64 s[48:49], s[28:29]
; %bb.3617:                             ;   in Loop: Header=BB6_2609 Depth=4
	v_bfe_u32 v1, v0, 20, 1
	v_add_co_u32_e64 v1, s[28:29], v0, v1
	v_add_co_u32_e64 v1, s[28:29], -1, v1
; %bb.3618:                             ;   in Loop: Header=BB6_2609 Depth=4
	s_or_b64 exec, exec, s[48:49]
	v_add_u32_e32 v2, 0xffffff81, v30
	v_mov_b32_e32 v20, 0xffffff82
	v_cndmask_b32_e32 v2, v2, v20, vcc
	v_lshrrev_b32_e32 v20, 23, v0
	v_add3_u32 v31, v31, v2, v20
	v_add_u32_e32 v30, 6, v31
	v_and_b32_e32 v1, 0xfffff, v1
	v_add_u32_e32 v20, v1, v0
	v_cmp_ne_u32_e32 vcc, 0, v30
                                        ; implicit-def: $vgpr0_vgpr1
                                        ; implicit-def: $vgpr2
	s_and_saveexec_b64 s[28:29], vcc
	s_xor_b64 s[28:29], exec, s[28:29]
; %bb.3619:                             ;   in Loop: Header=BB6_2609 Depth=4
	v_cmp_lt_u64_e32 vcc, s[88:89], v[20:21]
	v_add_u32_e32 v0, 7, v31
	v_cndmask_b32_e32 v2, v30, v0, vcc
	v_cndmask_b32_e64 v0, 0, 1, vcc
	v_lshrrev_b64 v[0:1], v0, v[20:21]
; %bb.3620:                             ;   in Loop: Header=BB6_2609 Depth=4
	s_andn2_saveexec_b64 s[28:29], s[28:29]
; %bb.3621:                             ;   in Loop: Header=BB6_2609 Depth=4
	v_mov_b32_e32 v0, v20
	v_bfe_u32 v2, v20, 23, 1
	v_mov_b32_e32 v1, v21
; %bb.3622:                             ;   in Loop: Header=BB6_2609 Depth=4
	s_or_b64 exec, exec, s[28:29]
	v_lshrrev_b64 v[0:1], 20, v[0:1]
	v_cmp_gt_i32_e32 vcc, 16, v2
	v_cndmask_b32_e32 v1, 0, v1, vcc
	v_cndmask_b32_e32 v0, 7, v0, vcc
	v_cmp_ne_u64_e32 vcc, 0, v[0:1]
	v_cmp_ne_u32_e64 s[28:29], 0, v2
	s_or_b64 s[28:29], s[28:29], vcc
                                        ; implicit-def: $vgpr1
	s_and_saveexec_b64 vcc, s[28:29]
	s_xor_b64 s[28:29], exec, vcc
; %bb.3623:                             ;   in Loop: Header=BB6_2609 Depth=4
	v_min_i32_e32 v1, 15, v2
	v_lshl_or_b32 v1, v1, 3, v29
	v_and_or_b32 v1, v0, 7, v1
                                        ; implicit-def: $vgpr29
; %bb.3624:                             ;   in Loop: Header=BB6_2609 Depth=4
	s_andn2_saveexec_b64 s[28:29], s[28:29]
; %bb.3625:                             ;   in Loop: Header=BB6_2609 Depth=4
	v_mov_b32_e32 v1, v29
; %bb.3626:                             ;   in Loop: Header=BB6_2609 Depth=4
	s_or_b64 exec, exec, s[28:29]
.LBB6_3627:                             ;   in Loop: Header=BB6_2609 Depth=4
	s_or_b64 exec, exec, s[38:39]
                                        ; implicit-def: $vgpr29
.LBB6_3628:                             ;   in Loop: Header=BB6_2609 Depth=4
	s_andn2_saveexec_b64 s[28:29], s[36:37]
; %bb.3629:                             ;   in Loop: Header=BB6_2609 Depth=4
	v_or_b32_e32 v1, 0x7e, v29
; %bb.3630:                             ;   in Loop: Header=BB6_2609 Depth=4
	s_or_b64 exec, exec, s[28:29]
                                        ; implicit-def: $vgpr0
.LBB6_3631:                             ;   in Loop: Header=BB6_2609 Depth=4
	s_andn2_saveexec_b64 s[28:29], s[34:35]
	s_cbranch_execz .LBB6_2608
; %bb.3632:                             ;   in Loop: Header=BB6_2609 Depth=4
	v_or_b32_sdwa v1, v0, s81 dst_sel:DWORD dst_unused:UNUSED_PAD src0_sel:BYTE_3 src1_sel:DWORD
	s_branch .LBB6_2608
.LBB6_3633:                             ;   in Loop: Header=BB6_274 Depth=3
	s_or_b64 exec, exec, s[30:31]
	buffer_load_dword v56, off, s[0:3], s33 offset:200 ; 4-byte Folded Reload
	buffer_load_dword v52, off, s[0:3], s33 offset:320 ; 4-byte Folded Reload
	;; [unrolled: 1-line block ×13, first 2 shown]
.LBB6_3634:                             ;   in Loop: Header=BB6_274 Depth=3
	s_or_b64 exec, exec, s[94:95]
	s_waitcnt vmcnt(0)
	v_lshlrev_b32_e32 v0, 11, v3
	v_cmp_ne_u32_e32 vcc, v8, v0
	s_and_b64 exec, exec, vcc
	s_cbranch_execz .LBB6_3670
; %bb.3635:                             ;   in Loop: Header=BB6_274 Depth=3
	v_add_u32_e32 v1, v9, v1
	v_and_b32_e32 v1, 0xffffffc0, v1
	v_sub_u32_e32 v1, v9, v1
	v_lshlrev_b32_e32 v2, 6, v5
	v_sub_u32_e32 v1, v1, v2
	v_add_u32_e32 v0, v0, v1
	v_sub_u32_e32 v3, v8, v0
	v_cmp_lt_i32_e32 vcc, 0, v3
	s_and_b64 exec, exec, vcc
	s_cbranch_execz .LBB6_3670
; %bb.3636:                             ;   in Loop: Header=BB6_274 Depth=3
	v_add_u32_e32 v2, v0, v7
	s_trap 2
	ds_read_b128 v[4:7], v0
	ds_read_b64 v[0:1], v0
	v_ashrrev_i32_e32 v13, 31, v2
	s_mov_b64 s[94:95], 0
	s_waitcnt lgkmcnt(0)
	v_add_co_u32_e32 v8, vcc, v4, v2
	v_addc_co_u32_e32 v9, vcc, v5, v13, vcc
	v_add_co_u32_e32 v10, vcc, v6, v2
	v_addc_co_u32_e32 v11, vcc, v7, v13, vcc
	;; [unrolled: 2-line block ×3, first 2 shown]
	s_branch .LBB6_3638
.LBB6_3637:                             ;   in Loop: Header=BB6_3638 Depth=4
	s_or_b64 exec, exec, s[28:29]
	buffer_load_dword v0, off, s[0:3], s33 offset:196 ; 4-byte Folded Reload
	s_waitcnt vmcnt(0)
	v_add_co_u32_e32 v8, vcc, v8, v0
	v_addc_co_u32_e32 v9, vcc, 0, v9, vcc
	v_add_co_u32_e32 v10, vcc, v10, v0
	v_addc_co_u32_e32 v11, vcc, 0, v11, vcc
	v_sub_u32_e32 v3, v3, v0
	v_cmp_gt_i32_e32 vcc, 1, v3
	flat_store_byte v[12:13], v1 glc slc
	s_or_b64 s[94:95], vcc, s[94:95]
	v_add_co_u32_e32 v12, vcc, v12, v0
	v_addc_co_u32_e32 v13, vcc, 0, v13, vcc
	s_andn2_b64 exec, exec, s[94:95]
	s_cbranch_execz .LBB6_3670
.LBB6_3638:                             ;   Parent Loop BB6_47 Depth=1
                                        ;     Parent Loop BB6_271 Depth=2
                                        ;       Parent Loop BB6_274 Depth=3
                                        ; =>      This Inner Loop Header: Depth=4
	flat_load_ubyte v5, v[8:9] glc slc
	flat_load_ubyte v2, v[10:11] glc slc
	v_mov_b32_e32 v1, 0
	v_mov_b32_e32 v4, 0
	s_waitcnt vmcnt(0) lgkmcnt(0)
	v_cmp_ne_u16_e32 vcc, 0, v5
	s_and_saveexec_b64 s[28:29], vcc
	s_cbranch_execz .LBB6_3644
; %bb.3639:                             ;   in Loop: Header=BB6_3638 Depth=4
	v_cmp_ne_u16_e32 vcc, s80, v5
	v_bfrev_b32_e32 v4, 1
	s_and_saveexec_b64 s[30:31], vcc
	s_cbranch_execz .LBB6_3643
; %bb.3640:                             ;   in Loop: Header=BB6_3638 Depth=4
	v_and_b32_e32 v0, 0xffff, v5
	v_and_b32_e32 v6, 0x7f, v0
	v_cmp_ne_u32_e32 vcc, s81, v6
	v_mov_b32_e32 v4, 0x7f800001
	s_and_saveexec_b64 s[34:35], vcc
	s_cbranch_execz .LBB6_3642
; %bb.3641:                             ;   in Loop: Header=BB6_3638 Depth=4
	v_and_b32_e32 v4, 7, v0
	v_lshrrev_b32_e32 v14, 3, v6
	v_cmp_gt_u32_e32 vcc, 8, v6
	v_ffbh_u32_e32 v6, v4
	v_min_u32_e32 v15, 32, v6
	v_subrev_u32_e32 v6, 28, v15
	v_lshlrev_b64 v[6:7], v6, v[0:1]
	v_sub_u32_e32 v0, 29, v15
	v_and_b32_e32 v6, 7, v6
	v_cndmask_b32_e32 v0, v14, v0, vcc
	v_cndmask_b32_e32 v4, v4, v6, vcc
	v_lshlrev_b32_e32 v5, 24, v5
	v_bfrev_b32_e32 v6, 60
	v_lshlrev_b32_e32 v4, 20, v4
	v_and_b32_e32 v5, 0x80000000, v5
	v_lshl_add_u32 v0, v0, 23, v6
	v_or3_b32 v4, v5, v0, v4
.LBB6_3642:                             ;   in Loop: Header=BB6_3638 Depth=4
	s_or_b64 exec, exec, s[34:35]
.LBB6_3643:                             ;   in Loop: Header=BB6_3638 Depth=4
	s_or_b64 exec, exec, s[30:31]
.LBB6_3644:                             ;   in Loop: Header=BB6_3638 Depth=4
	s_or_b64 exec, exec, s[28:29]
	v_and_b32_e32 v0, 0xff, v2
	v_cmp_ne_u16_e32 vcc, 0, v0
	s_and_saveexec_b64 s[28:29], vcc
	s_cbranch_execz .LBB6_3650
; %bb.3645:                             ;   in Loop: Header=BB6_3638 Depth=4
	v_cmp_ne_u16_e32 vcc, s80, v0
	v_bfrev_b32_e32 v1, 1
	s_and_saveexec_b64 s[30:31], vcc
	s_cbranch_execz .LBB6_3649
; %bb.3646:                             ;   in Loop: Header=BB6_3638 Depth=4
	v_and_b32_e32 v5, 0x7f, v2
	v_cmp_ne_u32_e32 vcc, s81, v5
	v_mov_b32_e32 v1, 0x7f800001
	s_and_saveexec_b64 s[34:35], vcc
	s_cbranch_execz .LBB6_3648
; %bb.3647:                             ;   in Loop: Header=BB6_3638 Depth=4
	v_and_b32_e32 v6, 7, v0
	v_lshlrev_b32_e32 v1, 24, v2
	v_and_b32_e32 v2, 0x80000000, v1
	v_ffbh_u32_e32 v1, v6
	v_lshrrev_b32_e32 v7, 3, v5
	v_cmp_gt_u32_e32 vcc, 8, v5
	v_min_u32_e32 v5, 32, v1
	v_subrev_u32_e32 v1, 28, v5
	v_lshlrev_b64 v[0:1], v1, v[0:1]
	v_sub_u32_e32 v1, 29, v5
	v_and_b32_e32 v0, 7, v0
	v_cndmask_b32_e32 v1, v7, v1, vcc
	v_cndmask_b32_e32 v0, v6, v0, vcc
	v_bfrev_b32_e32 v5, 60
	v_lshlrev_b32_e32 v0, 20, v0
	v_lshl_add_u32 v1, v1, 23, v5
	v_or3_b32 v1, v2, v1, v0
.LBB6_3648:                             ;   in Loop: Header=BB6_3638 Depth=4
	s_or_b64 exec, exec, s[34:35]
.LBB6_3649:                             ;   in Loop: Header=BB6_3638 Depth=4
	s_or_b64 exec, exec, s[30:31]
.LBB6_3650:                             ;   in Loop: Header=BB6_3638 Depth=4
	s_or_b64 exec, exec, s[28:29]
	v_mul_f32_e32 v0, v4, v1
	v_and_b32_e32 v20, 0x7f800000, v0
	v_cmp_ne_u64_e32 vcc, s[62:63], v[20:21]
                                        ; implicit-def: $vgpr1
	s_and_saveexec_b64 s[28:29], vcc
	s_xor_b64 s[30:31], exec, s[28:29]
	s_cbranch_execz .LBB6_3668
; %bb.3651:                             ;   in Loop: Header=BB6_3638 Depth=4
	v_and_b32_e32 v20, 0x7fffffff, v0
	v_cmp_gt_u64_e32 vcc, s[78:79], v[20:21]
	v_and_b32_sdwa v4, v0, s80 dst_sel:DWORD dst_unused:UNUSED_PAD src0_sel:BYTE_3 src1_sel:DWORD
                                        ; implicit-def: $vgpr1
	s_and_saveexec_b64 s[28:29], vcc
	s_xor_b64 s[34:35], exec, s[28:29]
	s_cbranch_execz .LBB6_3665
; %bb.3652:                             ;   in Loop: Header=BB6_3638 Depth=4
	v_cmp_ne_u32_e32 vcc, 0, v0
	v_mov_b32_e32 v1, 0
	s_and_saveexec_b64 s[36:37], vcc
	s_cbranch_execz .LBB6_3664
; %bb.3653:                             ;   in Loop: Header=BB6_3638 Depth=4
	v_bfe_u32 v5, v0, 23, 8
	v_and_b32_e32 v1, 0x7fffff, v0
	v_cmp_gt_u32_e64 s[28:29], s47, v5
	v_sub_u32_e32 v0, 0x79, v5
	v_cmp_eq_u32_e32 vcc, 0, v5
	v_cndmask_b32_e64 v0, 0, v0, s[28:29]
	v_mov_b32_e32 v6, 0x78
	v_cndmask_b32_e32 v6, v0, v6, vcc
	v_or_b32_e32 v2, 0x800000, v1
	v_add_u32_e32 v0, 20, v6
	v_cndmask_b32_e32 v20, v2, v1, vcc
	v_lshlrev_b64 v[0:1], v0, -1
	v_add_u32_e32 v2, 19, v6
	v_lshlrev_b64 v[14:15], v2, 1
	v_bfi_b32 v1, v1, 0, 0
	v_bfi_b32 v0, v0, 0, v20
	v_cmp_eq_u64_e64 s[28:29], v[0:1], v[14:15]
	v_lshrrev_b64 v[0:1], v6, v[20:21]
	v_mov_b32_e32 v2, v1
	v_mov_b32_e32 v1, v0
	s_and_saveexec_b64 s[38:39], s[28:29]
; %bb.3654:                             ;   in Loop: Header=BB6_3638 Depth=4
	v_bfe_u32 v1, v0, 20, 1
	v_add_co_u32_e64 v1, s[28:29], v0, v1
	v_add_co_u32_e64 v1, s[28:29], -1, v1
; %bb.3655:                             ;   in Loop: Header=BB6_3638 Depth=4
	s_or_b64 exec, exec, s[38:39]
	v_add_u32_e32 v2, 0xffffff81, v5
	v_mov_b32_e32 v5, 0xffffff82
	v_cndmask_b32_e32 v2, v2, v5, vcc
	v_lshrrev_b32_e32 v5, 23, v0
	v_add3_u32 v6, v6, v2, v5
	v_add_u32_e32 v5, 6, v6
	v_and_b32_e32 v1, 0xfffff, v1
	v_add_u32_e32 v20, v1, v0
	v_cmp_ne_u32_e32 vcc, 0, v5
                                        ; implicit-def: $vgpr0_vgpr1
                                        ; implicit-def: $vgpr2
	s_and_saveexec_b64 s[28:29], vcc
	s_xor_b64 s[28:29], exec, s[28:29]
; %bb.3656:                             ;   in Loop: Header=BB6_3638 Depth=4
	v_cmp_lt_u64_e32 vcc, s[88:89], v[20:21]
	v_add_u32_e32 v0, 7, v6
	v_cndmask_b32_e32 v2, v5, v0, vcc
	v_cndmask_b32_e64 v0, 0, 1, vcc
	v_lshrrev_b64 v[0:1], v0, v[20:21]
; %bb.3657:                             ;   in Loop: Header=BB6_3638 Depth=4
	s_andn2_saveexec_b64 s[28:29], s[28:29]
; %bb.3658:                             ;   in Loop: Header=BB6_3638 Depth=4
	v_mov_b32_e32 v0, v20
	v_bfe_u32 v2, v20, 23, 1
	v_mov_b32_e32 v1, v21
; %bb.3659:                             ;   in Loop: Header=BB6_3638 Depth=4
	s_or_b64 exec, exec, s[28:29]
	v_lshrrev_b64 v[0:1], 20, v[0:1]
	v_cmp_gt_i32_e32 vcc, 16, v2
	v_cndmask_b32_e32 v1, 0, v1, vcc
	v_cndmask_b32_e32 v0, 7, v0, vcc
	v_cmp_ne_u64_e32 vcc, 0, v[0:1]
	v_cmp_ne_u32_e64 s[28:29], 0, v2
	s_or_b64 s[28:29], s[28:29], vcc
                                        ; implicit-def: $vgpr1
	s_and_saveexec_b64 vcc, s[28:29]
	s_xor_b64 s[28:29], exec, vcc
; %bb.3660:                             ;   in Loop: Header=BB6_3638 Depth=4
	v_min_i32_e32 v1, 15, v2
	v_lshl_or_b32 v1, v1, 3, v4
	v_and_or_b32 v1, v0, 7, v1
                                        ; implicit-def: $vgpr4
; %bb.3661:                             ;   in Loop: Header=BB6_3638 Depth=4
	s_andn2_saveexec_b64 s[28:29], s[28:29]
; %bb.3662:                             ;   in Loop: Header=BB6_3638 Depth=4
	v_mov_b32_e32 v1, v4
; %bb.3663:                             ;   in Loop: Header=BB6_3638 Depth=4
	s_or_b64 exec, exec, s[28:29]
.LBB6_3664:                             ;   in Loop: Header=BB6_3638 Depth=4
	s_or_b64 exec, exec, s[36:37]
                                        ; implicit-def: $vgpr4
.LBB6_3665:                             ;   in Loop: Header=BB6_3638 Depth=4
	s_andn2_saveexec_b64 s[28:29], s[34:35]
; %bb.3666:                             ;   in Loop: Header=BB6_3638 Depth=4
	v_or_b32_e32 v1, 0x7e, v4
; %bb.3667:                             ;   in Loop: Header=BB6_3638 Depth=4
	s_or_b64 exec, exec, s[28:29]
                                        ; implicit-def: $vgpr0
.LBB6_3668:                             ;   in Loop: Header=BB6_3638 Depth=4
	s_andn2_saveexec_b64 s[28:29], s[30:31]
	s_cbranch_execz .LBB6_3637
; %bb.3669:                             ;   in Loop: Header=BB6_3638 Depth=4
	v_or_b32_sdwa v1, v0, s81 dst_sel:DWORD dst_unused:UNUSED_PAD src0_sel:BYTE_3 src1_sel:DWORD
	s_branch .LBB6_3637
.LBB6_3670:                             ;   in Loop: Header=BB6_274 Depth=3
	s_or_b64 exec, exec, s[40:41]
	v_cmp_lt_i32_e64 s[28:29], 0, v54
	s_and_saveexec_b64 s[40:41], s[10:11]
	s_cbranch_execz .LBB6_349
.LBB6_3671:                             ;   in Loop: Header=BB6_274 Depth=3
	s_and_saveexec_b64 s[94:95], s[58:59]
	s_xor_b64 s[94:95], exec, s[94:95]
	s_cbranch_execz .LBB6_3686
; %bb.3672:                             ;   in Loop: Header=BB6_274 Depth=3
	s_and_saveexec_b64 s[30:31], s[16:17]
	s_cbranch_execz .LBB6_3685
; %bb.3673:                             ;   in Loop: Header=BB6_274 Depth=3
	s_mov_b64 s[36:37], exec
	v_mbcnt_lo_u32_b32 v0, s36, 0
	v_mbcnt_hi_u32_b32 v0, s37, v0
	v_cmp_eq_u32_e32 vcc, 0, v0
	s_waitcnt vmcnt(0) lgkmcnt(0)
	buffer_wbinvl1_vol
	s_and_saveexec_b64 s[34:35], vcc
	s_cbranch_execz .LBB6_3675
; %bb.3674:                             ;   in Loop: Header=BB6_274 Depth=3
	s_bcnt1_i32_b64 s9, s[36:37]
	v_mov_b32_e32 v20, s9
	ds_add_u64 v0, v[20:21]
	s_trap 2
.LBB6_3675:                             ;   in Loop: Header=BB6_274 Depth=3
	s_or_b64 exec, exec, s[34:35]
	s_trap 2
	ds_read_b64 v[0:1], v0
	s_waitcnt lgkmcnt(0)
	buffer_load_dword v2, off, s[0:3], s33 offset:76 ; 4-byte Folded Reload
	buffer_load_dword v3, off, s[0:3], s33 offset:80 ; 4-byte Folded Reload
	s_waitcnt vmcnt(1)
	v_add_co_u32_e32 v2, vcc, v2, v49
	s_waitcnt vmcnt(0)
	v_addc_co_u32_e32 v3, vcc, 0, v3, vcc
	buffer_store_dword v2, off, s[0:3], s33 offset:76 ; 4-byte Folded Spill
	s_nop 0
	buffer_store_dword v3, off, s[0:3], s33 offset:80 ; 4-byte Folded Spill
	v_cmp_lt_u64_e32 vcc, v[0:1], v[2:3]
	s_and_saveexec_b64 s[34:35], vcc
	s_cbranch_execz .LBB6_3684
; %bb.3676:                             ;   in Loop: Header=BB6_274 Depth=3
	s_mov_b32 s9, 0
	s_mov_b64 s[36:37], 0
                                        ; implicit-def: $sgpr38_sgpr39
                                        ; implicit-def: $sgpr48_sgpr49
	s_branch .LBB6_3678
.LBB6_3677:                             ;   in Loop: Header=BB6_3678 Depth=4
	s_or_b64 exec, exec, s[52:53]
	s_and_b64 vcc, exec, vcc
	s_or_b64 s[36:37], vcc, s[36:37]
	s_andn2_b64 vcc, s[38:39], exec
	s_and_b64 s[38:39], s[48:49], exec
	s_or_b64 s[38:39], vcc, s[38:39]
	s_andn2_b64 exec, exec, s[36:37]
	s_cbranch_execz .LBB6_3682
.LBB6_3678:                             ;   Parent Loop BB6_47 Depth=1
                                        ;     Parent Loop BB6_271 Depth=2
                                        ;       Parent Loop BB6_274 Depth=3
                                        ; =>      This Inner Loop Header: Depth=4
	s_add_i32 s9, s9, 1
	s_cmpk_lg_i32 s9, 0x2710
	s_cselect_b64 s[50:51], -1, 0
	s_and_b64 vcc, exec, s[50:51]
	s_cbranch_vccz .LBB6_3680
; %bb.3679:                             ;   in Loop: Header=BB6_3678 Depth=4
	s_mov_b64 vcc, -1
	s_or_b64 s[48:49], s[48:49], exec
	s_and_saveexec_b64 s[52:53], s[50:51]
	s_cbranch_execz .LBB6_3677
	s_branch .LBB6_3681
.LBB6_3680:                             ;   in Loop: Header=BB6_3678 Depth=4
	s_trap 2
	ds_read_b64 v[0:1], v0
	s_andn2_b64 s[50:51], s[50:51], exec
	s_mov_b32 s9, 0
	s_waitcnt vmcnt(0) lgkmcnt(0)
	flat_load_dword v0, v[0:1] glc
	s_waitcnt vmcnt(0) lgkmcnt(0)
	buffer_wbinvl1_vol
	v_cmp_eq_u32_e32 vcc, 0, v0
	s_and_b64 vcc, vcc, exec
	s_or_b64 s[50:51], s[50:51], vcc
	s_mov_b64 vcc, -1
	s_or_b64 s[48:49], s[48:49], exec
	s_and_saveexec_b64 s[52:53], s[50:51]
	s_cbranch_execz .LBB6_3677
.LBB6_3681:                             ;   in Loop: Header=BB6_3678 Depth=4
	s_sleep 1
	s_trap 2
	ds_read_b64 v[0:1], v0
	s_waitcnt lgkmcnt(0)
	buffer_load_dword v2, off, s[0:3], s33 offset:76 ; 4-byte Folded Reload
	buffer_load_dword v3, off, s[0:3], s33 offset:80 ; 4-byte Folded Reload
	s_andn2_b64 s[48:49], s[48:49], exec
	s_waitcnt vmcnt(0)
	v_cmp_ge_u64_e32 vcc, v[0:1], v[2:3]
	s_orn2_b64 vcc, vcc, exec
	s_branch .LBB6_3677
.LBB6_3682:                             ;   in Loop: Header=BB6_274 Depth=3
	s_or_b64 exec, exec, s[36:37]
	s_and_saveexec_b64 vcc, s[38:39]
	s_xor_b64 vcc, exec, vcc
	s_cbranch_execz .LBB6_3684
; %bb.3683:                             ;   in Loop: Header=BB6_274 Depth=3
	v_mov_b32_e32 v0, 1
	ds_write_b32 v0, v0
	s_trap 2
.LBB6_3684:                             ;   in Loop: Header=BB6_274 Depth=3
	s_or_b64 exec, exec, s[34:35]
	;;#ASMSTART
	s_wakeup
	;;#ASMEND
.LBB6_3685:                             ;   in Loop: Header=BB6_274 Depth=3
	s_or_b64 exec, exec, s[30:31]
.LBB6_3686:                             ;   in Loop: Header=BB6_274 Depth=3
	s_andn2_saveexec_b64 s[94:95], s[94:95]
	s_cbranch_execz .LBB6_3688
; %bb.3687:                             ;   in Loop: Header=BB6_274 Depth=3
	s_waitcnt vmcnt(0) lgkmcnt(0)
	buffer_wbinvl1_vol
	s_barrier
.LBB6_3688:                             ;   in Loop: Header=BB6_274 Depth=3
	s_or_b64 exec, exec, s[94:95]
	s_or_b64 exec, exec, s[40:41]
                                        ; implicit-def: $vgpr0
	s_and_saveexec_b64 s[40:41], s[24:25]
	s_xor_b64 s[40:41], exec, s[40:41]
	s_cbranch_execnz .LBB6_350
.LBB6_3689:                             ;   in Loop: Header=BB6_274 Depth=3
	s_andn2_saveexec_b64 s[28:29], s[40:41]
	s_cbranch_execz .LBB6_3708
.LBB6_3690:                             ;   in Loop: Header=BB6_274 Depth=3
	s_and_saveexec_b64 s[40:41], s[58:59]
	s_xor_b64 s[40:41], exec, s[40:41]
	s_cbranch_execz .LBB6_3705
; %bb.3691:                             ;   in Loop: Header=BB6_274 Depth=3
	s_and_saveexec_b64 s[94:95], s[16:17]
	s_cbranch_execz .LBB6_3704
; %bb.3692:                             ;   in Loop: Header=BB6_274 Depth=3
	s_mov_b64 s[34:35], exec
	v_mbcnt_lo_u32_b32 v0, s34, 0
	v_mbcnt_hi_u32_b32 v0, s35, v0
	v_cmp_eq_u32_e32 vcc, 0, v0
	;;#ASMSTART
	s_waitcnt lgkmcnt(0) vmcnt(0)
	;;#ASMEND
	s_and_saveexec_b64 s[30:31], vcc
	s_cbranch_execz .LBB6_3694
; %bb.3693:                             ;   in Loop: Header=BB6_274 Depth=3
	s_bcnt1_i32_b64 s9, s[34:35]
	v_mov_b32_e32 v20, s9
	s_waitcnt lgkmcnt(0)
	ds_add_u64 v0, v[20:21]
	s_trap 2
.LBB6_3694:                             ;   in Loop: Header=BB6_274 Depth=3
	s_or_b64 exec, exec, s[30:31]
	s_trap 2
	ds_read_b64 v[0:1], v0
	s_waitcnt lgkmcnt(0)
	buffer_load_dword v2, off, s[0:3], s33 offset:76 ; 4-byte Folded Reload
	buffer_load_dword v3, off, s[0:3], s33 offset:80 ; 4-byte Folded Reload
	s_waitcnt vmcnt(0)
	v_add_co_u32_e32 v2, vcc, v2, v49
	v_addc_co_u32_e32 v3, vcc, 0, v3, vcc
	buffer_store_dword v2, off, s[0:3], s33 offset:76 ; 4-byte Folded Spill
	s_nop 0
	buffer_store_dword v3, off, s[0:3], s33 offset:80 ; 4-byte Folded Spill
	v_cmp_lt_u64_e32 vcc, v[0:1], v[2:3]
	s_and_saveexec_b64 s[30:31], vcc
	s_cbranch_execz .LBB6_3703
; %bb.3695:                             ;   in Loop: Header=BB6_274 Depth=3
	s_mov_b32 s9, 0
	s_mov_b64 s[34:35], 0
                                        ; implicit-def: $sgpr36_sgpr37
                                        ; implicit-def: $sgpr38_sgpr39
	s_branch .LBB6_3697
.LBB6_3696:                             ;   in Loop: Header=BB6_3697 Depth=4
	s_or_b64 exec, exec, s[50:51]
	s_and_b64 vcc, exec, vcc
	s_or_b64 s[34:35], vcc, s[34:35]
	s_andn2_b64 vcc, s[36:37], exec
	s_and_b64 s[36:37], s[38:39], exec
	s_or_b64 s[36:37], vcc, s[36:37]
	s_andn2_b64 exec, exec, s[34:35]
	s_cbranch_execz .LBB6_3701
.LBB6_3697:                             ;   Parent Loop BB6_47 Depth=1
                                        ;     Parent Loop BB6_271 Depth=2
                                        ;       Parent Loop BB6_274 Depth=3
                                        ; =>      This Inner Loop Header: Depth=4
	s_add_i32 s9, s9, 1
	s_cmpk_lg_i32 s9, 0x2710
	s_cselect_b64 s[48:49], -1, 0
	s_and_b64 vcc, exec, s[48:49]
	s_cbranch_vccz .LBB6_3699
; %bb.3698:                             ;   in Loop: Header=BB6_3697 Depth=4
	s_mov_b64 vcc, -1
	s_or_b64 s[38:39], s[38:39], exec
	s_and_saveexec_b64 s[50:51], s[48:49]
	s_cbranch_execz .LBB6_3696
	s_branch .LBB6_3700
.LBB6_3699:                             ;   in Loop: Header=BB6_3697 Depth=4
	s_trap 2
	ds_read_b64 v[0:1], v0
	s_andn2_b64 s[48:49], s[48:49], exec
	s_mov_b32 s9, 0
	s_waitcnt vmcnt(0) lgkmcnt(0)
	flat_load_dword v0, v[0:1] glc
	s_waitcnt vmcnt(0) lgkmcnt(0)
	buffer_wbinvl1_vol
	v_cmp_eq_u32_e32 vcc, 0, v0
	s_and_b64 vcc, vcc, exec
	s_or_b64 s[48:49], s[48:49], vcc
	s_mov_b64 vcc, -1
	s_or_b64 s[38:39], s[38:39], exec
	s_and_saveexec_b64 s[50:51], s[48:49]
	s_cbranch_execz .LBB6_3696
.LBB6_3700:                             ;   in Loop: Header=BB6_3697 Depth=4
	s_sleep 1
	s_trap 2
	ds_read_b64 v[0:1], v0
	s_waitcnt lgkmcnt(0)
	buffer_load_dword v2, off, s[0:3], s33 offset:76 ; 4-byte Folded Reload
	buffer_load_dword v3, off, s[0:3], s33 offset:80 ; 4-byte Folded Reload
	s_andn2_b64 s[38:39], s[38:39], exec
	s_waitcnt vmcnt(0)
	v_cmp_ge_u64_e32 vcc, v[0:1], v[2:3]
	s_orn2_b64 vcc, vcc, exec
	s_branch .LBB6_3696
.LBB6_3701:                             ;   in Loop: Header=BB6_274 Depth=3
	s_or_b64 exec, exec, s[34:35]
	s_and_saveexec_b64 vcc, s[36:37]
	s_xor_b64 vcc, exec, vcc
	s_cbranch_execz .LBB6_3703
; %bb.3702:                             ;   in Loop: Header=BB6_274 Depth=3
	v_mov_b32_e32 v0, 1
	ds_write_b32 v0, v0
	s_trap 2
.LBB6_3703:                             ;   in Loop: Header=BB6_274 Depth=3
	s_or_b64 exec, exec, s[30:31]
	;;#ASMSTART
	s_wakeup
	;;#ASMEND
.LBB6_3704:                             ;   in Loop: Header=BB6_274 Depth=3
	s_or_b64 exec, exec, s[94:95]
.LBB6_3705:                             ;   in Loop: Header=BB6_274 Depth=3
	s_andn2_saveexec_b64 s[40:41], s[40:41]
	s_cbranch_execz .LBB6_3707
; %bb.3706:                             ;   in Loop: Header=BB6_274 Depth=3
	;;#ASMSTART
	s_waitcnt lgkmcnt(0) vmcnt(0)
	;;#ASMEND
	s_waitcnt vmcnt(0) lgkmcnt(0)
	s_barrier
.LBB6_3707:                             ;   in Loop: Header=BB6_274 Depth=3
	s_or_b64 exec, exec, s[40:41]
	buffer_load_dword v0, off, s[0:3], s33 offset:72 ; 4-byte Folded Reload
	s_waitcnt vmcnt(0)
	v_and_b32_e32 v0, 16, v0
.LBB6_3708:                             ;   in Loop: Header=BB6_274 Depth=3
	s_or_b64 exec, exec, s[28:29]
	v_cmp_ne_u32_e32 vcc, 0, v0
	s_xor_b64 s[28:29], s[12:13], -1
	s_and_b64 s[40:41], vcc, s[28:29]
	s_and_saveexec_b64 s[28:29], s[40:41]
	s_cbranch_execz .LBB6_3710
; %bb.3709:                             ;   in Loop: Header=BB6_274 Depth=3
	buffer_load_dword v0, off, s[0:3], s33 offset:228 ; 4-byte Folded Reload
	buffer_load_dword v1, off, s[0:3], s33 offset:232 ; 4-byte Folded Reload
	s_waitcnt vmcnt(0)
	v_mov_b32_e32 v2, 1
	flat_store_dword v[0:1], v2
.LBB6_3710:                             ;   in Loop: Header=BB6_274 Depth=3
	s_or_b64 exec, exec, s[28:29]
	buffer_load_dword v0, off, s[0:3], s33 offset:72 ; 4-byte Folded Reload
	s_waitcnt vmcnt(0)
	v_and_b32_e32 v0, 48, v0
	v_cmp_ne_u32_e32 vcc, 0, v0
	s_and_saveexec_b64 s[28:29], vcc
	s_cbranch_execz .LBB6_273
; %bb.3711:                             ;   in Loop: Header=BB6_274 Depth=3
	buffer_load_dword v2, off, s[0:3], s33 offset:84 ; 4-byte Folded Reload
	buffer_load_dword v3, off, s[0:3], s33 offset:88 ; 4-byte Folded Reload
	;; [unrolled: 1-line block ×4, first 2 shown]
	s_waitcnt vmcnt(0)
	v_add_co_u32_e32 v2, vcc, 2, v2
	v_addc_co_u32_e32 v3, vcc, 0, v3, vcc
	buffer_store_dword v2, off, s[0:3], s33 offset:84 ; 4-byte Folded Spill
	s_nop 0
	buffer_store_dword v3, off, s[0:3], s33 offset:88 ; 4-byte Folded Spill
	flat_store_dwordx2 v[0:1], v[2:3]
	s_branch .LBB6_273
.LBB6_3712:                             ;   in Loop: Header=BB6_271 Depth=2
	s_or_b64 exec, exec, s[90:91]
.LBB6_3713:                             ;   in Loop: Header=BB6_271 Depth=2
	s_or_b64 exec, exec, s[42:43]
	v_cmp_gt_i32_e32 vcc, 2, v0
	s_and_saveexec_b64 s[40:41], vcc
	s_cbranch_execz .LBB6_270
; %bb.3714:                             ;   in Loop: Header=BB6_271 Depth=2
	v_cmp_eq_u32_e64 s[90:91], 0, v0
	s_mov_b64 s[42:43], 0
	s_branch .LBB6_3716
.LBB6_3715:                             ;   in Loop: Header=BB6_3716 Depth=3
	s_or_b64 exec, exec, s[28:29]
	v_add_u32_e32 v55, v53, v55
	s_mov_b64 s[90:91], 0
	s_andn2_b64 exec, exec, s[42:43]
	s_cbranch_execz .LBB6_269
.LBB6_3716:                             ;   Parent Loop BB6_47 Depth=1
                                        ;     Parent Loop BB6_271 Depth=2
                                        ; =>    This Loop Header: Depth=3
                                        ;         Child Loop BB6_3722 Depth 4
                                        ;         Child Loop BB6_3750 Depth 4
	;; [unrolled: 1-line block ×3, first 2 shown]
	v_sub_u32_e32 v0, v52, v55
	v_min_i32_e32 v53, v53, v0
	buffer_load_dword v0, off, s[0:3], s33 offset:72 ; 4-byte Folded Reload
	s_waitcnt vmcnt(0)
	v_and_b32_e32 v0, 12, v0
	v_cmp_ne_u32_e32 vcc, 0, v0
	s_and_saveexec_b64 s[92:93], vcc
	s_cbranch_execz .LBB6_3742
; %bb.3717:                             ;   in Loop: Header=BB6_3716 Depth=3
	buffer_load_dword v0, off, s[0:3], s33 offset:72 ; 4-byte Folded Reload
	s_waitcnt vmcnt(0)
	v_and_b32_e32 v4, 8, v0
	buffer_load_dword v0, off, s[0:3], s33 offset:56 ; 4-byte Folded Reload
	buffer_load_dword v1, off, s[0:3], s33 offset:60 ; 4-byte Folded Reload
	;; [unrolled: 1-line block ×4, first 2 shown]
	s_waitcnt vmcnt(0)
	v_add_co_u32_e32 v0, vcc, v0, v4
	v_addc_co_u32_e32 v1, vcc, 0, v1, vcc
	v_add_co_u32_e32 v8, vcc, 2, v2
	v_addc_co_u32_e32 v9, vcc, 0, v3, vcc
	v_cmp_lt_u64_e32 vcc, v[0:1], v[8:9]
	s_and_saveexec_b64 s[94:95], vcc
	s_cbranch_execz .LBB6_3729
; %bb.3718:                             ;   in Loop: Header=BB6_3716 Depth=3
	buffer_load_dword v0, off, s[0:3], s33 offset:72 ; 4-byte Folded Reload
	s_mov_b32 s9, 0
	s_mov_b64 s[30:31], 0
                                        ; implicit-def: $sgpr34_sgpr35
                                        ; implicit-def: $sgpr36_sgpr37
                                        ; implicit-def: $sgpr38_sgpr39
	s_waitcnt vmcnt(0)
	v_and_b32_e32 v0, 64, v0
	v_cmp_eq_u32_e32 vcc, 0, v0
	s_branch .LBB6_3722
.LBB6_3719:                             ;   in Loop: Header=BB6_3722 Depth=4
	buffer_load_dword v1, off, s[0:3], s33 offset:56 ; 4-byte Folded Reload
	buffer_load_dword v2, off, s[0:3], s33 offset:60 ; 4-byte Folded Reload
	s_or_b64 s[52:53], s[52:53], exec
	s_waitcnt vmcnt(1)
	v_add_co_u32_e64 v1, s[28:29], v1, v4
	s_waitcnt vmcnt(0)
	v_addc_co_u32_e64 v2, s[28:29], 0, v2, s[28:29]
	v_cmp_ge_u64_e64 s[28:29], v[1:2], v[8:9]
	s_orn2_b64 s[50:51], s[28:29], exec
.LBB6_3720:                             ;   in Loop: Header=BB6_3722 Depth=4
	s_or_b64 exec, exec, s[64:65]
	s_andn2_b64 s[28:29], s[38:39], exec
	s_and_b64 s[38:39], s[52:53], exec
	s_or_b64 s[38:39], s[28:29], s[38:39]
	s_andn2_b64 s[28:29], s[36:37], exec
	s_and_b64 s[36:37], s[50:51], exec
	s_or_b64 s[36:37], s[28:29], s[36:37]
.LBB6_3721:                             ;   in Loop: Header=BB6_3722 Depth=4
	s_or_b64 exec, exec, s[48:49]
	s_and_b64 s[28:29], exec, s[36:37]
	s_or_b64 s[30:31], s[28:29], s[30:31]
	s_andn2_b64 s[28:29], s[34:35], exec
	s_and_b64 s[34:35], s[38:39], exec
	s_or_b64 s[34:35], s[28:29], s[34:35]
	s_andn2_b64 exec, exec, s[30:31]
	s_cbranch_execz .LBB6_3726
.LBB6_3722:                             ;   Parent Loop BB6_47 Depth=1
                                        ;     Parent Loop BB6_271 Depth=2
                                        ;       Parent Loop BB6_3716 Depth=3
                                        ; =>      This Inner Loop Header: Depth=4
	s_sleep 1
	buffer_load_dword v0, off, s[0:3], s33 offset:64 ; 4-byte Folded Reload
	buffer_load_dword v1, off, s[0:3], s33 offset:68 ; 4-byte Folded Reload
	s_or_b64 s[38:39], s[38:39], exec
	s_or_b64 s[36:37], s[36:37], exec
	s_waitcnt vmcnt(0)
	flat_load_dwordx2 v[0:1], v[0:1] glc
	s_waitcnt vmcnt(0) lgkmcnt(0)
	buffer_store_dword v0, off, s[0:3], s33 offset:56 ; 4-byte Folded Spill
	s_nop 0
	buffer_store_dword v1, off, s[0:3], s33 offset:60 ; 4-byte Folded Spill
                                        ; implicit-def: $vgpr0
	s_and_saveexec_b64 s[48:49], vcc
	s_cbranch_execz .LBB6_3721
; %bb.3723:                             ;   in Loop: Header=BB6_3722 Depth=4
	s_cmpk_lt_i32 s9, 0x270f
	s_cselect_b64 s[54:55], -1, 0
	s_cmpk_gt_i32 s9, 0x270e
	s_mov_b64 s[50:51], -1
	s_cbranch_scc0 .LBB6_3725
; %bb.3724:                             ;   in Loop: Header=BB6_3722 Depth=4
	s_trap 2
	ds_read_b64 v[0:1], v0
	s_andn2_b64 s[54:55], s[54:55], exec
	s_mov_b32 s9, 0
	s_mov_b64 s[52:53], 0
	s_waitcnt vmcnt(0) lgkmcnt(0)
	flat_load_dword v0, v[0:1] glc
	s_waitcnt vmcnt(0) lgkmcnt(0)
	buffer_wbinvl1_vol
	v_cmp_eq_u32_e64 s[28:29], 0, v0
	s_and_b64 s[28:29], s[28:29], exec
	s_or_b64 s[54:55], s[54:55], s[28:29]
	s_and_saveexec_b64 s[64:65], s[54:55]
	s_cbranch_execz .LBB6_3720
	s_branch .LBB6_3719
.LBB6_3725:                             ;   in Loop: Header=BB6_3722 Depth=4
	s_add_i32 s9, s9, 1
	s_mov_b64 s[52:53], -1
                                        ; implicit-def: $vgpr0
	s_and_saveexec_b64 s[64:65], s[54:55]
	s_cbranch_execz .LBB6_3720
	s_branch .LBB6_3719
.LBB6_3726:                             ;   in Loop: Header=BB6_3716 Depth=3
	s_or_b64 exec, exec, s[30:31]
	s_xor_b64 s[28:29], s[34:35], -1
	s_and_saveexec_b64 vcc, s[28:29]
	s_xor_b64 s[28:29], exec, vcc
	s_cbranch_execz .LBB6_3728
; %bb.3727:                             ;   in Loop: Header=BB6_3716 Depth=3
	ds_write_b32 v0, v0
	s_trap 2
	buffer_load_dword v0, off, s[0:3], s33 offset:72 ; 4-byte Folded Reload
	s_waitcnt vmcnt(0)
	v_or_b32_e32 v0, 64, v0
	buffer_store_dword v0, off, s[0:3], s33 offset:72 ; 4-byte Folded Spill
.LBB6_3728:                             ;   in Loop: Header=BB6_3716 Depth=3
	s_or_b64 exec, exec, s[28:29]
.LBB6_3729:                             ;   in Loop: Header=BB6_3716 Depth=3
	s_or_b64 exec, exec, s[94:95]
	;;#ASMSTART
	s_wakeup
	;;#ASMEND
	buffer_load_dword v0, off, s[0:3], s33 offset:72 ; 4-byte Folded Reload
	s_waitcnt vmcnt(0)
	v_and_b32_e32 v0, 0x108, v0
	v_cmp_ne_u32_e32 vcc, s71, v0
	s_and_saveexec_b64 s[28:29], vcc
	s_xor_b64 s[28:29], exec, s[28:29]
                                        ; implicit-def: $vgpr5
	s_cbranch_execz .LBB6_3731
; %bb.3730:                             ;   in Loop: Header=BB6_3716 Depth=3
	buffer_load_dword v0, off, s[0:3], s33 offset:84 ; 4-byte Folded Reload
	buffer_load_dword v1, off, s[0:3], s33 offset:88 ; 4-byte Folded Reload
	s_waitcnt vmcnt(0)
	v_and_b32_e32 v5, 7, v0
                                        ; implicit-def: $vgpr0_vgpr1
                                        ; kill: killed $vgpr0_vgpr1
.LBB6_3731:                             ;   in Loop: Header=BB6_3716 Depth=3
	s_andn2_saveexec_b64 s[28:29], s[28:29]
	s_cbranch_execz .LBB6_3733
; %bb.3732:                             ;   in Loop: Header=BB6_3716 Depth=3
	buffer_load_dword v0, off, s[0:3], s33 offset:84 ; 4-byte Folded Reload
	buffer_load_dword v1, off, s[0:3], s33 offset:88 ; 4-byte Folded Reload
	v_ashrrev_i32_e32 v54, 31, v53
	s_waitcnt vmcnt(0)
	v_and_b32_e32 v5, 7, v0
	buffer_load_dword v0, off, s[0:3], s33 offset:212 ; 4-byte Folded Reload
	buffer_load_dword v1, off, s[0:3], s33 offset:216 ; 4-byte Folded Reload
	;; [unrolled: 1-line block ×4, first 2 shown]
	s_waitcnt vmcnt(0)
	v_mad_u64_u32 v[0:1], s[94:95], v5, 24, v[0:1]
	flat_store_dwordx2 v[0:1], v[53:54] offset:8
.LBB6_3733:                             ;   in Loop: Header=BB6_3716 Depth=3
	s_or_b64 exec, exec, s[28:29]
	buffer_load_dword v0, off, s[0:3], s33 offset:72 ; 4-byte Folded Reload
	s_mov_b64 s[28:29], -1
	s_waitcnt vmcnt(0)
	v_and_b32_e32 v0, 0x100, v0
	v_cmp_ne_u32_e32 vcc, 0, v0
                                        ; implicit-def: $vgpr0_vgpr1
	s_and_saveexec_b64 s[94:95], vcc
	s_cbranch_execz .LBB6_3737
; %bb.3734:                             ;   in Loop: Header=BB6_3716 Depth=3
	buffer_load_dword v0, off, s[0:3], s33 offset:212 ; 4-byte Folded Reload
	buffer_load_dword v1, off, s[0:3], s33 offset:216 ; 4-byte Folded Reload
	;; [unrolled: 1-line block ×4, first 2 shown]
	s_waitcnt vmcnt(0)
	v_mad_u64_u32 v[2:3], s[28:29], v5, 24, v[0:1]
	v_mov_b32_e32 v0, v3
	v_mad_u64_u32 v[0:1], s[28:29], v21, 24, v[0:1]
	v_mov_b32_e32 v3, v0
	flat_load_dword v0, v[2:3]
	s_waitcnt vmcnt(0) lgkmcnt(0)
	v_cmp_ne_u32_e32 vcc, 1, v0
	v_cmp_eq_u32_e64 s[28:29], 1, v0
                                        ; implicit-def: $vgpr0_vgpr1
	s_and_saveexec_b64 s[30:31], s[28:29]
	s_cbranch_execz .LBB6_3736
; %bb.3735:                             ;   in Loop: Header=BB6_3716 Depth=3
	flat_load_dword v0, v[2:3] offset:4 glc
	s_waitcnt vmcnt(0) lgkmcnt(0)
	v_ashrrev_i32_e32 v1, 31, v0
.LBB6_3736:                             ;   in Loop: Header=BB6_3716 Depth=3
	s_or_b64 exec, exec, s[30:31]
	s_orn2_b64 s[28:29], vcc, exec
.LBB6_3737:                             ;   in Loop: Header=BB6_3716 Depth=3
	s_or_b64 exec, exec, s[94:95]
	s_and_saveexec_b64 s[94:95], s[28:29]
	s_cbranch_execz .LBB6_3739
; %bb.3738:                             ;   in Loop: Header=BB6_3716 Depth=3
	buffer_load_dword v0, off, s[0:3], s33 offset:244 ; 4-byte Folded Reload
	buffer_load_dword v1, off, s[0:3], s33 offset:264 ; 4-byte Folded Reload
	s_waitcnt vmcnt(0)
	v_mul_lo_u32 v2, v21, v0
	v_mul_lo_u32 v3, v5, v1
	v_mad_u64_u32 v[0:1], s[28:29], v5, v0, 0
	v_add3_u32 v1, v1, v3, v2
.LBB6_3739:                             ;   in Loop: Header=BB6_3716 Depth=3
	s_or_b64 exec, exec, s[94:95]
	v_cmp_eq_u32_e32 vcc, 0, v4
	v_mov_b32_e32 v2, 0xc8
	v_mov_b32_e32 v3, 0x90
	v_cndmask_b32_e32 v2, v2, v3, vcc
	buffer_load_dword v3, off, s[0:3], s33 offset:204 ; 4-byte Folded Reload
	buffer_load_dword v4, off, s[0:3], s33 offset:208 ; 4-byte Folded Reload
	s_waitcnt vmcnt(0)
	v_add_co_u32_e32 v0, vcc, v3, v0
	v_addc_co_u32_e32 v1, vcc, v4, v1, vcc
	v_add_u32_e32 v2, v0, v2
	ds_write_b64 v2, v[0:1] offset:584
	buffer_load_dword v0, off, s[0:3], s33 offset:72 ; 4-byte Folded Reload
	s_waitcnt vmcnt(0)
	v_and_b32_e32 v0, 0x2000, v0
	v_cmp_ne_u32_e32 vcc, 0, v0
	s_and_saveexec_b64 s[28:29], vcc
	s_cbranch_execz .LBB6_3741
; %bb.3740:                             ;   in Loop: Header=BB6_3716 Depth=3
	ds_read_b64 v[0:1], v0 offset:872
	s_waitcnt lgkmcnt(0)
	v_add_co_u32_e32 v0, vcc, 1, v0
	v_addc_co_u32_e32 v1, vcc, 0, v1, vcc
	ds_write_b64 v0, v[0:1] offset:872
.LBB6_3741:                             ;   in Loop: Header=BB6_3716 Depth=3
	s_or_b64 exec, exec, s[28:29]
	buffer_store_dword v8, off, s[0:3], s33 offset:84 ; 4-byte Folded Spill
	s_nop 0
	buffer_store_dword v9, off, s[0:3], s33 offset:88 ; 4-byte Folded Spill
.LBB6_3742:                             ;   in Loop: Header=BB6_3716 Depth=3
	s_or_b64 exec, exec, s[92:93]
	s_xor_b64 s[28:29], s[90:91], -1
	s_and_b64 s[28:29], exec, s[28:29]
	s_or_b64 s[42:43], s[28:29], s[42:43]
	s_and_saveexec_b64 s[28:29], s[10:11]
	s_cbranch_execz .LBB6_3761
; %bb.3743:                             ;   in Loop: Header=BB6_3716 Depth=3
	s_and_saveexec_b64 s[90:91], s[58:59]
	s_xor_b64 s[90:91], exec, s[90:91]
	s_cbranch_execz .LBB6_3758
; %bb.3744:                             ;   in Loop: Header=BB6_3716 Depth=3
	s_and_saveexec_b64 s[92:93], s[16:17]
	s_cbranch_execz .LBB6_3757
; %bb.3745:                             ;   in Loop: Header=BB6_3716 Depth=3
	s_mov_b64 s[30:31], exec
	v_mbcnt_lo_u32_b32 v0, s30, 0
	v_mbcnt_hi_u32_b32 v0, s31, v0
	v_cmp_eq_u32_e32 vcc, 0, v0
	s_waitcnt vmcnt(0) lgkmcnt(0)
	buffer_wbinvl1_vol
	s_and_saveexec_b64 s[94:95], vcc
	s_cbranch_execz .LBB6_3747
; %bb.3746:                             ;   in Loop: Header=BB6_3716 Depth=3
	s_bcnt1_i32_b64 s9, s[30:31]
	v_mov_b32_e32 v20, s9
	ds_add_u64 v0, v[20:21]
	s_trap 2
.LBB6_3747:                             ;   in Loop: Header=BB6_3716 Depth=3
	s_or_b64 exec, exec, s[94:95]
	s_trap 2
	ds_read_b64 v[0:1], v0
	s_waitcnt lgkmcnt(0)
	buffer_load_dword v2, off, s[0:3], s33 offset:76 ; 4-byte Folded Reload
	buffer_load_dword v3, off, s[0:3], s33 offset:80 ; 4-byte Folded Reload
	s_waitcnt vmcnt(1)
	v_add_co_u32_e32 v2, vcc, v2, v49
	s_waitcnt vmcnt(0)
	v_addc_co_u32_e32 v3, vcc, 0, v3, vcc
	buffer_store_dword v2, off, s[0:3], s33 offset:76 ; 4-byte Folded Spill
	s_nop 0
	buffer_store_dword v3, off, s[0:3], s33 offset:80 ; 4-byte Folded Spill
	v_cmp_lt_u64_e32 vcc, v[0:1], v[2:3]
	s_and_saveexec_b64 s[94:95], vcc
	s_cbranch_execz .LBB6_3756
; %bb.3748:                             ;   in Loop: Header=BB6_3716 Depth=3
	s_mov_b32 s9, 0
	s_mov_b64 s[30:31], 0
                                        ; implicit-def: $sgpr34_sgpr35
                                        ; implicit-def: $sgpr36_sgpr37
	s_branch .LBB6_3750
.LBB6_3749:                             ;   in Loop: Header=BB6_3750 Depth=4
	s_or_b64 exec, exec, s[48:49]
	s_and_b64 vcc, exec, vcc
	s_or_b64 s[30:31], vcc, s[30:31]
	s_andn2_b64 vcc, s[34:35], exec
	s_and_b64 s[34:35], s[36:37], exec
	s_or_b64 s[34:35], vcc, s[34:35]
	s_andn2_b64 exec, exec, s[30:31]
	s_cbranch_execz .LBB6_3754
.LBB6_3750:                             ;   Parent Loop BB6_47 Depth=1
                                        ;     Parent Loop BB6_271 Depth=2
                                        ;       Parent Loop BB6_3716 Depth=3
                                        ; =>      This Inner Loop Header: Depth=4
	s_add_i32 s9, s9, 1
	s_cmpk_lg_i32 s9, 0x2710
	s_cselect_b64 s[38:39], -1, 0
	s_and_b64 vcc, exec, s[38:39]
	s_cbranch_vccz .LBB6_3752
; %bb.3751:                             ;   in Loop: Header=BB6_3750 Depth=4
	s_mov_b64 vcc, -1
	s_or_b64 s[36:37], s[36:37], exec
	s_and_saveexec_b64 s[48:49], s[38:39]
	s_cbranch_execz .LBB6_3749
	s_branch .LBB6_3753
.LBB6_3752:                             ;   in Loop: Header=BB6_3750 Depth=4
	s_trap 2
	ds_read_b64 v[0:1], v0
	s_andn2_b64 s[38:39], s[38:39], exec
	s_mov_b32 s9, 0
	s_waitcnt vmcnt(0) lgkmcnt(0)
	flat_load_dword v0, v[0:1] glc
	s_waitcnt vmcnt(0) lgkmcnt(0)
	buffer_wbinvl1_vol
	v_cmp_eq_u32_e32 vcc, 0, v0
	s_and_b64 vcc, vcc, exec
	s_or_b64 s[38:39], s[38:39], vcc
	s_mov_b64 vcc, -1
	s_or_b64 s[36:37], s[36:37], exec
	s_and_saveexec_b64 s[48:49], s[38:39]
	s_cbranch_execz .LBB6_3749
.LBB6_3753:                             ;   in Loop: Header=BB6_3750 Depth=4
	s_sleep 1
	s_trap 2
	ds_read_b64 v[0:1], v0
	s_waitcnt lgkmcnt(0)
	buffer_load_dword v2, off, s[0:3], s33 offset:76 ; 4-byte Folded Reload
	buffer_load_dword v3, off, s[0:3], s33 offset:80 ; 4-byte Folded Reload
	s_andn2_b64 s[36:37], s[36:37], exec
	s_waitcnt vmcnt(0)
	v_cmp_ge_u64_e32 vcc, v[0:1], v[2:3]
	s_orn2_b64 vcc, vcc, exec
	s_branch .LBB6_3749
.LBB6_3754:                             ;   in Loop: Header=BB6_3716 Depth=3
	s_or_b64 exec, exec, s[30:31]
	s_and_saveexec_b64 vcc, s[34:35]
	s_xor_b64 vcc, exec, vcc
	s_cbranch_execz .LBB6_3756
; %bb.3755:                             ;   in Loop: Header=BB6_3716 Depth=3
	v_mov_b32_e32 v0, 1
	ds_write_b32 v0, v0
	s_trap 2
.LBB6_3756:                             ;   in Loop: Header=BB6_3716 Depth=3
	s_or_b64 exec, exec, s[94:95]
	;;#ASMSTART
	s_wakeup
	;;#ASMEND
.LBB6_3757:                             ;   in Loop: Header=BB6_3716 Depth=3
	s_or_b64 exec, exec, s[92:93]
.LBB6_3758:                             ;   in Loop: Header=BB6_3716 Depth=3
	s_andn2_saveexec_b64 s[90:91], s[90:91]
	s_cbranch_execz .LBB6_3760
; %bb.3759:                             ;   in Loop: Header=BB6_3716 Depth=3
	s_waitcnt vmcnt(0) lgkmcnt(0)
	buffer_wbinvl1_vol
	s_barrier
.LBB6_3760:                             ;   in Loop: Header=BB6_3716 Depth=3
	s_or_b64 exec, exec, s[90:91]
.LBB6_3761:                             ;   in Loop: Header=BB6_3716 Depth=3
	s_or_b64 exec, exec, s[28:29]
                                        ; implicit-def: $vgpr0
	s_and_saveexec_b64 s[28:29], s[74:75]
	s_xor_b64 s[28:29], exec, s[28:29]
	s_cbranch_execz .LBB6_3773
; %bb.3762:                             ;   in Loop: Header=BB6_3716 Depth=3
	s_and_saveexec_b64 s[90:91], s[58:59]
	s_xor_b64 s[90:91], exec, s[90:91]
	s_cbranch_execz .LBB6_3778
; %bb.3763:                             ;   in Loop: Header=BB6_3716 Depth=3
	s_and_saveexec_b64 s[92:93], s[16:17]
	s_cbranch_execz .LBB6_3777
; %bb.3764:                             ;   in Loop: Header=BB6_3716 Depth=3
	s_mov_b64 s[30:31], exec
	v_mbcnt_lo_u32_b32 v0, s30, 0
	v_mbcnt_hi_u32_b32 v0, s31, v0
	v_cmp_eq_u32_e32 vcc, 0, v0
	;;#ASMSTART
	s_waitcnt lgkmcnt(0) vmcnt(0)
	;;#ASMEND
	s_and_saveexec_b64 s[94:95], vcc
	s_cbranch_execz .LBB6_3766
; %bb.3765:                             ;   in Loop: Header=BB6_3716 Depth=3
	s_bcnt1_i32_b64 s9, s[30:31]
	v_mov_b32_e32 v20, s9
	s_waitcnt lgkmcnt(0)
	ds_add_u64 v0, v[20:21]
	s_trap 2
.LBB6_3766:                             ;   in Loop: Header=BB6_3716 Depth=3
	s_or_b64 exec, exec, s[94:95]
	s_trap 2
	ds_read_b64 v[0:1], v0
	s_waitcnt lgkmcnt(0)
	buffer_load_dword v2, off, s[0:3], s33 offset:76 ; 4-byte Folded Reload
	buffer_load_dword v3, off, s[0:3], s33 offset:80 ; 4-byte Folded Reload
	s_waitcnt vmcnt(1)
	v_add_co_u32_e32 v2, vcc, v2, v49
	s_waitcnt vmcnt(0)
	v_addc_co_u32_e32 v3, vcc, 0, v3, vcc
	buffer_store_dword v2, off, s[0:3], s33 offset:76 ; 4-byte Folded Spill
	s_nop 0
	buffer_store_dword v3, off, s[0:3], s33 offset:80 ; 4-byte Folded Spill
	v_cmp_lt_u64_e32 vcc, v[0:1], v[2:3]
	s_and_saveexec_b64 s[94:95], vcc
	s_cbranch_execz .LBB6_3776
; %bb.3767:                             ;   in Loop: Header=BB6_3716 Depth=3
	s_mov_b32 s9, 0
	s_mov_b64 s[30:31], 0
                                        ; implicit-def: $sgpr34_sgpr35
                                        ; implicit-def: $sgpr36_sgpr37
	s_branch .LBB6_3769
.LBB6_3768:                             ;   in Loop: Header=BB6_3769 Depth=4
	s_or_b64 exec, exec, s[48:49]
	s_and_b64 vcc, exec, vcc
	s_or_b64 s[30:31], vcc, s[30:31]
	s_andn2_b64 vcc, s[34:35], exec
	s_and_b64 s[34:35], s[36:37], exec
	s_or_b64 s[34:35], vcc, s[34:35]
	s_andn2_b64 exec, exec, s[30:31]
	s_cbranch_execz .LBB6_3774
.LBB6_3769:                             ;   Parent Loop BB6_47 Depth=1
                                        ;     Parent Loop BB6_271 Depth=2
                                        ;       Parent Loop BB6_3716 Depth=3
                                        ; =>      This Inner Loop Header: Depth=4
	s_add_i32 s9, s9, 1
	s_cmpk_lg_i32 s9, 0x2710
	s_cselect_b64 s[38:39], -1, 0
	s_and_b64 vcc, exec, s[38:39]
	s_cbranch_vccz .LBB6_3771
; %bb.3770:                             ;   in Loop: Header=BB6_3769 Depth=4
	s_mov_b64 vcc, -1
	s_or_b64 s[36:37], s[36:37], exec
	s_and_saveexec_b64 s[48:49], s[38:39]
	s_cbranch_execz .LBB6_3768
	s_branch .LBB6_3772
.LBB6_3771:                             ;   in Loop: Header=BB6_3769 Depth=4
	s_trap 2
	ds_read_b64 v[0:1], v0
	s_andn2_b64 s[38:39], s[38:39], exec
	s_mov_b32 s9, 0
	s_waitcnt vmcnt(0) lgkmcnt(0)
	flat_load_dword v0, v[0:1] glc
	s_waitcnt vmcnt(0) lgkmcnt(0)
	buffer_wbinvl1_vol
	v_cmp_eq_u32_e32 vcc, 0, v0
	s_and_b64 vcc, vcc, exec
	s_or_b64 s[38:39], s[38:39], vcc
	s_mov_b64 vcc, -1
	s_or_b64 s[36:37], s[36:37], exec
	s_and_saveexec_b64 s[48:49], s[38:39]
	s_cbranch_execz .LBB6_3768
.LBB6_3772:                             ;   in Loop: Header=BB6_3769 Depth=4
	s_sleep 1
	s_trap 2
	ds_read_b64 v[0:1], v0
	s_waitcnt lgkmcnt(0)
	buffer_load_dword v2, off, s[0:3], s33 offset:76 ; 4-byte Folded Reload
	buffer_load_dword v3, off, s[0:3], s33 offset:80 ; 4-byte Folded Reload
	s_andn2_b64 s[36:37], s[36:37], exec
	s_waitcnt vmcnt(0)
	v_cmp_ge_u64_e32 vcc, v[0:1], v[2:3]
	s_orn2_b64 vcc, vcc, exec
	s_branch .LBB6_3768
.LBB6_3773:                             ;   in Loop: Header=BB6_3716 Depth=3
	s_andn2_saveexec_b64 s[28:29], s[28:29]
	s_cbranch_execnz .LBB6_3781
	s_branch .LBB6_3784
.LBB6_3774:                             ;   in Loop: Header=BB6_3716 Depth=3
	s_or_b64 exec, exec, s[30:31]
	s_and_saveexec_b64 vcc, s[34:35]
	s_xor_b64 vcc, exec, vcc
	s_cbranch_execz .LBB6_3776
; %bb.3775:                             ;   in Loop: Header=BB6_3716 Depth=3
	v_mov_b32_e32 v0, 1
	ds_write_b32 v0, v0
	s_trap 2
.LBB6_3776:                             ;   in Loop: Header=BB6_3716 Depth=3
	s_or_b64 exec, exec, s[94:95]
	;;#ASMSTART
	s_wakeup
	;;#ASMEND
.LBB6_3777:                             ;   in Loop: Header=BB6_3716 Depth=3
	s_or_b64 exec, exec, s[92:93]
.LBB6_3778:                             ;   in Loop: Header=BB6_3716 Depth=3
	s_andn2_saveexec_b64 s[90:91], s[90:91]
	s_cbranch_execz .LBB6_3780
; %bb.3779:                             ;   in Loop: Header=BB6_3716 Depth=3
	;;#ASMSTART
	s_waitcnt lgkmcnt(0) vmcnt(0)
	;;#ASMEND
	s_waitcnt vmcnt(0) lgkmcnt(0)
	s_barrier
.LBB6_3780:                             ;   in Loop: Header=BB6_3716 Depth=3
	s_or_b64 exec, exec, s[90:91]
	buffer_load_dword v0, off, s[0:3], s33 offset:72 ; 4-byte Folded Reload
	s_waitcnt vmcnt(0)
	v_and_b32_e32 v0, 16, v0
	s_andn2_saveexec_b64 s[28:29], s[28:29]
	s_cbranch_execz .LBB6_3784
.LBB6_3781:                             ;   in Loop: Header=BB6_3716 Depth=3
	s_trap 2
	buffer_load_dword v1, off, s[0:3], s33 offset:72 ; 4-byte Folded Reload
	ds_read_b32 v0, v0
	v_cmp_lt_i32_e32 vcc, 0, v53
	s_waitcnt lgkmcnt(0)
	v_readfirstlane_b32 s9, v0
	s_cmp_eq_u32 s9, 0
	s_cselect_b64 s[90:91], -1, 0
	s_and_b64 s[90:91], vcc, s[90:91]
	s_waitcnt vmcnt(0)
	v_and_b32_e32 v0, 16, v1
	v_and_b32_e32 v1, 16, v1
	v_cmp_ne_u32_e32 vcc, 0, v1
	s_and_b64 s[92:93], vcc, s[90:91]
	s_and_saveexec_b64 s[90:91], s[92:93]
	s_cbranch_execz .LBB6_3783
; %bb.3782:                             ;   in Loop: Header=BB6_3716 Depth=3
	v_mov_b32_e32 v0, 1
	buffer_wbinvl1_vol
.LBB6_3783:                             ;   in Loop: Header=BB6_3716 Depth=3
	s_or_b64 exec, exec, s[90:91]
.LBB6_3784:                             ;   in Loop: Header=BB6_3716 Depth=3
	s_or_b64 exec, exec, s[28:29]
	v_cmp_ne_u32_e32 vcc, 0, v0
	s_xor_b64 s[28:29], s[12:13], -1
	s_and_b64 s[90:91], vcc, s[28:29]
	s_and_saveexec_b64 s[28:29], s[90:91]
	s_cbranch_execz .LBB6_3786
; %bb.3785:                             ;   in Loop: Header=BB6_3716 Depth=3
	buffer_load_dword v0, off, s[0:3], s33 offset:228 ; 4-byte Folded Reload
	buffer_load_dword v1, off, s[0:3], s33 offset:232 ; 4-byte Folded Reload
	v_mov_b32_e32 v2, 1
	s_waitcnt vmcnt(0)
	flat_store_dword v[0:1], v2
.LBB6_3786:                             ;   in Loop: Header=BB6_3716 Depth=3
	s_or_b64 exec, exec, s[28:29]
	buffer_load_dword v0, off, s[0:3], s33 offset:72 ; 4-byte Folded Reload
	s_waitcnt vmcnt(0)
	v_and_b32_e32 v0, 48, v0
	v_cmp_ne_u32_e32 vcc, 0, v0
	s_and_saveexec_b64 s[28:29], vcc
	s_cbranch_execz .LBB6_3715
; %bb.3787:                             ;   in Loop: Header=BB6_3716 Depth=3
	buffer_load_dword v2, off, s[0:3], s33 offset:84 ; 4-byte Folded Reload
	buffer_load_dword v3, off, s[0:3], s33 offset:88 ; 4-byte Folded Reload
	;; [unrolled: 1-line block ×4, first 2 shown]
	s_waitcnt vmcnt(0)
	v_add_co_u32_e32 v2, vcc, 2, v2
	v_addc_co_u32_e32 v3, vcc, 0, v3, vcc
	buffer_store_dword v2, off, s[0:3], s33 offset:84 ; 4-byte Folded Spill
	s_nop 0
	buffer_store_dword v3, off, s[0:3], s33 offset:88 ; 4-byte Folded Spill
	flat_store_dwordx2 v[0:1], v[2:3]
	s_branch .LBB6_3715
.LBB6_3788:                             ;   in Loop: Header=BB6_47 Depth=1
	buffer_load_dword v4, off, s[0:3], s33 offset:364 ; 4-byte Folded Reload
	buffer_load_dword v5, off, s[0:3], s33 offset:368 ; 4-byte Folded Reload
	s_waitcnt vmcnt(0)
	v_mul_lo_u32 v3, v4, s67
	v_mul_lo_u32 v2, v5, s66
	v_mad_u64_u32 v[0:1], s[28:29], v4, s66, 0
	v_add3_u32 v1, v1, v3, v2
	buffer_load_dword v2, off, s[0:3], s33 offset:356 ; 4-byte Folded Reload
	buffer_load_dword v3, off, s[0:3], s33 offset:360 ; 4-byte Folded Reload
	s_waitcnt vmcnt(0)
	v_sub_co_u32_e32 v2, vcc, v2, v0
	v_subb_co_u32_e32 v3, vcc, v3, v1, vcc
	v_cmp_lt_i64_e32 vcc, v[4:5], v[2:3]
	v_cndmask_b32_e32 v3, v2, v4, vcc
	v_max_i32_e32 v4, 0, v3
	buffer_store_dword v4, off, s[0:3], s33 offset:320 ; 4-byte Folded Spill
	v_add_u32_e32 v4, 31, v4
	v_lshrrev_b32_e32 v4, 1, v4
	v_and_b32_e32 v4, 0x3ffffff0, v4
	v_cmp_lt_i32_e32 vcc, 0, v3
	v_mov_b32_e32 v2, 0
	v_max_i32_e32 v4, s87, v4
	s_and_b64 s[28:29], s[76:77], vcc
	v_mov_b32_e32 v3, 0
	buffer_store_dword v4, off, s[0:3], s33 offset:172 ; 4-byte Folded Spill
	s_nop 0
	buffer_store_dword v5, off, s[0:3], s33 offset:176 ; 4-byte Folded Spill
	buffer_store_dword v3, off, s[0:3], s33 offset:180 ; 4-byte Folded Spill
	s_and_saveexec_b64 s[90:91], s[28:29]
	s_cbranch_execnz .LBB6_3789
; %bb.11157:                            ;   in Loop: Header=BB6_47 Depth=1
	s_getpc_b64 s[98:99]
.Lpost_getpc16:
	s_add_u32 s98, s98, (.LBB6_10560-.Lpost_getpc16)&4294967295
	s_addc_u32 s99, s99, (.LBB6_10560-.Lpost_getpc16)>>32
	s_setpc_b64 s[98:99]
.LBB6_3789:                             ;   in Loop: Header=BB6_47 Depth=1
	buffer_load_dword v2, off, s[0:3], s33 offset:288 ; 4-byte Folded Reload
	s_mov_b32 s44, 1
	s_mov_b64 s[94:95], -1
	s_mov_b64 s[92:93], 0
	s_waitcnt vmcnt(0)
	v_add_co_u32_e32 v0, vcc, v0, v2
	buffer_store_dword v0, off, s[0:3], s33 offset:352 ; 4-byte Folded Spill
	buffer_load_dword v0, off, s[0:3], s33 offset:292 ; 4-byte Folded Reload
	s_waitcnt vmcnt(0)
	v_addc_co_u32_e32 v0, vcc, v1, v0, vcc
	buffer_store_dword v0, off, s[0:3], s33 offset:384 ; 4-byte Folded Spill
	v_mov_b32_e32 v0, 0
	buffer_store_dword v0, off, s[0:3], s33 offset:180 ; 4-byte Folded Spill
	s_branch .LBB6_3791
.LBB6_3790:                             ;   in Loop: Header=BB6_3791 Depth=2
	s_or_b64 exec, exec, s[28:29]
	buffer_load_dword v0, off, s[0:3], s33 offset:172 ; 4-byte Folded Reload
	buffer_load_dword v1, off, s[0:3], s33 offset:176 ; 4-byte Folded Reload
	;; [unrolled: 1-line block ×3, first 2 shown]
	s_xor_b64 s[28:29], s[94:95], -1
	s_mov_b64 s[94:95], 0
	v_mov_b32_e32 v2, s44
	s_mov_b32 s44, 2
	s_waitcnt vmcnt(0)
	v_add_u32_e32 v1, v0, v1
	buffer_load_dword v0, off, s[0:3], s33 offset:320 ; 4-byte Folded Reload
	s_waitcnt vmcnt(0)
	v_cmp_ge_i32_e32 vcc, v1, v0
	s_or_b64 s[28:29], s[28:29], vcc
	s_and_b64 s[28:29], exec, s[28:29]
	s_or_b64 s[92:93], s[28:29], s[92:93]
	buffer_store_dword v1, off, s[0:3], s33 offset:180 ; 4-byte Folded Spill
	s_andn2_b64 exec, exec, s[92:93]
	s_cbranch_execnz .LBB6_3791
; %bb.11159:                            ;   in Loop: Header=BB6_47 Depth=1
	s_getpc_b64 s[98:99]
.Lpost_getpc17:
	s_add_u32 s98, s98, (.LBB6_10635-.Lpost_getpc17)&4294967295
	s_addc_u32 s99, s99, (.LBB6_10635-.Lpost_getpc17)>>32
	s_setpc_b64 s[98:99]
.LBB6_3791:                             ;   Parent Loop BB6_47 Depth=1
                                        ; =>  This Loop Header: Depth=2
                                        ;       Child Loop BB6_3799 Depth 3
                                        ;       Child Loop BB6_3827 Depth 3
	;; [unrolled: 1-line block ×9, first 2 shown]
                                        ;         Child Loop BB6_6100 Depth 4
                                        ;       Child Loop BB6_6130 Depth 3
                                        ;       Child Loop BB6_7158 Depth 3
                                        ;         Child Loop BB6_7191 Depth 4
                                        ;       Child Loop BB6_10526 Depth 3
                                        ;       Child Loop BB6_10545 Depth 3
	s_and_saveexec_b64 s[28:29], s[4:5]
	s_cbranch_execz .LBB6_3793
; %bb.3792:                             ;   in Loop: Header=BB6_3791 Depth=2
	s_trap 2
	buffer_load_dword v6, off, s[0:3], s33 offset:352 ; 4-byte Folded Reload
	buffer_load_dword v7, off, s[0:3], s33 offset:384 ; 4-byte Folded Reload
	;; [unrolled: 1-line block ×3, first 2 shown]
	ds_read2_b64 v[0:3], v0 offset1:1
	s_waitcnt vmcnt(0) lgkmcnt(0)
	v_add_co_u32_e32 v0, vcc, v0, v6
	v_addc_co_u32_e32 v1, vcc, v1, v7, vcc
	v_ashrrev_i32_e32 v4, 31, v5
	v_add_co_u32_e32 v0, vcc, v0, v5
	v_addc_co_u32_e32 v1, vcc, v1, v4, vcc
	ds_write_b64 v0, v[0:1]
	v_add_co_u32_e32 v0, vcc, v2, v6
	v_addc_co_u32_e32 v1, vcc, v3, v7, vcc
	v_add_co_u32_e32 v0, vcc, v0, v5
	v_addc_co_u32_e32 v1, vcc, v1, v4, vcc
	ds_write_b64 v0, v[0:1]
	ds_read_b64 v[0:1], v0
	s_waitcnt lgkmcnt(0)
	v_add_co_u32_e32 v2, vcc, v0, v6
	v_addc_co_u32_e32 v3, vcc, v1, v7, vcc
	v_add_co_u32_e32 v2, vcc, v2, v5
	v_addc_co_u32_e32 v3, vcc, v3, v4, vcc
	v_cmp_ne_u64_e32 vcc, 0, v[0:1]
	v_cndmask_b32_e32 v1, 0, v3, vcc
	v_cndmask_b32_e32 v0, 0, v2, vcc
	ds_write_b64 v0, v[0:1]
.LBB6_3793:                             ;   in Loop: Header=BB6_3791 Depth=2
	s_or_b64 exec, exec, s[28:29]
	buffer_load_dword v0, off, s[0:3], s33 offset:320 ; 4-byte Folded Reload
	buffer_load_dword v1, off, s[0:3], s33 offset:180 ; 4-byte Folded Reload
	s_waitcnt vmcnt(0)
	v_sub_u32_e32 v0, v0, v1
	buffer_load_dword v1, off, s[0:3], s33 offset:172 ; 4-byte Folded Reload
	buffer_load_dword v2, off, s[0:3], s33 offset:176 ; 4-byte Folded Reload
	s_waitcnt vmcnt(0)
	v_min_i32_e32 v1, v1, v0
	buffer_store_dword v1, off, s[0:3], s33 offset:172 ; 4-byte Folded Spill
	s_nop 0
	buffer_store_dword v2, off, s[0:3], s33 offset:176 ; 4-byte Folded Spill
	buffer_load_dword v0, off, s[0:3], s33 offset:72 ; 4-byte Folded Reload
	s_waitcnt vmcnt(0)
	v_and_b32_e32 v0, 12, v0
	v_cmp_ne_u32_e32 vcc, 0, v0
	s_and_saveexec_b64 s[40:41], vcc
	s_cbranch_execz .LBB6_3819
; %bb.3794:                             ;   in Loop: Header=BB6_3791 Depth=2
	buffer_load_dword v0, off, s[0:3], s33 offset:72 ; 4-byte Folded Reload
	s_waitcnt vmcnt(0)
	v_and_b32_e32 v6, 8, v0
	buffer_load_dword v0, off, s[0:3], s33 offset:56 ; 4-byte Folded Reload
	buffer_load_dword v1, off, s[0:3], s33 offset:60 ; 4-byte Folded Reload
	;; [unrolled: 1-line block ×4, first 2 shown]
	s_waitcnt vmcnt(0)
	v_add_co_u32_e32 v0, vcc, v0, v6
	v_addc_co_u32_e32 v1, vcc, 0, v1, vcc
	v_add_co_u32_e32 v4, vcc, 2, v2
	v_addc_co_u32_e32 v5, vcc, 0, v3, vcc
	v_cmp_lt_u64_e32 vcc, v[0:1], v[4:5]
	s_and_saveexec_b64 s[42:43], vcc
	s_cbranch_execz .LBB6_3806
; %bb.3795:                             ;   in Loop: Header=BB6_3791 Depth=2
	buffer_load_dword v0, off, s[0:3], s33 offset:72 ; 4-byte Folded Reload
	s_mov_b32 s45, 0
	s_mov_b64 s[30:31], 0
                                        ; implicit-def: $sgpr34_sgpr35
                                        ; implicit-def: $sgpr36_sgpr37
                                        ; implicit-def: $sgpr38_sgpr39
	s_waitcnt vmcnt(0)
	v_and_b32_e32 v0, 64, v0
	v_cmp_eq_u32_e32 vcc, 0, v0
	s_branch .LBB6_3799
.LBB6_3796:                             ;   in Loop: Header=BB6_3799 Depth=3
	buffer_load_dword v1, off, s[0:3], s33 offset:56 ; 4-byte Folded Reload
	buffer_load_dword v2, off, s[0:3], s33 offset:60 ; 4-byte Folded Reload
	s_or_b64 s[52:53], s[52:53], exec
	s_waitcnt vmcnt(1)
	v_add_co_u32_e64 v1, s[28:29], v1, v6
	s_waitcnt vmcnt(0)
	v_addc_co_u32_e64 v2, s[28:29], 0, v2, s[28:29]
	v_cmp_ge_u64_e64 s[28:29], v[1:2], v[4:5]
	s_orn2_b64 s[50:51], s[28:29], exec
.LBB6_3797:                             ;   in Loop: Header=BB6_3799 Depth=3
	s_or_b64 exec, exec, s[64:65]
	s_andn2_b64 s[28:29], s[38:39], exec
	s_and_b64 s[38:39], s[52:53], exec
	s_or_b64 s[38:39], s[28:29], s[38:39]
	s_andn2_b64 s[28:29], s[36:37], exec
	s_and_b64 s[36:37], s[50:51], exec
	s_or_b64 s[36:37], s[28:29], s[36:37]
.LBB6_3798:                             ;   in Loop: Header=BB6_3799 Depth=3
	s_or_b64 exec, exec, s[48:49]
	s_and_b64 s[28:29], exec, s[36:37]
	s_or_b64 s[30:31], s[28:29], s[30:31]
	s_andn2_b64 s[28:29], s[34:35], exec
	s_and_b64 s[34:35], s[38:39], exec
	s_or_b64 s[34:35], s[28:29], s[34:35]
	s_andn2_b64 exec, exec, s[30:31]
	s_cbranch_execz .LBB6_3803
.LBB6_3799:                             ;   Parent Loop BB6_47 Depth=1
                                        ;     Parent Loop BB6_3791 Depth=2
                                        ; =>    This Inner Loop Header: Depth=3
	s_sleep 1
	buffer_load_dword v0, off, s[0:3], s33 offset:64 ; 4-byte Folded Reload
	buffer_load_dword v1, off, s[0:3], s33 offset:68 ; 4-byte Folded Reload
	s_or_b64 s[38:39], s[38:39], exec
	s_or_b64 s[36:37], s[36:37], exec
	s_waitcnt vmcnt(0)
	flat_load_dwordx2 v[0:1], v[0:1] glc
	s_waitcnt vmcnt(0) lgkmcnt(0)
	buffer_store_dword v0, off, s[0:3], s33 offset:56 ; 4-byte Folded Spill
	s_nop 0
	buffer_store_dword v1, off, s[0:3], s33 offset:60 ; 4-byte Folded Spill
                                        ; implicit-def: $vgpr0
	s_and_saveexec_b64 s[48:49], vcc
	s_cbranch_execz .LBB6_3798
; %bb.3800:                             ;   in Loop: Header=BB6_3799 Depth=3
	s_cmpk_lt_i32 s45, 0x270f
	s_cselect_b64 s[54:55], -1, 0
	s_cmpk_gt_i32 s45, 0x270e
	s_mov_b64 s[50:51], -1
	s_cbranch_scc0 .LBB6_3802
; %bb.3801:                             ;   in Loop: Header=BB6_3799 Depth=3
	s_trap 2
	ds_read_b64 v[0:1], v0
	s_andn2_b64 s[54:55], s[54:55], exec
	s_mov_b32 s45, 0
	s_mov_b64 s[52:53], 0
	s_waitcnt vmcnt(0) lgkmcnt(0)
	flat_load_dword v0, v[0:1] glc
	s_waitcnt vmcnt(0) lgkmcnt(0)
	buffer_wbinvl1_vol
	v_cmp_eq_u32_e64 s[28:29], 0, v0
	s_and_b64 s[28:29], s[28:29], exec
	s_or_b64 s[54:55], s[54:55], s[28:29]
	s_and_saveexec_b64 s[64:65], s[54:55]
	s_cbranch_execz .LBB6_3797
	s_branch .LBB6_3796
.LBB6_3802:                             ;   in Loop: Header=BB6_3799 Depth=3
	s_add_i32 s45, s45, 1
	s_mov_b64 s[52:53], -1
                                        ; implicit-def: $vgpr0
	s_and_saveexec_b64 s[64:65], s[54:55]
	s_cbranch_execz .LBB6_3797
	s_branch .LBB6_3796
.LBB6_3803:                             ;   in Loop: Header=BB6_3791 Depth=2
	s_or_b64 exec, exec, s[30:31]
	s_xor_b64 s[28:29], s[34:35], -1
	s_and_saveexec_b64 vcc, s[28:29]
	s_xor_b64 s[28:29], exec, vcc
	s_cbranch_execz .LBB6_3805
; %bb.3804:                             ;   in Loop: Header=BB6_3791 Depth=2
	ds_write_b32 v0, v0
	s_trap 2
	buffer_load_dword v0, off, s[0:3], s33 offset:72 ; 4-byte Folded Reload
	s_waitcnt vmcnt(0)
	v_or_b32_e32 v0, 64, v0
	buffer_store_dword v0, off, s[0:3], s33 offset:72 ; 4-byte Folded Spill
.LBB6_3805:                             ;   in Loop: Header=BB6_3791 Depth=2
	s_or_b64 exec, exec, s[28:29]
.LBB6_3806:                             ;   in Loop: Header=BB6_3791 Depth=2
	s_or_b64 exec, exec, s[42:43]
	;;#ASMSTART
	s_wakeup
	;;#ASMEND
	buffer_load_dword v0, off, s[0:3], s33 offset:72 ; 4-byte Folded Reload
	s_waitcnt vmcnt(0)
	v_and_b32_e32 v0, 0x108, v0
	v_cmp_ne_u32_e32 vcc, s71, v0
	s_and_saveexec_b64 s[28:29], vcc
	s_xor_b64 s[28:29], exec, s[28:29]
                                        ; implicit-def: $vgpr7
	s_cbranch_execz .LBB6_3808
; %bb.3807:                             ;   in Loop: Header=BB6_3791 Depth=2
	buffer_load_dword v0, off, s[0:3], s33 offset:84 ; 4-byte Folded Reload
	buffer_load_dword v1, off, s[0:3], s33 offset:88 ; 4-byte Folded Reload
	s_waitcnt vmcnt(0)
	v_and_b32_e32 v7, 7, v0
                                        ; implicit-def: $vgpr0_vgpr1
                                        ; kill: killed $vgpr0_vgpr1
.LBB6_3808:                             ;   in Loop: Header=BB6_3791 Depth=2
	s_andn2_saveexec_b64 s[28:29], s[28:29]
	s_cbranch_execz .LBB6_3810
; %bb.3809:                             ;   in Loop: Header=BB6_3791 Depth=2
	buffer_load_dword v0, off, s[0:3], s33 offset:84 ; 4-byte Folded Reload
	buffer_load_dword v1, off, s[0:3], s33 offset:88 ; 4-byte Folded Reload
	s_waitcnt vmcnt(0)
	v_and_b32_e32 v7, 7, v0
	buffer_load_dword v0, off, s[0:3], s33 offset:212 ; 4-byte Folded Reload
	buffer_load_dword v1, off, s[0:3], s33 offset:216 ; 4-byte Folded Reload
	buffer_load_dword v2, off, s[0:3], s33 offset:220 ; 4-byte Folded Reload
	buffer_load_dword v3, off, s[0:3], s33 offset:224 ; 4-byte Folded Reload
	buffer_load_dword v2, off, s[0:3], s33 offset:172 ; 4-byte Folded Reload
	buffer_load_dword v3, off, s[0:3], s33 offset:176 ; 4-byte Folded Reload
	s_waitcnt vmcnt(0)
	v_mad_u64_u32 v[0:1], s[42:43], v7, 24, v[0:1]
	v_mov_b32_e32 v8, v2
	v_ashrrev_i32_e32 v9, 31, v8
	buffer_store_dword v2, off, s[0:3], s33 offset:172 ; 4-byte Folded Spill
	s_nop 0
	buffer_store_dword v3, off, s[0:3], s33 offset:176 ; 4-byte Folded Spill
	flat_store_dwordx2 v[0:1], v[8:9] offset:8
.LBB6_3810:                             ;   in Loop: Header=BB6_3791 Depth=2
	s_or_b64 exec, exec, s[28:29]
	buffer_load_dword v0, off, s[0:3], s33 offset:72 ; 4-byte Folded Reload
	s_mov_b64 s[28:29], -1
	s_waitcnt vmcnt(0)
	v_and_b32_e32 v0, 0x100, v0
	v_cmp_ne_u32_e32 vcc, 0, v0
                                        ; implicit-def: $vgpr0_vgpr1
	s_and_saveexec_b64 s[42:43], vcc
	s_cbranch_execz .LBB6_3814
; %bb.3811:                             ;   in Loop: Header=BB6_3791 Depth=2
	buffer_load_dword v0, off, s[0:3], s33 offset:212 ; 4-byte Folded Reload
	buffer_load_dword v1, off, s[0:3], s33 offset:216 ; 4-byte Folded Reload
	;; [unrolled: 1-line block ×4, first 2 shown]
	s_waitcnt vmcnt(0)
	v_mad_u64_u32 v[2:3], s[28:29], v7, 24, v[0:1]
	v_mov_b32_e32 v0, v3
	v_mad_u64_u32 v[0:1], s[28:29], v21, 24, v[0:1]
	v_mov_b32_e32 v3, v0
	flat_load_dword v0, v[2:3]
	s_waitcnt vmcnt(0) lgkmcnt(0)
	v_cmp_ne_u32_e32 vcc, 1, v0
	v_cmp_eq_u32_e64 s[28:29], 1, v0
                                        ; implicit-def: $vgpr0_vgpr1
	s_and_saveexec_b64 s[30:31], s[28:29]
	s_cbranch_execz .LBB6_3813
; %bb.3812:                             ;   in Loop: Header=BB6_3791 Depth=2
	flat_load_dword v0, v[2:3] offset:4 glc
	s_waitcnt vmcnt(0) lgkmcnt(0)
	v_ashrrev_i32_e32 v1, 31, v0
.LBB6_3813:                             ;   in Loop: Header=BB6_3791 Depth=2
	s_or_b64 exec, exec, s[30:31]
	s_orn2_b64 s[28:29], vcc, exec
.LBB6_3814:                             ;   in Loop: Header=BB6_3791 Depth=2
	s_or_b64 exec, exec, s[42:43]
	s_and_saveexec_b64 s[42:43], s[28:29]
	s_cbranch_execz .LBB6_3816
; %bb.3815:                             ;   in Loop: Header=BB6_3791 Depth=2
	buffer_load_dword v0, off, s[0:3], s33 offset:244 ; 4-byte Folded Reload
	buffer_load_dword v1, off, s[0:3], s33 offset:264 ; 4-byte Folded Reload
	s_waitcnt vmcnt(0)
	v_mul_lo_u32 v2, v21, v0
	v_mul_lo_u32 v3, v7, v1
	v_mad_u64_u32 v[0:1], s[28:29], v7, v0, 0
	v_add3_u32 v1, v1, v3, v2
.LBB6_3816:                             ;   in Loop: Header=BB6_3791 Depth=2
	s_or_b64 exec, exec, s[42:43]
	v_cmp_eq_u32_e32 vcc, 0, v6
	buffer_load_dword v6, off, s[0:3], s33 offset:204 ; 4-byte Folded Reload
	buffer_load_dword v7, off, s[0:3], s33 offset:208 ; 4-byte Folded Reload
	v_mov_b32_e32 v2, 0x90
	v_mov_b32_e32 v3, 0xd0
	v_cndmask_b32_e32 v2, v3, v2, vcc
	s_waitcnt vmcnt(0)
	v_add_co_u32_e32 v0, vcc, v6, v0
	v_addc_co_u32_e32 v1, vcc, v7, v1, vcc
	v_add_u32_e32 v2, v0, v2
	ds_write_b64 v2, v[0:1] offset:584
	buffer_load_dword v0, off, s[0:3], s33 offset:72 ; 4-byte Folded Reload
	s_waitcnt vmcnt(0)
	v_and_b32_e32 v0, 0x2000, v0
	v_cmp_ne_u32_e32 vcc, 0, v0
	s_and_saveexec_b64 s[28:29], vcc
	s_cbranch_execz .LBB6_3818
; %bb.3817:                             ;   in Loop: Header=BB6_3791 Depth=2
	ds_read_b64 v[0:1], v0 offset:872
	s_waitcnt lgkmcnt(0)
	v_add_co_u32_e32 v0, vcc, 1, v0
	v_addc_co_u32_e32 v1, vcc, 0, v1, vcc
	ds_write_b64 v0, v[0:1] offset:872
.LBB6_3818:                             ;   in Loop: Header=BB6_3791 Depth=2
	s_or_b64 exec, exec, s[28:29]
	buffer_store_dword v4, off, s[0:3], s33 offset:84 ; 4-byte Folded Spill
	s_nop 0
	buffer_store_dword v5, off, s[0:3], s33 offset:88 ; 4-byte Folded Spill
.LBB6_3819:                             ;   in Loop: Header=BB6_3791 Depth=2
	s_or_b64 exec, exec, s[40:41]
	s_and_saveexec_b64 s[28:29], s[10:11]
	s_cbranch_execz .LBB6_3838
; %bb.3820:                             ;   in Loop: Header=BB6_3791 Depth=2
	s_and_saveexec_b64 s[40:41], s[58:59]
	s_xor_b64 s[40:41], exec, s[40:41]
	s_cbranch_execz .LBB6_3835
; %bb.3821:                             ;   in Loop: Header=BB6_3791 Depth=2
	s_and_saveexec_b64 s[42:43], s[16:17]
	s_cbranch_execz .LBB6_3834
; %bb.3822:                             ;   in Loop: Header=BB6_3791 Depth=2
	s_mov_b64 s[34:35], exec
	v_mbcnt_lo_u32_b32 v0, s34, 0
	v_mbcnt_hi_u32_b32 v0, s35, v0
	v_cmp_eq_u32_e32 vcc, 0, v0
	s_waitcnt vmcnt(0) lgkmcnt(0)
	buffer_wbinvl1_vol
	s_and_saveexec_b64 s[30:31], vcc
	s_cbranch_execz .LBB6_3824
; %bb.3823:                             ;   in Loop: Header=BB6_3791 Depth=2
	s_bcnt1_i32_b64 s9, s[34:35]
	v_mov_b32_e32 v20, s9
	ds_add_u64 v0, v[20:21]
	s_trap 2
.LBB6_3824:                             ;   in Loop: Header=BB6_3791 Depth=2
	s_or_b64 exec, exec, s[30:31]
	s_trap 2
	ds_read_b64 v[0:1], v0
	s_waitcnt lgkmcnt(0)
	buffer_load_dword v2, off, s[0:3], s33 offset:76 ; 4-byte Folded Reload
	buffer_load_dword v3, off, s[0:3], s33 offset:80 ; 4-byte Folded Reload
	s_waitcnt vmcnt(1)
	v_add_co_u32_e32 v2, vcc, v2, v49
	s_waitcnt vmcnt(0)
	v_addc_co_u32_e32 v3, vcc, 0, v3, vcc
	buffer_store_dword v2, off, s[0:3], s33 offset:76 ; 4-byte Folded Spill
	s_nop 0
	buffer_store_dword v3, off, s[0:3], s33 offset:80 ; 4-byte Folded Spill
	v_cmp_lt_u64_e32 vcc, v[0:1], v[2:3]
	s_and_saveexec_b64 s[30:31], vcc
	s_cbranch_execz .LBB6_3833
; %bb.3825:                             ;   in Loop: Header=BB6_3791 Depth=2
	s_mov_b32 s9, 0
	s_mov_b64 s[34:35], 0
                                        ; implicit-def: $sgpr36_sgpr37
                                        ; implicit-def: $sgpr38_sgpr39
	s_branch .LBB6_3827
.LBB6_3826:                             ;   in Loop: Header=BB6_3827 Depth=3
	s_or_b64 exec, exec, s[50:51]
	s_and_b64 vcc, exec, vcc
	s_or_b64 s[34:35], vcc, s[34:35]
	s_andn2_b64 vcc, s[36:37], exec
	s_and_b64 s[36:37], s[38:39], exec
	s_or_b64 s[36:37], vcc, s[36:37]
	s_andn2_b64 exec, exec, s[34:35]
	s_cbranch_execz .LBB6_3831
.LBB6_3827:                             ;   Parent Loop BB6_47 Depth=1
                                        ;     Parent Loop BB6_3791 Depth=2
                                        ; =>    This Inner Loop Header: Depth=3
	s_add_i32 s9, s9, 1
	s_cmpk_lg_i32 s9, 0x2710
	s_cselect_b64 s[48:49], -1, 0
	s_and_b64 vcc, exec, s[48:49]
	s_cbranch_vccz .LBB6_3829
; %bb.3828:                             ;   in Loop: Header=BB6_3827 Depth=3
	s_mov_b64 vcc, -1
	s_or_b64 s[38:39], s[38:39], exec
	s_and_saveexec_b64 s[50:51], s[48:49]
	s_cbranch_execz .LBB6_3826
	s_branch .LBB6_3830
.LBB6_3829:                             ;   in Loop: Header=BB6_3827 Depth=3
	s_trap 2
	ds_read_b64 v[0:1], v0
	s_andn2_b64 s[48:49], s[48:49], exec
	s_mov_b32 s9, 0
	s_waitcnt vmcnt(0) lgkmcnt(0)
	flat_load_dword v0, v[0:1] glc
	s_waitcnt vmcnt(0) lgkmcnt(0)
	buffer_wbinvl1_vol
	v_cmp_eq_u32_e32 vcc, 0, v0
	s_and_b64 vcc, vcc, exec
	s_or_b64 s[48:49], s[48:49], vcc
	s_mov_b64 vcc, -1
	s_or_b64 s[38:39], s[38:39], exec
	s_and_saveexec_b64 s[50:51], s[48:49]
	s_cbranch_execz .LBB6_3826
.LBB6_3830:                             ;   in Loop: Header=BB6_3827 Depth=3
	s_sleep 1
	s_trap 2
	ds_read_b64 v[0:1], v0
	s_waitcnt lgkmcnt(0)
	buffer_load_dword v2, off, s[0:3], s33 offset:76 ; 4-byte Folded Reload
	buffer_load_dword v3, off, s[0:3], s33 offset:80 ; 4-byte Folded Reload
	s_andn2_b64 s[38:39], s[38:39], exec
	s_waitcnt vmcnt(0)
	v_cmp_ge_u64_e32 vcc, v[0:1], v[2:3]
	s_orn2_b64 vcc, vcc, exec
	s_branch .LBB6_3826
.LBB6_3831:                             ;   in Loop: Header=BB6_3791 Depth=2
	s_or_b64 exec, exec, s[34:35]
	s_and_saveexec_b64 vcc, s[36:37]
	s_xor_b64 vcc, exec, vcc
	s_cbranch_execz .LBB6_3833
; %bb.3832:                             ;   in Loop: Header=BB6_3791 Depth=2
	v_mov_b32_e32 v0, 1
	ds_write_b32 v0, v0
	s_trap 2
.LBB6_3833:                             ;   in Loop: Header=BB6_3791 Depth=2
	s_or_b64 exec, exec, s[30:31]
	;;#ASMSTART
	s_wakeup
	;;#ASMEND
.LBB6_3834:                             ;   in Loop: Header=BB6_3791 Depth=2
	s_or_b64 exec, exec, s[42:43]
.LBB6_3835:                             ;   in Loop: Header=BB6_3791 Depth=2
	s_andn2_saveexec_b64 s[40:41], s[40:41]
	s_cbranch_execz .LBB6_3837
; %bb.3836:                             ;   in Loop: Header=BB6_3791 Depth=2
	s_waitcnt vmcnt(0) lgkmcnt(0)
	buffer_wbinvl1_vol
	s_barrier
.LBB6_3837:                             ;   in Loop: Header=BB6_3791 Depth=2
	s_or_b64 exec, exec, s[40:41]
.LBB6_3838:                             ;   in Loop: Header=BB6_3791 Depth=2
	s_or_b64 exec, exec, s[28:29]
	s_trap 2
	buffer_load_dword v1, off, s[0:3], s33 offset:72 ; 4-byte Folded Reload
	ds_read_b32 v0, v0
	s_xor_b64 s[28:29], s[6:7], -1
	s_waitcnt vmcnt(0)
	v_and_b32_e32 v1, 0x4000, v1
	v_cmp_ne_u32_e32 vcc, 0, v1
	s_and_b64 s[40:41], s[28:29], vcc
	s_and_saveexec_b64 s[28:29], s[40:41]
	s_cbranch_execz .LBB6_3857
; %bb.3839:                             ;   in Loop: Header=BB6_3791 Depth=2
	s_and_saveexec_b64 s[40:41], s[58:59]
	s_xor_b64 s[40:41], exec, s[40:41]
	s_cbranch_execz .LBB6_3854
; %bb.3840:                             ;   in Loop: Header=BB6_3791 Depth=2
	s_and_saveexec_b64 s[42:43], s[16:17]
	s_cbranch_execz .LBB6_3853
; %bb.3841:                             ;   in Loop: Header=BB6_3791 Depth=2
	s_mov_b64 s[34:35], exec
	v_mbcnt_lo_u32_b32 v1, s34, 0
	v_mbcnt_hi_u32_b32 v1, s35, v1
	v_cmp_eq_u32_e32 vcc, 0, v1
	s_waitcnt lgkmcnt(0)
	buffer_wbinvl1_vol
	s_and_saveexec_b64 s[30:31], vcc
	s_cbranch_execz .LBB6_3843
; %bb.3842:                             ;   in Loop: Header=BB6_3791 Depth=2
	s_bcnt1_i32_b64 s9, s[34:35]
	v_mov_b32_e32 v20, s9
	ds_add_u64 v0, v[20:21]
	s_trap 2
.LBB6_3843:                             ;   in Loop: Header=BB6_3791 Depth=2
	s_or_b64 exec, exec, s[30:31]
	s_trap 2
	ds_read_b64 v[1:2], v0
	s_waitcnt lgkmcnt(0)
	buffer_load_dword v3, off, s[0:3], s33 offset:76 ; 4-byte Folded Reload
	buffer_load_dword v4, off, s[0:3], s33 offset:80 ; 4-byte Folded Reload
	s_waitcnt vmcnt(1)
	v_add_co_u32_e32 v3, vcc, v3, v49
	s_waitcnt vmcnt(0)
	v_addc_co_u32_e32 v4, vcc, 0, v4, vcc
	buffer_store_dword v3, off, s[0:3], s33 offset:76 ; 4-byte Folded Spill
	s_nop 0
	buffer_store_dword v4, off, s[0:3], s33 offset:80 ; 4-byte Folded Spill
	v_cmp_lt_u64_e32 vcc, v[1:2], v[3:4]
	s_and_saveexec_b64 s[30:31], vcc
	s_cbranch_execz .LBB6_3852
; %bb.3844:                             ;   in Loop: Header=BB6_3791 Depth=2
	s_mov_b32 s9, 0
	s_mov_b64 s[34:35], 0
                                        ; implicit-def: $sgpr36_sgpr37
                                        ; implicit-def: $sgpr38_sgpr39
	s_branch .LBB6_3846
.LBB6_3845:                             ;   in Loop: Header=BB6_3846 Depth=3
	s_or_b64 exec, exec, s[50:51]
	s_and_b64 vcc, exec, vcc
	s_or_b64 s[34:35], vcc, s[34:35]
	s_andn2_b64 vcc, s[36:37], exec
	s_and_b64 s[36:37], s[38:39], exec
	s_or_b64 s[36:37], vcc, s[36:37]
	s_andn2_b64 exec, exec, s[34:35]
	s_cbranch_execz .LBB6_3850
.LBB6_3846:                             ;   Parent Loop BB6_47 Depth=1
                                        ;     Parent Loop BB6_3791 Depth=2
                                        ; =>    This Inner Loop Header: Depth=3
	s_add_i32 s9, s9, 1
	s_cmpk_lg_i32 s9, 0x2710
	s_cselect_b64 s[48:49], -1, 0
	s_and_b64 vcc, exec, s[48:49]
	s_cbranch_vccz .LBB6_3848
; %bb.3847:                             ;   in Loop: Header=BB6_3846 Depth=3
	s_mov_b64 vcc, -1
	s_or_b64 s[38:39], s[38:39], exec
	s_and_saveexec_b64 s[50:51], s[48:49]
	s_cbranch_execz .LBB6_3845
	s_branch .LBB6_3849
.LBB6_3848:                             ;   in Loop: Header=BB6_3846 Depth=3
	s_trap 2
	ds_read_b64 v[1:2], v0
	s_andn2_b64 s[48:49], s[48:49], exec
	s_mov_b32 s9, 0
	s_waitcnt vmcnt(0) lgkmcnt(0)
	flat_load_dword v1, v[1:2] glc
	s_waitcnt vmcnt(0) lgkmcnt(0)
	buffer_wbinvl1_vol
	v_cmp_eq_u32_e32 vcc, 0, v1
	s_and_b64 vcc, vcc, exec
	s_or_b64 s[48:49], s[48:49], vcc
	s_mov_b64 vcc, -1
	s_or_b64 s[38:39], s[38:39], exec
	s_and_saveexec_b64 s[50:51], s[48:49]
	s_cbranch_execz .LBB6_3845
.LBB6_3849:                             ;   in Loop: Header=BB6_3846 Depth=3
	s_sleep 1
	s_trap 2
	ds_read_b64 v[1:2], v0
	s_waitcnt lgkmcnt(0)
	buffer_load_dword v3, off, s[0:3], s33 offset:76 ; 4-byte Folded Reload
	buffer_load_dword v4, off, s[0:3], s33 offset:80 ; 4-byte Folded Reload
	s_andn2_b64 s[38:39], s[38:39], exec
	s_waitcnt vmcnt(0)
	v_cmp_ge_u64_e32 vcc, v[1:2], v[3:4]
	s_orn2_b64 vcc, vcc, exec
	s_branch .LBB6_3845
.LBB6_3850:                             ;   in Loop: Header=BB6_3791 Depth=2
	s_or_b64 exec, exec, s[34:35]
	s_and_saveexec_b64 vcc, s[36:37]
	s_xor_b64 vcc, exec, vcc
	s_cbranch_execz .LBB6_3852
; %bb.3851:                             ;   in Loop: Header=BB6_3791 Depth=2
	v_mov_b32_e32 v1, 1
	ds_write_b32 v0, v1
	s_trap 2
.LBB6_3852:                             ;   in Loop: Header=BB6_3791 Depth=2
	s_or_b64 exec, exec, s[30:31]
	;;#ASMSTART
	s_wakeup
	;;#ASMEND
.LBB6_3853:                             ;   in Loop: Header=BB6_3791 Depth=2
	s_or_b64 exec, exec, s[42:43]
.LBB6_3854:                             ;   in Loop: Header=BB6_3791 Depth=2
	s_andn2_saveexec_b64 s[40:41], s[40:41]
	s_cbranch_execz .LBB6_3856
; %bb.3855:                             ;   in Loop: Header=BB6_3791 Depth=2
	s_waitcnt vmcnt(0) lgkmcnt(0)
	buffer_wbinvl1_vol
	s_barrier
.LBB6_3856:                             ;   in Loop: Header=BB6_3791 Depth=2
	s_or_b64 exec, exec, s[40:41]
.LBB6_3857:                             ;   in Loop: Header=BB6_3791 Depth=2
	s_or_b64 exec, exec, s[28:29]
	s_trap 2
	s_waitcnt lgkmcnt(0)
	ds_read_b64 v[1:2], v0
	s_waitcnt lgkmcnt(0)
	v_cmp_eq_u64_e32 vcc, 0, v[1:2]
	s_cbranch_vccnz .LBB6_3866
; %bb.3858:                             ;   in Loop: Header=BB6_3791 Depth=2
	buffer_store_dword v1, off, s[0:3], s33 offset:336 ; 4-byte Folded Spill
	s_nop 0
	buffer_store_dword v2, off, s[0:3], s33 offset:340 ; 4-byte Folded Spill
	s_trap 2
	ds_read_b64 v[2:3], v0
	s_waitcnt lgkmcnt(0)
	v_cmp_eq_u64_e32 vcc, 0, v[2:3]
	s_cbranch_vccnz .LBB6_3866
; %bb.3859:                             ;   in Loop: Header=BB6_3791 Depth=2
	s_trap 2
	ds_read_b64 v[58:59], v0
	v_cmp_eq_u32_e64 s[28:29], 0, v0
	buffer_load_dword v0, off, s[0:3], s33 offset:172 ; 4-byte Folded Reload
	buffer_load_dword v1, off, s[0:3], s33 offset:176 ; 4-byte Folded Reload
	s_waitcnt lgkmcnt(0)
	v_cmp_ne_u64_e32 vcc, 0, v[58:59]
	s_and_b64 vcc, exec, vcc
	s_waitcnt vmcnt(1)
	v_cndmask_b32_e64 v0, 0, v0, s[28:29]
	buffer_store_dword v0, off, s[0:3], s33 offset:324 ; 4-byte Folded Spill
	buffer_store_dword v2, off, s[0:3], s33 offset:344 ; 4-byte Folded Spill
	s_nop 0
	buffer_store_dword v3, off, s[0:3], s33 offset:348 ; 4-byte Folded Spill
	s_cbranch_vccz .LBB6_3871
; %bb.3860:                             ;   in Loop: Header=BB6_3791 Depth=2
	s_mov_b64 s[40:41], -1
	s_and_saveexec_b64 s[28:29], s[22:23]
	s_cbranch_execz .LBB6_3862
; %bb.3861:                             ;   in Loop: Header=BB6_3791 Depth=2
	ds_read_b32 v0, v0 offset:720
	s_waitcnt lgkmcnt(0)
	v_and_b32_e32 v0, 15, v0
	v_cmp_eq_u32_e32 vcc, 0, v0
	s_orn2_b64 s[40:41], vcc, exec
.LBB6_3862:                             ;   in Loop: Header=BB6_3791 Depth=2
	s_or_b64 exec, exec, s[28:29]
	s_and_saveexec_b64 s[28:29], s[22:23]
	s_cbranch_execz .LBB6_3864
; %bb.3863:                             ;   in Loop: Header=BB6_3791 Depth=2
	ds_read_b32 v0, v0 offset:784
	s_waitcnt lgkmcnt(0)
	v_and_b32_e32 v0, 15, v0
	v_cmp_eq_u32_e32 vcc, 0, v0
	s_and_b64 s[42:43], s[40:41], vcc
	s_andn2_b64 s[40:41], s[40:41], exec
	s_and_b64 s[42:43], s[42:43], exec
	s_or_b64 s[40:41], s[40:41], s[42:43]
.LBB6_3864:                             ;   in Loop: Header=BB6_3791 Depth=2
	s_or_b64 exec, exec, s[28:29]
	s_xor_b64 s[40:41], s[40:41], -1
	v_cndmask_b32_e64 v0, 0, 1, s[40:41]
	v_cmp_ne_u32_e32 vcc, 0, v0
	buffer_load_dword v3, off, s[0:3], s33 offset:324 ; 4-byte Folded Reload
	buffer_load_dword v2, off, s[0:3], s33 offset:268 ; 4-byte Folded Reload
	;; [unrolled: 1-line block ×3, first 2 shown]
	s_mov_b64 s[28:29], -1
	v_mov_b32_e32 v8, 0
	s_cbranch_vccz .LBB6_3872
; %bb.3865:                             ;   in Loop: Header=BB6_3791 Depth=2
	s_and_saveexec_b64 s[42:43], s[28:29]
	s_cbranch_execz .LBB6_7193
	s_branch .LBB6_6127
.LBB6_3866:                             ;   in Loop: Header=BB6_3791 Depth=2
	s_mov_b64 s[28:29], 0
	s_and_saveexec_b64 s[40:41], s[10:11]
	s_cbranch_execz .LBB6_3867
; %bb.11161:                            ;   in Loop: Header=BB6_3791 Depth=2
	s_getpc_b64 s[98:99]
.Lpost_getpc18:
	s_add_u32 s98, s98, (.LBB6_10519-.Lpost_getpc18)&4294967295
	s_addc_u32 s99, s99, (.LBB6_10519-.Lpost_getpc18)>>32
	s_setpc_b64 s[98:99]
.LBB6_3867:                             ;   in Loop: Header=BB6_3791 Depth=2
	s_or_b64 exec, exec, s[40:41]
                                        ; implicit-def: $vgpr0
	s_and_saveexec_b64 s[40:41], s[24:25]
	s_xor_b64 s[40:41], exec, s[40:41]
	s_cbranch_execnz .LBB6_3868
; %bb.11163:                            ;   in Loop: Header=BB6_3791 Depth=2
	s_getpc_b64 s[98:99]
.Lpost_getpc19:
	s_add_u32 s98, s98, (.LBB6_10537-.Lpost_getpc19)&4294967295
	s_addc_u32 s99, s99, (.LBB6_10537-.Lpost_getpc19)>>32
	s_setpc_b64 s[98:99]
.LBB6_3868:                             ;   in Loop: Header=BB6_3791 Depth=2
	buffer_load_dword v1, off, s[0:3], s33 offset:72 ; 4-byte Folded Reload
	s_waitcnt vmcnt(0)
	v_and_b32_e32 v0, 16, v1
	v_and_b32_e32 v1, 16, v1
	v_cmp_ne_u32_e32 vcc, 0, v1
	s_and_b64 s[42:43], vcc, s[28:29]
	s_and_saveexec_b64 s[28:29], s[42:43]
	s_cbranch_execz .LBB6_3870
; %bb.3869:                             ;   in Loop: Header=BB6_3791 Depth=2
	v_mov_b32_e32 v0, 1
	s_waitcnt lgkmcnt(0)
	buffer_wbinvl1_vol
.LBB6_3870:                             ;   in Loop: Header=BB6_3791 Depth=2
	s_or_b64 exec, exec, s[28:29]
	s_andn2_saveexec_b64 s[28:29], s[40:41]
	s_cbranch_execnz .LBB6_11145
; %bb.11165:                            ;   in Loop: Header=BB6_3791 Depth=2
	s_getpc_b64 s[98:99]
.Lpost_getpc20:
	s_add_u32 s98, s98, (.LBB6_10556-.Lpost_getpc20)&4294967295
	s_addc_u32 s99, s99, (.LBB6_10556-.Lpost_getpc20)>>32
	s_setpc_b64 s[98:99]
.LBB6_11145:                            ;   in Loop: Header=BB6_3791 Depth=2
	s_getpc_b64 s[98:99]
.Lpost_getpc10:
	s_add_u32 s98, s98, (.LBB6_10538-.Lpost_getpc10)&4294967295
	s_addc_u32 s99, s99, (.LBB6_10538-.Lpost_getpc10)>>32
	s_setpc_b64 s[98:99]
.LBB6_3871:                             ;   in Loop: Header=BB6_3791 Depth=2
	s_cbranch_execnz .LBB6_7194
; %bb.11147:                            ;   in Loop: Header=BB6_3791 Depth=2
	s_getpc_b64 s[98:99]
.Lpost_getpc11:
	s_add_u32 s98, s98, (.LBB6_10518-.Lpost_getpc11)&4294967295
	s_addc_u32 s99, s99, (.LBB6_10518-.Lpost_getpc11)>>32
	s_setpc_b64 s[98:99]
.LBB6_3872:                             ;   in Loop: Header=BB6_3791 Depth=2
	buffer_load_dword v1, off, s[0:3], s33 offset:324 ; 4-byte Folded Reload
	s_waitcnt vmcnt(0)
	v_ashrrev_i32_e32 v0, 31, v1
	v_lshrrev_b32_e32 v0, 20, v0
	v_add_u32_e32 v0, v1, v0
	v_ashrrev_i32_e32 v1, 12, v0
	buffer_load_dword v0, off, s[0:3], s33 offset:240 ; 4-byte Folded Reload
	s_waitcnt vmcnt(0)
	v_sub_u32_e32 v31, v1, v0
	v_cmp_lt_i32_e32 vcc, 0, v31
	s_and_saveexec_b64 s[40:41], vcc
	s_cbranch_execz .LBB6_5668
; %bb.3873:                             ;   in Loop: Header=BB6_3791 Depth=2
	buffer_store_dword v1, off, s[0:3], s33 offset:404 ; 4-byte Folded Spill
	s_trap 2
	ds_read_b64 v[0:1], v0
	buffer_load_dword v2, off, s[0:3], s33 offset:312 ; 4-byte Folded Reload
	buffer_load_dword v3, off, s[0:3], s33 offset:336 ; 4-byte Folded Reload
	;; [unrolled: 1-line block ×3, first 2 shown]
	s_mov_b64 s[42:43], 0
	s_waitcnt vmcnt(1)
	v_add_co_u32_e32 v60, vcc, v3, v2
	buffer_load_dword v3, off, s[0:3], s33 offset:316 ; 4-byte Folded Reload
	s_nop 0
	buffer_store_dword v58, off, s[0:3], s33 offset:396 ; 4-byte Folded Spill
	s_nop 0
	buffer_store_dword v59, off, s[0:3], s33 offset:400 ; 4-byte Folded Spill
	s_waitcnt vmcnt(2)
	v_addc_co_u32_e32 v61, vcc, v4, v3, vcc
	buffer_load_dword v4, off, s[0:3], s33 offset:344 ; 4-byte Folded Reload
	buffer_load_dword v5, off, s[0:3], s33 offset:348 ; 4-byte Folded Reload
	s_waitcnt lgkmcnt(0)
	v_add_co_u32_e32 v44, vcc, v0, v2
	v_addc_co_u32_e32 v45, vcc, v1, v3, vcc
	s_branch .LBB6_3875
.LBB6_3874:                             ;   in Loop: Header=BB6_3875 Depth=3
	s_or_b64 exec, exec, s[28:29]
	v_lshl_or_b32 v1, v40, 8, v56
	v_lshl_or_b32 v2, v34, 8, v27
	v_lshlrev_b32_e32 v10, 16, v22
	v_lshlrev_b32_e32 v11, 24, v16
	;; [unrolled: 1-line block ×4, first 2 shown]
	v_or3_b32 v15, v1, v10, v11
	v_or3_b32 v14, v2, v14, v16
	v_lshl_or_b32 v1, v23, 8, v17
	v_lshlrev_b32_e32 v2, 16, v41
	v_lshlrev_b32_e32 v10, 24, v36
	v_or3_b32 v16, v1, v2, v10
	v_lshl_or_b32 v1, v30, 8, v37
	v_lshlrev_b32_e32 v2, 24, v3
	v_lshlrev_b32_e32 v3, 16, v6
	v_or3_b32 v17, v1, v3, v2
	buffer_load_dword v1, off, s[0:3], s33 offset:168 ; 4-byte Folded Reload
	buffer_load_dword v2, off, s[0:3], s33 offset:184 ; 4-byte Folded Reload
	v_lshlrev_b32_e32 v8, 24, v8
	v_lshlrev_b32_e32 v0, 24, v0
	s_waitcnt vmcnt(0)
	v_lshl_or_b32 v1, v2, 8, v1
	buffer_load_dword v2, off, s[0:3], s33 offset:152 ; 4-byte Folded Reload
	buffer_load_dword v3, off, s[0:3], s33 offset:156 ; 4-byte Folded Reload
	;; [unrolled: 1-line block ×5, first 2 shown]
	s_waitcnt vmcnt(3)
	v_lshl_or_b32 v2, v3, 8, v2
	buffer_load_dword v3, off, s[0:3], s33 offset:188 ; 4-byte Folded Reload
	s_waitcnt vmcnt(3)
	v_lshlrev_b32_e32 v10, 16, v10
	s_waitcnt vmcnt(2)
	v_lshlrev_b32_e32 v6, 24, v6
	;; [unrolled: 2-line block ×3, first 2 shown]
	v_or3_b32 v22, v2, v10, v11
	s_waitcnt vmcnt(0)
	v_lshlrev_b32_e32 v3, 16, v3
	v_or3_b32 v23, v1, v3, v6
	buffer_load_dword v1, off, s[0:3], s33 offset:304 ; 4-byte Folded Reload
	buffer_load_dword v2, off, s[0:3], s33 offset:308 ; 4-byte Folded Reload
	v_lshlrev_b32_e32 v3, 24, v54
	s_waitcnt vmcnt(0)
	v_lshl_or_b32 v1, v2, 8, v1
	v_lshlrev_b32_e32 v2, 16, v33
	v_or3_b32 v24, v1, v2, v3
	v_lshlrev_b32_e32 v1, 24, v26
	v_lshlrev_b32_e32 v2, 16, v55
	v_lshl_or_b32 v3, v49, 8, v48
	v_or3_b32 v25, v3, v2, v1
	buffer_load_dword v2, off, s[0:3], s33 offset:112 ; 4-byte Folded Reload
	buffer_load_dword v3, off, s[0:3], s33 offset:116 ; 4-byte Folded Reload
	v_lshl_or_b32 v1, v52, 8, v53
	s_waitcnt vmcnt(1)
	v_lshlrev_b32_e32 v2, 16, v2
	s_waitcnt vmcnt(0)
	v_lshlrev_b32_e32 v3, 24, v3
	v_or3_b32 v33, v1, v2, v3
	buffer_load_dword v1, off, s[0:3], s33 offset:96 ; 4-byte Folded Reload
	buffer_load_dword v2, off, s[0:3], s33 offset:100 ; 4-byte Folded Reload
	;; [unrolled: 1-line block ×3, first 2 shown]
	s_waitcnt vmcnt(1)
	v_lshl_or_b32 v1, v2, 8, v1
	buffer_load_dword v2, off, s[0:3], s33 offset:104 ; 4-byte Folded Reload
	s_waitcnt vmcnt(1)
	v_lshlrev_b32_e32 v3, 24, v3
	s_waitcnt vmcnt(0)
	v_lshlrev_b32_e32 v2, 16, v2
	v_or3_b32 v32, v1, v2, v3
	buffer_load_dword v1, off, s[0:3], s33 offset:120 ; 4-byte Folded Reload
	buffer_load_dword v2, off, s[0:3], s33 offset:124 ; 4-byte Folded Reload
	;; [unrolled: 1-line block ×3, first 2 shown]
	s_waitcnt vmcnt(1)
	v_lshl_or_b32 v1, v2, 8, v1
	buffer_load_dword v2, off, s[0:3], s33 offset:128 ; 4-byte Folded Reload
	s_waitcnt vmcnt(1)
	v_lshlrev_b32_e32 v3, 24, v3
	s_waitcnt vmcnt(0)
	v_lshlrev_b32_e32 v2, 16, v2
	v_or3_b32 v34, v1, v2, v3
	buffer_load_dword v1, off, s[0:3], s33 offset:148 ; 4-byte Folded Reload
	buffer_load_dword v2, off, s[0:3], s33 offset:144 ; 4-byte Folded Reload
	;; [unrolled: 1-line block ×4, first 2 shown]
	s_waitcnt vmcnt(3)
	v_lshlrev_b32_e32 v1, 24, v1
	s_waitcnt vmcnt(2)
	v_lshlrev_b32_e32 v2, 16, v2
	s_waitcnt vmcnt(0)
	v_lshl_or_b32 v3, v6, 8, v3
	v_or3_b32 v35, v3, v2, v1
	buffer_load_dword v3, off, s[0:3], s33 offset:312 ; 4-byte Folded Reload
	buffer_load_dword v6, off, s[0:3], s33 offset:316 ; 4-byte Folded Reload
	s_waitcnt vmcnt(1)
	v_add_co_u32_e32 v1, vcc, v3, v4
	s_waitcnt vmcnt(0)
	v_addc_co_u32_e32 v2, vcc, v6, v5, vcc
	v_add_co_u32_e32 v26, vcc, v3, v58
	v_addc_co_u32_e32 v27, vcc, v6, v59, vcc
	v_lshl_or_b32 v3, v47, 8, v46
	v_lshlrev_b32_e32 v6, 16, v28
	v_or3_b32 v8, v3, v6, v8
	v_lshl_or_b32 v3, v18, 8, v7
	v_lshlrev_b32_e32 v6, 16, v19
	v_lshlrev_b32_e32 v7, 24, v42
	v_or3_b32 v7, v3, v6, v7
	v_lshl_or_b32 v3, v12, 8, v9
	v_lshlrev_b32_e32 v6, 16, v13
	v_lshlrev_b32_e32 v9, 24, v38
	v_or3_b32 v9, v3, v6, v9
	v_lshlrev_b32_e32 v3, 16, v51
	v_lshl_or_b32 v6, v50, 8, v39
	v_or3_b32 v10, v6, v3, v0
	global_store_dwordx4 v[1:2], v[32:35], off glc slc
	global_store_dwordx4 v[1:2], v[22:25], off offset:1024 glc slc
	global_store_dwordx4 v[1:2], v[14:17], off offset:2048 glc slc
	;; [unrolled: 1-line block ×3, first 2 shown]
	global_store_dwordx4 v[26:27], v[32:35], off glc slc
	global_store_dwordx4 v[26:27], v[22:25], off offset:1024 glc slc
	global_store_dwordx4 v[26:27], v[14:17], off offset:2048 glc slc
	;; [unrolled: 1-line block ×3, first 2 shown]
	buffer_load_dword v0, off, s[0:3], s33 offset:200 ; 4-byte Folded Reload
	buffer_load_dword v49, off, s[0:3], s33 offset:92 ; 4-byte Folded Reload
	s_waitcnt vmcnt(1)
	v_add_co_u32_e32 v60, vcc, v60, v0
	v_addc_co_u32_e32 v61, vcc, 0, v61, vcc
	v_add_co_u32_e32 v44, vcc, v44, v0
	v_addc_co_u32_e32 v45, vcc, 0, v45, vcc
	v_add_co_u32_e32 v4, vcc, v4, v0
	s_waitcnt vmcnt(0)
	v_sub_u32_e32 v31, v31, v49
	v_addc_co_u32_e32 v5, vcc, 0, v5, vcc
	v_cmp_gt_i32_e32 vcc, 1, v31
	s_or_b64 s[42:43], vcc, s[42:43]
	v_add_co_u32_e32 v58, vcc, v58, v0
	v_addc_co_u32_e32 v59, vcc, 0, v59, vcc
	s_andn2_b64 exec, exec, s[42:43]
	s_cbranch_execz .LBB6_5667
.LBB6_3875:                             ;   Parent Loop BB6_47 Depth=1
                                        ;     Parent Loop BB6_3791 Depth=2
                                        ; =>    This Inner Loop Header: Depth=3
	global_load_dwordx4 v[48:51], v[60:61], off glc slc
	global_load_dwordx4 v[32:35], v[60:61], off offset:1024 glc slc
	global_load_dwordx4 v[0:3], v[60:61], off offset:2048 glc slc
	global_load_dwordx4 v[12:15], v[60:61], off offset:3072 glc slc
	global_load_dwordx4 v[36:39], v[44:45], off glc slc
	global_load_dwordx4 v[24:27], v[44:45], off offset:1024 glc slc
	global_load_dwordx4 v[16:19], v[44:45], off offset:2048 glc slc
	;; [unrolled: 1-line block ×3, first 2 shown]
	v_mov_b32_e32 v6, 0
	v_mov_b32_e32 v7, 0
	s_waitcnt vmcnt(7)
	v_cmp_ne_u16_sdwa vcc, v48, v21 src0_sel:BYTE_0 src1_sel:DWORD
	s_and_saveexec_b64 s[28:29], vcc
	s_cbranch_execz .LBB6_3881
; %bb.3876:                             ;   in Loop: Header=BB6_3875 Depth=3
	v_cmp_ne_u16_sdwa vcc, v48, s80 src0_sel:BYTE_0 src1_sel:DWORD
	v_bfrev_b32_e32 v7, 1
	s_and_saveexec_b64 s[30:31], vcc
	s_cbranch_execz .LBB6_3880
; %bb.3877:                             ;   in Loop: Header=BB6_3875 Depth=3
	v_and_b32_e32 v20, 0x7f, v48
	v_cmp_ne_u32_e32 vcc, s81, v20
	v_mov_b32_e32 v7, 0x7f800001
	s_and_saveexec_b64 s[34:35], vcc
	s_cbranch_execz .LBB6_3879
; %bb.3878:                             ;   in Loop: Header=BB6_3875 Depth=3
	v_and_b32_e32 v7, 7, v48
	v_ffbh_u32_e32 v7, v7
	v_min_u32_e32 v7, 32, v7
	v_lshrrev_b32_e32 v22, 3, v20
	v_cmp_gt_u32_e32 vcc, 8, v20
	v_subrev_u32_e32 v20, 28, v7
	v_sub_u32_e32 v7, 29, v7
	v_cndmask_b32_e32 v20, 0, v20, vcc
	v_cndmask_b32_e32 v7, v22, v7, vcc
	v_lshlrev_b64 v[22:23], v20, v[48:49]
	v_bfrev_b32_e32 v23, 60
	v_lshlrev_b32_e32 v20, 20, v22
	v_lshlrev_b32_e32 v22, 24, v48
	v_and_b32_e32 v20, 0x700000, v20
	v_and_b32_e32 v22, 0x80000000, v22
	v_lshl_add_u32 v7, v7, 23, v23
	v_or3_b32 v7, v22, v7, v20
.LBB6_3879:                             ;   in Loop: Header=BB6_3875 Depth=3
	s_or_b64 exec, exec, s[34:35]
.LBB6_3880:                             ;   in Loop: Header=BB6_3875 Depth=3
	s_or_b64 exec, exec, s[30:31]
.LBB6_3881:                             ;   in Loop: Header=BB6_3875 Depth=3
	s_or_b64 exec, exec, s[28:29]
	s_waitcnt vmcnt(3)
	v_cmp_ne_u16_sdwa vcc, v36, v21 src0_sel:BYTE_0 src1_sel:DWORD
	s_and_saveexec_b64 s[28:29], vcc
	s_cbranch_execz .LBB6_3887
; %bb.3882:                             ;   in Loop: Header=BB6_3875 Depth=3
	v_cmp_ne_u16_sdwa vcc, v36, s80 src0_sel:BYTE_0 src1_sel:DWORD
	v_bfrev_b32_e32 v6, 1
	s_and_saveexec_b64 s[30:31], vcc
	s_cbranch_execz .LBB6_3886
; %bb.3883:                             ;   in Loop: Header=BB6_3875 Depth=3
	v_and_b32_e32 v20, 0x7f, v36
	v_cmp_ne_u32_e32 vcc, s81, v20
	v_mov_b32_e32 v6, 0x7f800001
	s_and_saveexec_b64 s[34:35], vcc
	s_cbranch_execz .LBB6_3885
; %bb.3884:                             ;   in Loop: Header=BB6_3875 Depth=3
	v_and_b32_e32 v6, 7, v36
	v_ffbh_u32_e32 v6, v6
	v_min_u32_e32 v6, 32, v6
	v_lshrrev_b32_e32 v22, 3, v20
	v_cmp_gt_u32_e32 vcc, 8, v20
	v_subrev_u32_e32 v20, 28, v6
	v_sub_u32_e32 v6, 29, v6
	v_cndmask_b32_e32 v20, 0, v20, vcc
	v_cndmask_b32_e32 v6, v22, v6, vcc
	v_lshlrev_b64 v[22:23], v20, v[36:37]
	v_bfrev_b32_e32 v23, 60
	v_lshlrev_b32_e32 v20, 20, v22
	v_lshlrev_b32_e32 v22, 24, v36
	v_and_b32_e32 v20, 0x700000, v20
	v_and_b32_e32 v22, 0x80000000, v22
	v_lshl_add_u32 v6, v6, 23, v23
	v_or3_b32 v6, v22, v6, v20
.LBB6_3885:                             ;   in Loop: Header=BB6_3875 Depth=3
	s_or_b64 exec, exec, s[34:35]
.LBB6_3886:                             ;   in Loop: Header=BB6_3875 Depth=3
	s_or_b64 exec, exec, s[30:31]
.LBB6_3887:                             ;   in Loop: Header=BB6_3875 Depth=3
	s_or_b64 exec, exec, s[28:29]
	v_mul_f32_e32 v6, v7, v6
	v_and_b32_e32 v20, 0x7f800000, v6
	v_cmp_ne_u64_e32 vcc, s[62:63], v[20:21]
                                        ; implicit-def: $vgpr7
                                        ; kill: killed $vgpr7
	s_and_saveexec_b64 s[28:29], vcc
	s_xor_b64 s[30:31], exec, s[28:29]
	s_cbranch_execz .LBB6_3901
; %bb.3888:                             ;   in Loop: Header=BB6_3875 Depth=3
	v_and_b32_e32 v20, 0x7fffffff, v6
	v_cmp_gt_u64_e32 vcc, s[78:79], v[20:21]
	v_and_b32_sdwa v28, v6, s80 dst_sel:DWORD dst_unused:UNUSED_PAD src0_sel:BYTE_3 src1_sel:DWORD
                                        ; implicit-def: $vgpr7
                                        ; kill: killed $vgpr7
	s_and_saveexec_b64 s[28:29], vcc
	s_xor_b64 s[34:35], exec, s[28:29]
	s_cbranch_execz .LBB6_3898
; %bb.3889:                             ;   in Loop: Header=BB6_3875 Depth=3
	v_mov_b32_e32 v7, 0
	v_cmp_ne_u32_e32 vcc, 0, v6
	buffer_store_dword v7, off, s[0:3], s33 offset:96 ; 4-byte Folded Spill
	s_and_saveexec_b64 s[36:37], vcc
	s_cbranch_execz .LBB6_3897
; %bb.3890:                             ;   in Loop: Header=BB6_3875 Depth=3
	v_bfe_u32 v29, v6, 23, 8
	v_and_b32_e32 v7, 0x7fffff, v6
	v_cmp_gt_u32_e64 s[28:29], s47, v29
	v_sub_u32_e32 v6, 0x79, v29
	v_cmp_eq_u32_e32 vcc, 0, v29
	v_cndmask_b32_e64 v6, 0, v6, s[28:29]
	v_mov_b32_e32 v22, 0x78
	v_cndmask_b32_e32 v30, v6, v22, vcc
	v_or_b32_e32 v20, 0x800000, v7
	v_add_u32_e32 v6, 20, v30
	v_cndmask_b32_e32 v20, v20, v7, vcc
	v_lshlrev_b64 v[6:7], v6, -1
	v_add_u32_e32 v22, 19, v30
	v_lshlrev_b64 v[22:23], v22, 1
	v_bfi_b32 v7, v7, 0, 0
	v_bfi_b32 v6, v6, 0, v20
	v_cmp_eq_u64_e64 s[28:29], v[6:7], v[22:23]
	v_lshrrev_b64 v[6:7], v30, v[20:21]
	v_mov_b32_e32 v23, v7
	v_mov_b32_e32 v22, v6
	s_and_saveexec_b64 s[38:39], s[28:29]
; %bb.3891:                             ;   in Loop: Header=BB6_3875 Depth=3
	v_bfe_u32 v7, v6, 20, 1
	v_add_co_u32_e64 v7, s[28:29], v6, v7
	v_add_co_u32_e64 v22, s[28:29], -1, v7
; %bb.3892:                             ;   in Loop: Header=BB6_3875 Depth=3
	s_or_b64 exec, exec, s[38:39]
	v_add_u32_e32 v7, 0xffffff81, v29
	v_mov_b32_e32 v20, 0xffffff82
	v_cndmask_b32_e32 v7, v7, v20, vcc
	v_lshrrev_b32_e32 v20, 23, v6
	v_add3_u32 v29, v30, v7, v20
	v_add_u32_e32 v23, 6, v29
	v_and_b32_e32 v7, 0xfffff, v22
	v_add_u32_e32 v20, v7, v6
	v_cmp_ne_u32_e32 vcc, 0, v23
                                        ; implicit-def: $vgpr6_vgpr7
                                        ; implicit-def: $vgpr22
	s_and_saveexec_b64 s[28:29], vcc
	s_xor_b64 s[28:29], exec, s[28:29]
; %bb.3893:                             ;   in Loop: Header=BB6_3875 Depth=3
	v_cmp_lt_u64_e32 vcc, s[88:89], v[20:21]
	v_add_u32_e32 v6, 7, v29
	v_cndmask_b32_e32 v22, v23, v6, vcc
	v_cndmask_b32_e64 v6, 0, 1, vcc
	v_lshrrev_b64 v[6:7], v6, v[20:21]
; %bb.3894:                             ;   in Loop: Header=BB6_3875 Depth=3
	s_andn2_saveexec_b64 s[28:29], s[28:29]
; %bb.3895:                             ;   in Loop: Header=BB6_3875 Depth=3
	v_mov_b32_e32 v6, v20
	v_bfe_u32 v22, v20, 23, 1
	v_mov_b32_e32 v7, v21
; %bb.3896:                             ;   in Loop: Header=BB6_3875 Depth=3
	s_or_b64 exec, exec, s[28:29]
	v_lshrrev_b64 v[6:7], 20, v[6:7]
	v_cmp_gt_i32_e32 vcc, 16, v22
	v_cndmask_b32_e32 v7, 0, v7, vcc
	v_cndmask_b32_e32 v6, 7, v6, vcc
	v_cmp_eq_u64_e64 s[28:29], 0, v[6:7]
	v_min_i32_e32 v7, 15, v22
	v_lshlrev_b32_e32 v7, 3, v7
	v_cmp_eq_u32_e32 vcc, 0, v22
	v_and_b32_e32 v7, 0xf8, v7
	v_and_or_b32 v6, v6, 7, v7
	s_and_b64 s[28:29], vcc, s[28:29]
	v_cndmask_b32_e64 v6, v6, 0, s[28:29]
	v_or_b32_e32 v6, v6, v28
	buffer_store_dword v6, off, s[0:3], s33 offset:96 ; 4-byte Folded Spill
.LBB6_3897:                             ;   in Loop: Header=BB6_3875 Depth=3
	s_or_b64 exec, exec, s[36:37]
                                        ; implicit-def: $vgpr28
.LBB6_3898:                             ;   in Loop: Header=BB6_3875 Depth=3
	s_andn2_saveexec_b64 s[28:29], s[34:35]
	s_cbranch_execz .LBB6_3900
; %bb.3899:                             ;   in Loop: Header=BB6_3875 Depth=3
	v_or_b32_e32 v6, 0x7e, v28
	buffer_store_dword v6, off, s[0:3], s33 offset:96 ; 4-byte Folded Spill
.LBB6_3900:                             ;   in Loop: Header=BB6_3875 Depth=3
	s_or_b64 exec, exec, s[28:29]
                                        ; implicit-def: $vgpr6
.LBB6_3901:                             ;   in Loop: Header=BB6_3875 Depth=3
	s_andn2_saveexec_b64 s[28:29], s[30:31]
	s_cbranch_execz .LBB6_3903
; %bb.3902:                             ;   in Loop: Header=BB6_3875 Depth=3
	v_or_b32_sdwa v6, v6, s81 dst_sel:DWORD dst_unused:UNUSED_PAD src0_sel:BYTE_3 src1_sel:DWORD
	buffer_store_dword v6, off, s[0:3], s33 offset:96 ; 4-byte Folded Spill
.LBB6_3903:                             ;   in Loop: Header=BB6_3875 Depth=3
	s_or_b64 exec, exec, s[28:29]
	v_lshrrev_b16_e32 v6, 8, v48
	v_cmp_ne_u16_e32 vcc, 0, v6
	v_mov_b32_e32 v7, 0
	v_mov_b32_e32 v20, 0
	s_and_saveexec_b64 s[28:29], vcc
	s_cbranch_execz .LBB6_3909
; %bb.3904:                             ;   in Loop: Header=BB6_3875 Depth=3
	v_cmp_ne_u16_e32 vcc, s80, v6
	v_bfrev_b32_e32 v20, 1
	s_and_saveexec_b64 s[30:31], vcc
	s_cbranch_execz .LBB6_3908
; %bb.3905:                             ;   in Loop: Header=BB6_3875 Depth=3
	v_and_b32_e32 v22, 0x7f, v6
	v_cmp_ne_u32_e32 vcc, s81, v22
	v_mov_b32_e32 v20, 0x7f800001
	s_and_saveexec_b64 s[34:35], vcc
	s_cbranch_execz .LBB6_3907
; %bb.3906:                             ;   in Loop: Header=BB6_3875 Depth=3
	v_and_b32_e32 v20, 7, v6
	v_lshrrev_b32_e32 v28, 3, v22
	v_cmp_gt_u32_e32 vcc, 8, v22
	v_ffbh_u32_e32 v22, v20
	v_min_u32_e32 v29, 32, v22
	v_subrev_u32_e32 v22, 28, v29
	v_lshlrev_b64 v[22:23], v22, v[6:7]
	v_sub_u32_e32 v6, 29, v29
	v_and_b32_e32 v22, 7, v22
	v_cndmask_b32_e32 v6, v28, v6, vcc
	v_cndmask_b32_e32 v20, v20, v22, vcc
	v_lshlrev_b32_e32 v22, 16, v48
	v_bfrev_b32_e32 v23, 60
	v_lshlrev_b32_e32 v20, 20, v20
	v_and_b32_e32 v22, 0x80000000, v22
	v_lshl_add_u32 v6, v6, 23, v23
	v_or3_b32 v20, v22, v6, v20
.LBB6_3907:                             ;   in Loop: Header=BB6_3875 Depth=3
	s_or_b64 exec, exec, s[34:35]
.LBB6_3908:                             ;   in Loop: Header=BB6_3875 Depth=3
	s_or_b64 exec, exec, s[30:31]
.LBB6_3909:                             ;   in Loop: Header=BB6_3875 Depth=3
	s_or_b64 exec, exec, s[28:29]
	v_lshrrev_b16_e32 v6, 8, v36
	v_cmp_ne_u16_e32 vcc, 0, v6
	s_and_saveexec_b64 s[28:29], vcc
	s_cbranch_execz .LBB6_3915
; %bb.3910:                             ;   in Loop: Header=BB6_3875 Depth=3
	v_cmp_ne_u16_e32 vcc, s80, v6
	v_bfrev_b32_e32 v7, 1
	s_and_saveexec_b64 s[30:31], vcc
	s_cbranch_execz .LBB6_3914
; %bb.3911:                             ;   in Loop: Header=BB6_3875 Depth=3
	v_and_b32_e32 v22, 0x7f, v6
	v_cmp_ne_u32_e32 vcc, s81, v22
	v_mov_b32_e32 v7, 0x7f800001
	s_and_saveexec_b64 s[34:35], vcc
	s_cbranch_execz .LBB6_3913
; %bb.3912:                             ;   in Loop: Header=BB6_3875 Depth=3
	v_and_b32_e32 v23, 7, v6
	v_ffbh_u32_e32 v7, v23
	v_lshrrev_b32_e32 v28, 3, v22
	v_cmp_gt_u32_e32 vcc, 8, v22
	v_min_u32_e32 v22, 32, v7
	v_subrev_u32_e32 v7, 28, v22
	v_lshlrev_b64 v[6:7], v7, v[6:7]
	v_sub_u32_e32 v7, 29, v22
	v_and_b32_e32 v6, 7, v6
	v_cndmask_b32_e32 v7, v28, v7, vcc
	v_cndmask_b32_e32 v6, v23, v6, vcc
	v_lshlrev_b32_e32 v22, 16, v36
	v_bfrev_b32_e32 v23, 60
	v_lshlrev_b32_e32 v6, 20, v6
	v_and_b32_e32 v22, 0x80000000, v22
	v_lshl_add_u32 v7, v7, 23, v23
	v_or3_b32 v7, v22, v7, v6
.LBB6_3913:                             ;   in Loop: Header=BB6_3875 Depth=3
	s_or_b64 exec, exec, s[34:35]
.LBB6_3914:                             ;   in Loop: Header=BB6_3875 Depth=3
	s_or_b64 exec, exec, s[30:31]
.LBB6_3915:                             ;   in Loop: Header=BB6_3875 Depth=3
	s_or_b64 exec, exec, s[28:29]
	v_mul_f32_e32 v6, v20, v7
	v_and_b32_e32 v20, 0x7f800000, v6
	v_cmp_ne_u64_e32 vcc, s[62:63], v[20:21]
                                        ; implicit-def: $vgpr7
                                        ; kill: killed $vgpr7
	s_and_saveexec_b64 s[28:29], vcc
	s_xor_b64 s[30:31], exec, s[28:29]
	s_cbranch_execz .LBB6_3929
; %bb.3916:                             ;   in Loop: Header=BB6_3875 Depth=3
	v_and_b32_e32 v20, 0x7fffffff, v6
	v_cmp_gt_u64_e32 vcc, s[78:79], v[20:21]
	v_and_b32_sdwa v28, v6, s80 dst_sel:DWORD dst_unused:UNUSED_PAD src0_sel:BYTE_3 src1_sel:DWORD
                                        ; implicit-def: $vgpr7
                                        ; kill: killed $vgpr7
	s_and_saveexec_b64 s[28:29], vcc
	s_xor_b64 s[34:35], exec, s[28:29]
	s_cbranch_execz .LBB6_3926
; %bb.3917:                             ;   in Loop: Header=BB6_3875 Depth=3
	v_mov_b32_e32 v7, 0
	v_cmp_ne_u32_e32 vcc, 0, v6
	buffer_store_dword v7, off, s[0:3], s33 offset:100 ; 4-byte Folded Spill
	s_and_saveexec_b64 s[36:37], vcc
	s_cbranch_execz .LBB6_3925
; %bb.3918:                             ;   in Loop: Header=BB6_3875 Depth=3
	v_bfe_u32 v29, v6, 23, 8
	v_and_b32_e32 v7, 0x7fffff, v6
	v_cmp_gt_u32_e64 s[28:29], s47, v29
	v_sub_u32_e32 v6, 0x79, v29
	v_cmp_eq_u32_e32 vcc, 0, v29
	v_cndmask_b32_e64 v6, 0, v6, s[28:29]
	v_mov_b32_e32 v22, 0x78
	v_cndmask_b32_e32 v30, v6, v22, vcc
	v_or_b32_e32 v20, 0x800000, v7
	v_add_u32_e32 v6, 20, v30
	v_cndmask_b32_e32 v20, v20, v7, vcc
	v_lshlrev_b64 v[6:7], v6, -1
	v_add_u32_e32 v22, 19, v30
	v_lshlrev_b64 v[22:23], v22, 1
	v_bfi_b32 v7, v7, 0, 0
	v_bfi_b32 v6, v6, 0, v20
	v_cmp_eq_u64_e64 s[28:29], v[6:7], v[22:23]
	v_lshrrev_b64 v[6:7], v30, v[20:21]
	v_mov_b32_e32 v23, v7
	v_mov_b32_e32 v22, v6
	s_and_saveexec_b64 s[38:39], s[28:29]
; %bb.3919:                             ;   in Loop: Header=BB6_3875 Depth=3
	v_bfe_u32 v7, v6, 20, 1
	v_add_co_u32_e64 v7, s[28:29], v6, v7
	v_add_co_u32_e64 v22, s[28:29], -1, v7
; %bb.3920:                             ;   in Loop: Header=BB6_3875 Depth=3
	s_or_b64 exec, exec, s[38:39]
	v_add_u32_e32 v7, 0xffffff81, v29
	v_mov_b32_e32 v20, 0xffffff82
	v_cndmask_b32_e32 v7, v7, v20, vcc
	v_lshrrev_b32_e32 v20, 23, v6
	v_add3_u32 v29, v30, v7, v20
	v_add_u32_e32 v23, 6, v29
	v_and_b32_e32 v7, 0xfffff, v22
	v_add_u32_e32 v20, v7, v6
	v_cmp_ne_u32_e32 vcc, 0, v23
                                        ; implicit-def: $vgpr6_vgpr7
                                        ; implicit-def: $vgpr22
	s_and_saveexec_b64 s[28:29], vcc
	s_xor_b64 s[28:29], exec, s[28:29]
; %bb.3921:                             ;   in Loop: Header=BB6_3875 Depth=3
	v_cmp_lt_u64_e32 vcc, s[88:89], v[20:21]
	v_add_u32_e32 v6, 7, v29
	v_cndmask_b32_e32 v22, v23, v6, vcc
	v_cndmask_b32_e64 v6, 0, 1, vcc
	v_lshrrev_b64 v[6:7], v6, v[20:21]
; %bb.3922:                             ;   in Loop: Header=BB6_3875 Depth=3
	s_andn2_saveexec_b64 s[28:29], s[28:29]
; %bb.3923:                             ;   in Loop: Header=BB6_3875 Depth=3
	v_mov_b32_e32 v6, v20
	v_bfe_u32 v22, v20, 23, 1
	v_mov_b32_e32 v7, v21
; %bb.3924:                             ;   in Loop: Header=BB6_3875 Depth=3
	s_or_b64 exec, exec, s[28:29]
	v_lshrrev_b64 v[6:7], 20, v[6:7]
	v_cmp_gt_i32_e32 vcc, 16, v22
	v_cndmask_b32_e32 v7, 0, v7, vcc
	v_cndmask_b32_e32 v6, 7, v6, vcc
	v_cmp_eq_u64_e64 s[28:29], 0, v[6:7]
	v_min_i32_e32 v7, 15, v22
	v_lshlrev_b32_e32 v7, 3, v7
	v_cmp_eq_u32_e32 vcc, 0, v22
	v_and_b32_e32 v7, 0xf8, v7
	v_and_or_b32 v6, v6, 7, v7
	s_and_b64 s[28:29], vcc, s[28:29]
	v_cndmask_b32_e64 v6, v6, 0, s[28:29]
	v_or_b32_e32 v6, v6, v28
	buffer_store_dword v6, off, s[0:3], s33 offset:100 ; 4-byte Folded Spill
.LBB6_3925:                             ;   in Loop: Header=BB6_3875 Depth=3
	s_or_b64 exec, exec, s[36:37]
                                        ; implicit-def: $vgpr28
.LBB6_3926:                             ;   in Loop: Header=BB6_3875 Depth=3
	s_andn2_saveexec_b64 s[28:29], s[34:35]
	s_cbranch_execz .LBB6_3928
; %bb.3927:                             ;   in Loop: Header=BB6_3875 Depth=3
	v_or_b32_e32 v6, 0x7e, v28
	buffer_store_dword v6, off, s[0:3], s33 offset:100 ; 4-byte Folded Spill
.LBB6_3928:                             ;   in Loop: Header=BB6_3875 Depth=3
	s_or_b64 exec, exec, s[28:29]
                                        ; implicit-def: $vgpr6
.LBB6_3929:                             ;   in Loop: Header=BB6_3875 Depth=3
	s_andn2_saveexec_b64 s[28:29], s[30:31]
	s_cbranch_execz .LBB6_3931
; %bb.3930:                             ;   in Loop: Header=BB6_3875 Depth=3
	v_or_b32_sdwa v6, v6, s81 dst_sel:DWORD dst_unused:UNUSED_PAD src0_sel:BYTE_3 src1_sel:DWORD
	buffer_store_dword v6, off, s[0:3], s33 offset:100 ; 4-byte Folded Spill
.LBB6_3931:                             ;   in Loop: Header=BB6_3875 Depth=3
	s_or_b64 exec, exec, s[28:29]
	v_lshrrev_b32_e32 v6, 16, v48
	v_cmp_ne_u16_sdwa vcc, v6, v21 src0_sel:BYTE_0 src1_sel:DWORD
	v_mov_b32_e32 v7, 0
	v_mov_b32_e32 v20, 0
	s_and_saveexec_b64 s[28:29], vcc
	s_cbranch_execz .LBB6_3937
; %bb.3932:                             ;   in Loop: Header=BB6_3875 Depth=3
	v_cmp_ne_u16_sdwa vcc, v6, s80 src0_sel:BYTE_0 src1_sel:DWORD
	v_bfrev_b32_e32 v20, 1
	s_and_saveexec_b64 s[30:31], vcc
	s_cbranch_execz .LBB6_3936
; %bb.3933:                             ;   in Loop: Header=BB6_3875 Depth=3
	v_bfe_u32 v22, v48, 16, 7
	v_cmp_ne_u32_e32 vcc, s81, v22
	v_mov_b32_e32 v20, 0x7f800001
	s_and_saveexec_b64 s[34:35], vcc
	s_cbranch_execz .LBB6_3935
; %bb.3934:                             ;   in Loop: Header=BB6_3875 Depth=3
	v_and_b32_e32 v20, 7, v6
	v_lshrrev_b32_e32 v28, 3, v22
	v_cmp_gt_u32_e32 vcc, 8, v22
	v_ffbh_u32_e32 v22, v20
	v_min_u32_e32 v29, 32, v22
	v_subrev_u32_e32 v22, 28, v29
	v_lshlrev_b64 v[22:23], v22, v[6:7]
	v_sub_u32_e32 v23, 29, v29
	v_and_b32_e32 v22, 7, v22
	v_cndmask_b32_e32 v23, v28, v23, vcc
	v_cndmask_b32_e32 v20, v20, v22, vcc
	v_lshlrev_b32_e32 v6, 24, v6
	v_bfrev_b32_e32 v22, 60
	v_lshlrev_b32_e32 v20, 20, v20
	v_and_b32_e32 v6, 0x80000000, v6
	v_lshl_add_u32 v22, v23, 23, v22
	v_or3_b32 v20, v6, v22, v20
.LBB6_3935:                             ;   in Loop: Header=BB6_3875 Depth=3
	s_or_b64 exec, exec, s[34:35]
.LBB6_3936:                             ;   in Loop: Header=BB6_3875 Depth=3
	s_or_b64 exec, exec, s[30:31]
.LBB6_3937:                             ;   in Loop: Header=BB6_3875 Depth=3
	s_or_b64 exec, exec, s[28:29]
	v_lshrrev_b32_e32 v6, 16, v36
	v_cmp_ne_u16_sdwa vcc, v6, v21 src0_sel:BYTE_0 src1_sel:DWORD
	s_and_saveexec_b64 s[28:29], vcc
	s_cbranch_execz .LBB6_3943
; %bb.3938:                             ;   in Loop: Header=BB6_3875 Depth=3
	v_cmp_ne_u16_sdwa vcc, v6, s80 src0_sel:BYTE_0 src1_sel:DWORD
	v_bfrev_b32_e32 v7, 1
	s_and_saveexec_b64 s[30:31], vcc
	s_cbranch_execz .LBB6_3942
; %bb.3939:                             ;   in Loop: Header=BB6_3875 Depth=3
	v_bfe_u32 v22, v36, 16, 7
	v_cmp_ne_u32_e32 vcc, s81, v22
	v_mov_b32_e32 v7, 0x7f800001
	s_and_saveexec_b64 s[34:35], vcc
	s_cbranch_execz .LBB6_3941
; %bb.3940:                             ;   in Loop: Header=BB6_3875 Depth=3
	v_and_b32_e32 v23, 7, v6
	v_ffbh_u32_e32 v7, v23
	v_lshrrev_b32_e32 v28, 3, v22
	v_cmp_gt_u32_e32 vcc, 8, v22
	v_min_u32_e32 v22, 32, v7
	v_subrev_u32_e32 v7, 28, v22
	v_lshlrev_b64 v[6:7], v7, v[6:7]
	v_sub_u32_e32 v7, 29, v22
	v_and_b32_e32 v6, 7, v6
	v_cndmask_b32_e32 v7, v28, v7, vcc
	v_cndmask_b32_e32 v6, v23, v6, vcc
	v_lshlrev_b32_e32 v22, 8, v36
	v_bfrev_b32_e32 v23, 60
	v_lshlrev_b32_e32 v6, 20, v6
	v_and_b32_e32 v22, 0x80000000, v22
	v_lshl_add_u32 v7, v7, 23, v23
	v_or3_b32 v7, v22, v7, v6
.LBB6_3941:                             ;   in Loop: Header=BB6_3875 Depth=3
	s_or_b64 exec, exec, s[34:35]
.LBB6_3942:                             ;   in Loop: Header=BB6_3875 Depth=3
	s_or_b64 exec, exec, s[30:31]
.LBB6_3943:                             ;   in Loop: Header=BB6_3875 Depth=3
	s_or_b64 exec, exec, s[28:29]
	v_mul_f32_e32 v6, v20, v7
	v_and_b32_e32 v20, 0x7f800000, v6
	v_cmp_ne_u64_e32 vcc, s[62:63], v[20:21]
                                        ; implicit-def: $vgpr7
                                        ; kill: killed $vgpr7
	s_and_saveexec_b64 s[28:29], vcc
	s_xor_b64 s[30:31], exec, s[28:29]
	s_cbranch_execz .LBB6_3957
; %bb.3944:                             ;   in Loop: Header=BB6_3875 Depth=3
	v_and_b32_e32 v20, 0x7fffffff, v6
	v_cmp_gt_u64_e32 vcc, s[78:79], v[20:21]
	v_and_b32_sdwa v28, v6, s80 dst_sel:DWORD dst_unused:UNUSED_PAD src0_sel:BYTE_3 src1_sel:DWORD
                                        ; implicit-def: $vgpr7
                                        ; kill: killed $vgpr7
	s_and_saveexec_b64 s[28:29], vcc
	s_xor_b64 s[34:35], exec, s[28:29]
	s_cbranch_execz .LBB6_3954
; %bb.3945:                             ;   in Loop: Header=BB6_3875 Depth=3
	v_mov_b32_e32 v7, 0
	v_cmp_ne_u32_e32 vcc, 0, v6
	buffer_store_dword v7, off, s[0:3], s33 offset:104 ; 4-byte Folded Spill
	s_and_saveexec_b64 s[36:37], vcc
	s_cbranch_execz .LBB6_3953
; %bb.3946:                             ;   in Loop: Header=BB6_3875 Depth=3
	v_bfe_u32 v29, v6, 23, 8
	v_and_b32_e32 v7, 0x7fffff, v6
	v_cmp_gt_u32_e64 s[28:29], s47, v29
	v_sub_u32_e32 v6, 0x79, v29
	v_cmp_eq_u32_e32 vcc, 0, v29
	v_cndmask_b32_e64 v6, 0, v6, s[28:29]
	v_mov_b32_e32 v22, 0x78
	v_cndmask_b32_e32 v30, v6, v22, vcc
	v_or_b32_e32 v20, 0x800000, v7
	v_add_u32_e32 v6, 20, v30
	v_cndmask_b32_e32 v20, v20, v7, vcc
	v_lshlrev_b64 v[6:7], v6, -1
	v_add_u32_e32 v22, 19, v30
	v_lshlrev_b64 v[22:23], v22, 1
	v_bfi_b32 v7, v7, 0, 0
	v_bfi_b32 v6, v6, 0, v20
	v_cmp_eq_u64_e64 s[28:29], v[6:7], v[22:23]
	v_lshrrev_b64 v[6:7], v30, v[20:21]
	v_mov_b32_e32 v23, v7
	v_mov_b32_e32 v22, v6
	s_and_saveexec_b64 s[38:39], s[28:29]
; %bb.3947:                             ;   in Loop: Header=BB6_3875 Depth=3
	v_bfe_u32 v7, v6, 20, 1
	v_add_co_u32_e64 v7, s[28:29], v6, v7
	v_add_co_u32_e64 v22, s[28:29], -1, v7
; %bb.3948:                             ;   in Loop: Header=BB6_3875 Depth=3
	s_or_b64 exec, exec, s[38:39]
	v_add_u32_e32 v7, 0xffffff81, v29
	v_mov_b32_e32 v20, 0xffffff82
	v_cndmask_b32_e32 v7, v7, v20, vcc
	v_lshrrev_b32_e32 v20, 23, v6
	v_add3_u32 v29, v30, v7, v20
	v_add_u32_e32 v23, 6, v29
	v_and_b32_e32 v7, 0xfffff, v22
	v_add_u32_e32 v20, v7, v6
	v_cmp_ne_u32_e32 vcc, 0, v23
                                        ; implicit-def: $vgpr6_vgpr7
                                        ; implicit-def: $vgpr22
	s_and_saveexec_b64 s[28:29], vcc
	s_xor_b64 s[28:29], exec, s[28:29]
; %bb.3949:                             ;   in Loop: Header=BB6_3875 Depth=3
	v_cmp_lt_u64_e32 vcc, s[88:89], v[20:21]
	v_add_u32_e32 v6, 7, v29
	v_cndmask_b32_e32 v22, v23, v6, vcc
	v_cndmask_b32_e64 v6, 0, 1, vcc
	v_lshrrev_b64 v[6:7], v6, v[20:21]
; %bb.3950:                             ;   in Loop: Header=BB6_3875 Depth=3
	s_andn2_saveexec_b64 s[28:29], s[28:29]
; %bb.3951:                             ;   in Loop: Header=BB6_3875 Depth=3
	v_mov_b32_e32 v6, v20
	v_bfe_u32 v22, v20, 23, 1
	v_mov_b32_e32 v7, v21
; %bb.3952:                             ;   in Loop: Header=BB6_3875 Depth=3
	s_or_b64 exec, exec, s[28:29]
	v_lshrrev_b64 v[6:7], 20, v[6:7]
	v_cmp_gt_i32_e32 vcc, 16, v22
	v_cndmask_b32_e32 v7, 0, v7, vcc
	v_cndmask_b32_e32 v6, 7, v6, vcc
	v_cmp_eq_u64_e64 s[28:29], 0, v[6:7]
	v_min_i32_e32 v7, 15, v22
	v_lshlrev_b32_e32 v7, 3, v7
	v_cmp_eq_u32_e32 vcc, 0, v22
	v_and_b32_e32 v7, 0xf8, v7
	v_and_or_b32 v6, v6, 7, v7
	s_and_b64 s[28:29], vcc, s[28:29]
	v_cndmask_b32_e64 v6, v6, 0, s[28:29]
	v_or_b32_e32 v6, v6, v28
	buffer_store_dword v6, off, s[0:3], s33 offset:104 ; 4-byte Folded Spill
.LBB6_3953:                             ;   in Loop: Header=BB6_3875 Depth=3
	s_or_b64 exec, exec, s[36:37]
                                        ; implicit-def: $vgpr28
.LBB6_3954:                             ;   in Loop: Header=BB6_3875 Depth=3
	s_andn2_saveexec_b64 s[28:29], s[34:35]
	s_cbranch_execz .LBB6_3956
; %bb.3955:                             ;   in Loop: Header=BB6_3875 Depth=3
	v_or_b32_e32 v6, 0x7e, v28
	buffer_store_dword v6, off, s[0:3], s33 offset:104 ; 4-byte Folded Spill
.LBB6_3956:                             ;   in Loop: Header=BB6_3875 Depth=3
	s_or_b64 exec, exec, s[28:29]
                                        ; implicit-def: $vgpr6
.LBB6_3957:                             ;   in Loop: Header=BB6_3875 Depth=3
	s_andn2_saveexec_b64 s[28:29], s[30:31]
	s_cbranch_execz .LBB6_3959
; %bb.3958:                             ;   in Loop: Header=BB6_3875 Depth=3
	v_or_b32_sdwa v6, v6, s81 dst_sel:DWORD dst_unused:UNUSED_PAD src0_sel:BYTE_3 src1_sel:DWORD
	buffer_store_dword v6, off, s[0:3], s33 offset:104 ; 4-byte Folded Spill
.LBB6_3959:                             ;   in Loop: Header=BB6_3875 Depth=3
	s_or_b64 exec, exec, s[28:29]
	v_cmp_lt_u32_e32 vcc, s57, v48
	v_mov_b32_e32 v7, 0
	v_mov_b32_e32 v20, 0
	s_and_saveexec_b64 s[28:29], vcc
	s_cbranch_execz .LBB6_3965
; %bb.3960:                             ;   in Loop: Header=BB6_3875 Depth=3
	v_lshrrev_b32_e32 v6, 24, v48
	v_cmp_ne_u32_e32 vcc, s80, v6
	v_bfrev_b32_e32 v20, 1
	s_and_saveexec_b64 s[30:31], vcc
	s_cbranch_execz .LBB6_3964
; %bb.3961:                             ;   in Loop: Header=BB6_3875 Depth=3
	v_bfe_u32 v22, v48, 24, 7
	v_cmp_ne_u32_e32 vcc, s81, v22
	v_mov_b32_e32 v20, 0x7f800001
	s_and_saveexec_b64 s[34:35], vcc
	s_cbranch_execz .LBB6_3963
; %bb.3962:                             ;   in Loop: Header=BB6_3875 Depth=3
	v_and_b32_e32 v20, 7, v6
	v_lshrrev_b32_e32 v28, 3, v22
	v_cmp_gt_u32_e32 vcc, 8, v22
	v_ffbh_u32_e32 v22, v20
	v_min_u32_e32 v29, 32, v22
	v_subrev_u32_e32 v22, 28, v29
	v_lshlrev_b64 v[22:23], v22, v[6:7]
	v_sub_u32_e32 v23, 29, v29
	v_and_b32_e32 v22, 7, v22
	v_cndmask_b32_e32 v23, v28, v23, vcc
	v_cndmask_b32_e32 v20, v20, v22, vcc
	v_lshlrev_b32_e32 v6, 24, v6
	v_bfrev_b32_e32 v22, 60
	v_lshlrev_b32_e32 v20, 20, v20
	v_and_b32_e32 v6, 0x80000000, v6
	v_lshl_add_u32 v22, v23, 23, v22
	v_or3_b32 v20, v6, v22, v20
.LBB6_3963:                             ;   in Loop: Header=BB6_3875 Depth=3
	s_or_b64 exec, exec, s[34:35]
.LBB6_3964:                             ;   in Loop: Header=BB6_3875 Depth=3
	s_or_b64 exec, exec, s[30:31]
.LBB6_3965:                             ;   in Loop: Header=BB6_3875 Depth=3
	s_or_b64 exec, exec, s[28:29]
	v_cmp_lt_u32_e32 vcc, s57, v36
	s_and_saveexec_b64 s[28:29], vcc
	s_cbranch_execz .LBB6_3971
; %bb.3966:                             ;   in Loop: Header=BB6_3875 Depth=3
	v_lshrrev_b32_e32 v6, 24, v36
	v_cmp_ne_u32_e32 vcc, s80, v6
	v_bfrev_b32_e32 v7, 1
	s_and_saveexec_b64 s[30:31], vcc
	s_cbranch_execz .LBB6_3970
; %bb.3967:                             ;   in Loop: Header=BB6_3875 Depth=3
	v_bfe_u32 v22, v36, 24, 7
	v_cmp_ne_u32_e32 vcc, s81, v22
	v_mov_b32_e32 v7, 0x7f800001
	s_and_saveexec_b64 s[34:35], vcc
	s_cbranch_execz .LBB6_3969
; %bb.3968:                             ;   in Loop: Header=BB6_3875 Depth=3
	v_and_b32_e32 v7, 7, v6
	v_lshrrev_b32_e32 v28, 3, v22
	v_cmp_gt_u32_e32 vcc, 8, v22
	v_ffbh_u32_e32 v22, v7
	v_min_u32_e32 v29, 32, v22
	v_subrev_u32_e32 v22, 28, v29
	v_lshlrev_b64 v[22:23], v22, v[6:7]
	v_sub_u32_e32 v23, 29, v29
	v_and_b32_e32 v22, 7, v22
	v_cndmask_b32_e32 v23, v28, v23, vcc
	v_cndmask_b32_e32 v7, v7, v22, vcc
	v_lshlrev_b32_e32 v6, 24, v6
	v_bfrev_b32_e32 v22, 60
	v_lshlrev_b32_e32 v7, 20, v7
	v_and_b32_e32 v6, 0x80000000, v6
	v_lshl_add_u32 v22, v23, 23, v22
	v_or3_b32 v7, v6, v22, v7
.LBB6_3969:                             ;   in Loop: Header=BB6_3875 Depth=3
	s_or_b64 exec, exec, s[34:35]
.LBB6_3970:                             ;   in Loop: Header=BB6_3875 Depth=3
	s_or_b64 exec, exec, s[30:31]
.LBB6_3971:                             ;   in Loop: Header=BB6_3875 Depth=3
	s_or_b64 exec, exec, s[28:29]
	v_mul_f32_e32 v6, v20, v7
	v_and_b32_e32 v20, 0x7f800000, v6
	v_cmp_ne_u64_e32 vcc, s[62:63], v[20:21]
                                        ; implicit-def: $vgpr7
                                        ; kill: killed $vgpr7
	s_and_saveexec_b64 s[28:29], vcc
	s_xor_b64 s[30:31], exec, s[28:29]
	s_cbranch_execz .LBB6_3985
; %bb.3972:                             ;   in Loop: Header=BB6_3875 Depth=3
	v_and_b32_e32 v20, 0x7fffffff, v6
	v_cmp_gt_u64_e32 vcc, s[78:79], v[20:21]
	v_and_b32_sdwa v28, v6, s80 dst_sel:DWORD dst_unused:UNUSED_PAD src0_sel:BYTE_3 src1_sel:DWORD
                                        ; implicit-def: $vgpr7
                                        ; kill: killed $vgpr7
	s_and_saveexec_b64 s[28:29], vcc
	s_xor_b64 s[34:35], exec, s[28:29]
	s_cbranch_execz .LBB6_3982
; %bb.3973:                             ;   in Loop: Header=BB6_3875 Depth=3
	v_mov_b32_e32 v7, 0
	v_cmp_ne_u32_e32 vcc, 0, v6
	buffer_store_dword v7, off, s[0:3], s33 offset:108 ; 4-byte Folded Spill
	s_and_saveexec_b64 s[36:37], vcc
	s_cbranch_execz .LBB6_3981
; %bb.3974:                             ;   in Loop: Header=BB6_3875 Depth=3
	v_bfe_u32 v29, v6, 23, 8
	v_and_b32_e32 v7, 0x7fffff, v6
	v_cmp_gt_u32_e64 s[28:29], s47, v29
	v_sub_u32_e32 v6, 0x79, v29
	v_cmp_eq_u32_e32 vcc, 0, v29
	v_cndmask_b32_e64 v6, 0, v6, s[28:29]
	v_mov_b32_e32 v22, 0x78
	v_cndmask_b32_e32 v30, v6, v22, vcc
	v_or_b32_e32 v20, 0x800000, v7
	v_add_u32_e32 v6, 20, v30
	v_cndmask_b32_e32 v20, v20, v7, vcc
	v_lshlrev_b64 v[6:7], v6, -1
	v_add_u32_e32 v22, 19, v30
	v_lshlrev_b64 v[22:23], v22, 1
	v_bfi_b32 v7, v7, 0, 0
	v_bfi_b32 v6, v6, 0, v20
	v_cmp_eq_u64_e64 s[28:29], v[6:7], v[22:23]
	v_lshrrev_b64 v[6:7], v30, v[20:21]
	v_mov_b32_e32 v23, v7
	v_mov_b32_e32 v22, v6
	s_and_saveexec_b64 s[38:39], s[28:29]
; %bb.3975:                             ;   in Loop: Header=BB6_3875 Depth=3
	v_bfe_u32 v7, v6, 20, 1
	v_add_co_u32_e64 v7, s[28:29], v6, v7
	v_add_co_u32_e64 v22, s[28:29], -1, v7
; %bb.3976:                             ;   in Loop: Header=BB6_3875 Depth=3
	s_or_b64 exec, exec, s[38:39]
	v_add_u32_e32 v7, 0xffffff81, v29
	v_mov_b32_e32 v20, 0xffffff82
	v_cndmask_b32_e32 v7, v7, v20, vcc
	v_lshrrev_b32_e32 v20, 23, v6
	v_add3_u32 v29, v30, v7, v20
	v_add_u32_e32 v23, 6, v29
	v_and_b32_e32 v7, 0xfffff, v22
	v_add_u32_e32 v20, v7, v6
	v_cmp_ne_u32_e32 vcc, 0, v23
                                        ; implicit-def: $vgpr6_vgpr7
                                        ; implicit-def: $vgpr22
	s_and_saveexec_b64 s[28:29], vcc
	s_xor_b64 s[28:29], exec, s[28:29]
; %bb.3977:                             ;   in Loop: Header=BB6_3875 Depth=3
	v_cmp_lt_u64_e32 vcc, s[88:89], v[20:21]
	v_add_u32_e32 v6, 7, v29
	v_cndmask_b32_e32 v22, v23, v6, vcc
	v_cndmask_b32_e64 v6, 0, 1, vcc
	v_lshrrev_b64 v[6:7], v6, v[20:21]
; %bb.3978:                             ;   in Loop: Header=BB6_3875 Depth=3
	s_andn2_saveexec_b64 s[28:29], s[28:29]
; %bb.3979:                             ;   in Loop: Header=BB6_3875 Depth=3
	v_mov_b32_e32 v6, v20
	v_bfe_u32 v22, v20, 23, 1
	v_mov_b32_e32 v7, v21
; %bb.3980:                             ;   in Loop: Header=BB6_3875 Depth=3
	s_or_b64 exec, exec, s[28:29]
	v_lshrrev_b64 v[6:7], 20, v[6:7]
	v_cmp_gt_i32_e32 vcc, 16, v22
	v_cndmask_b32_e32 v7, 0, v7, vcc
	v_cndmask_b32_e32 v6, 7, v6, vcc
	v_cmp_eq_u64_e64 s[28:29], 0, v[6:7]
	v_min_i32_e32 v7, 15, v22
	v_lshlrev_b32_e32 v7, 3, v7
	v_cmp_eq_u32_e32 vcc, 0, v22
	v_and_b32_e32 v7, 0xf8, v7
	v_and_or_b32 v6, v6, 7, v7
	s_and_b64 s[28:29], vcc, s[28:29]
	v_cndmask_b32_e64 v6, v6, 0, s[28:29]
	v_or_b32_e32 v6, v6, v28
	buffer_store_dword v6, off, s[0:3], s33 offset:108 ; 4-byte Folded Spill
.LBB6_3981:                             ;   in Loop: Header=BB6_3875 Depth=3
	s_or_b64 exec, exec, s[36:37]
                                        ; implicit-def: $vgpr28
.LBB6_3982:                             ;   in Loop: Header=BB6_3875 Depth=3
	s_andn2_saveexec_b64 s[28:29], s[34:35]
	s_cbranch_execz .LBB6_3984
; %bb.3983:                             ;   in Loop: Header=BB6_3875 Depth=3
	v_or_b32_e32 v6, 0x7e, v28
	buffer_store_dword v6, off, s[0:3], s33 offset:108 ; 4-byte Folded Spill
.LBB6_3984:                             ;   in Loop: Header=BB6_3875 Depth=3
	s_or_b64 exec, exec, s[28:29]
                                        ; implicit-def: $vgpr6
.LBB6_3985:                             ;   in Loop: Header=BB6_3875 Depth=3
	s_andn2_saveexec_b64 s[28:29], s[30:31]
	s_cbranch_execz .LBB6_3987
; %bb.3986:                             ;   in Loop: Header=BB6_3875 Depth=3
	v_or_b32_sdwa v6, v6, s81 dst_sel:DWORD dst_unused:UNUSED_PAD src0_sel:BYTE_3 src1_sel:DWORD
	buffer_store_dword v6, off, s[0:3], s33 offset:108 ; 4-byte Folded Spill
.LBB6_3987:                             ;   in Loop: Header=BB6_3875 Depth=3
	s_or_b64 exec, exec, s[28:29]
	v_mov_b32_e32 v20, v49
	v_cmp_ne_u16_sdwa vcc, v49, v21 src0_sel:BYTE_0 src1_sel:DWORD
	v_mov_b32_e32 v7, 0
	v_mov_b32_e32 v6, 0
	s_and_saveexec_b64 s[28:29], vcc
	s_cbranch_execz .LBB6_3993
; %bb.3988:                             ;   in Loop: Header=BB6_3875 Depth=3
	v_cmp_ne_u16_sdwa vcc, v49, s80 src0_sel:BYTE_0 src1_sel:DWORD
	v_bfrev_b32_e32 v6, 1
	s_and_saveexec_b64 s[30:31], vcc
	s_cbranch_execz .LBB6_3992
; %bb.3989:                             ;   in Loop: Header=BB6_3875 Depth=3
	v_and_b32_e32 v22, 0x7f, v49
	v_cmp_ne_u32_e32 vcc, s81, v22
	v_mov_b32_e32 v6, 0x7f800001
	s_and_saveexec_b64 s[34:35], vcc
	s_cbranch_execz .LBB6_3991
; %bb.3990:                             ;   in Loop: Header=BB6_3875 Depth=3
	v_and_b32_e32 v6, 7, v49
	v_ffbh_u32_e32 v6, v6
	v_min_u32_e32 v6, 32, v6
	v_lshrrev_b32_e32 v23, 3, v22
	v_cmp_gt_u32_e32 vcc, 8, v22
	v_subrev_u32_e32 v22, 28, v6
	v_sub_u32_e32 v6, 29, v6
	v_cndmask_b32_e32 v22, 0, v22, vcc
	v_cndmask_b32_e32 v6, v23, v6, vcc
	v_lshlrev_b64 v[22:23], v22, v[20:21]
	v_lshlrev_b32_e32 v23, 24, v20
	v_lshlrev_b32_e32 v22, 20, v22
	v_bfrev_b32_e32 v28, 60
	v_and_b32_e32 v22, 0x700000, v22
	v_and_b32_e32 v23, 0x80000000, v23
	v_lshl_add_u32 v6, v6, 23, v28
	v_or3_b32 v6, v23, v6, v22
.LBB6_3991:                             ;   in Loop: Header=BB6_3875 Depth=3
	s_or_b64 exec, exec, s[34:35]
.LBB6_3992:                             ;   in Loop: Header=BB6_3875 Depth=3
	s_or_b64 exec, exec, s[30:31]
.LBB6_3993:                             ;   in Loop: Header=BB6_3875 Depth=3
	s_or_b64 exec, exec, s[28:29]
	v_cmp_ne_u16_sdwa vcc, v37, v21 src0_sel:BYTE_0 src1_sel:DWORD
	s_and_saveexec_b64 s[28:29], vcc
	s_cbranch_execz .LBB6_3999
; %bb.3994:                             ;   in Loop: Header=BB6_3875 Depth=3
	v_cmp_ne_u16_sdwa vcc, v37, s80 src0_sel:BYTE_0 src1_sel:DWORD
	v_bfrev_b32_e32 v7, 1
	s_and_saveexec_b64 s[30:31], vcc
	s_cbranch_execz .LBB6_3998
; %bb.3995:                             ;   in Loop: Header=BB6_3875 Depth=3
	v_and_b32_e32 v22, 0x7f, v37
	v_cmp_ne_u32_e32 vcc, s81, v22
	v_mov_b32_e32 v7, 0x7f800001
	s_and_saveexec_b64 s[34:35], vcc
	s_cbranch_execz .LBB6_3997
; %bb.3996:                             ;   in Loop: Header=BB6_3875 Depth=3
	v_and_b32_e32 v7, 7, v37
	v_ffbh_u32_e32 v7, v7
	v_min_u32_e32 v7, 32, v7
	v_lshrrev_b32_e32 v23, 3, v22
	v_cmp_gt_u32_e32 vcc, 8, v22
	v_subrev_u32_e32 v22, 28, v7
	v_mov_b32_e32 v28, v37
	v_mov_b32_e32 v29, v21
	v_sub_u32_e32 v7, 29, v7
	v_cndmask_b32_e32 v22, 0, v22, vcc
	v_cndmask_b32_e32 v7, v23, v7, vcc
	v_lshlrev_b64 v[22:23], v22, v[28:29]
	v_lshlrev_b32_e32 v23, 24, v28
	v_lshlrev_b32_e32 v22, 20, v22
	v_bfrev_b32_e32 v28, 60
	v_and_b32_e32 v22, 0x700000, v22
	v_and_b32_e32 v23, 0x80000000, v23
	v_lshl_add_u32 v7, v7, 23, v28
	v_or3_b32 v7, v23, v7, v22
.LBB6_3997:                             ;   in Loop: Header=BB6_3875 Depth=3
	s_or_b64 exec, exec, s[34:35]
.LBB6_3998:                             ;   in Loop: Header=BB6_3875 Depth=3
	s_or_b64 exec, exec, s[30:31]
.LBB6_3999:                             ;   in Loop: Header=BB6_3875 Depth=3
	s_or_b64 exec, exec, s[28:29]
	v_mul_f32_e32 v6, v6, v7
	v_and_b32_e32 v22, 0x7f800000, v6
	v_mov_b32_e32 v23, v21
	v_cmp_ne_u64_e32 vcc, s[62:63], v[22:23]
                                        ; implicit-def: $vgpr53
	s_and_saveexec_b64 s[28:29], vcc
	s_xor_b64 s[30:31], exec, s[28:29]
	s_cbranch_execz .LBB6_4013
; %bb.4000:                             ;   in Loop: Header=BB6_3875 Depth=3
	v_and_b32_e32 v22, 0x7fffffff, v6
	v_mov_b32_e32 v23, v21
	v_cmp_gt_u64_e32 vcc, s[78:79], v[22:23]
	v_and_b32_sdwa v28, v6, s80 dst_sel:DWORD dst_unused:UNUSED_PAD src0_sel:BYTE_3 src1_sel:DWORD
                                        ; implicit-def: $vgpr53
	s_and_saveexec_b64 s[28:29], vcc
	s_xor_b64 s[34:35], exec, s[28:29]
	s_cbranch_execz .LBB6_4010
; %bb.4001:                             ;   in Loop: Header=BB6_3875 Depth=3
	v_mov_b32_e32 v53, 0
	v_cmp_ne_u32_e32 vcc, 0, v6
	s_and_saveexec_b64 s[36:37], vcc
	s_cbranch_execz .LBB6_4009
; %bb.4002:                             ;   in Loop: Header=BB6_3875 Depth=3
	v_bfe_u32 v29, v6, 23, 8
	v_and_b32_e32 v7, 0x7fffff, v6
	v_cmp_gt_u32_e64 s[28:29], s47, v29
	v_sub_u32_e32 v6, 0x79, v29
	v_cmp_eq_u32_e32 vcc, 0, v29
	v_cndmask_b32_e64 v6, 0, v6, s[28:29]
	v_mov_b32_e32 v23, 0x78
	v_or_b32_e32 v22, 0x800000, v7
	v_cndmask_b32_e32 v30, v6, v23, vcc
	v_cndmask_b32_e32 v6, v22, v7, vcc
	v_add_u32_e32 v22, 20, v30
	v_lshlrev_b64 v[22:23], v22, -1
	v_mov_b32_e32 v7, v21
	v_add_u32_e32 v52, 19, v30
	v_bfi_b32 v22, v22, 0, v6
	v_lshlrev_b64 v[52:53], v52, 1
	v_lshrrev_b64 v[6:7], v30, v[6:7]
	v_bfi_b32 v23, v23, 0, 0
	v_cmp_eq_u64_e64 s[28:29], v[22:23], v[52:53]
	v_mov_b32_e32 v23, v7
	v_mov_b32_e32 v22, v6
	s_and_saveexec_b64 s[38:39], s[28:29]
; %bb.4003:                             ;   in Loop: Header=BB6_3875 Depth=3
	v_bfe_u32 v7, v6, 20, 1
	v_add_co_u32_e64 v7, s[28:29], v6, v7
	v_add_co_u32_e64 v22, s[28:29], -1, v7
; %bb.4004:                             ;   in Loop: Header=BB6_3875 Depth=3
	s_or_b64 exec, exec, s[38:39]
	v_add_u32_e32 v7, 0xffffff81, v29
	v_mov_b32_e32 v23, 0xffffff82
	v_cndmask_b32_e32 v7, v7, v23, vcc
	v_lshrrev_b32_e32 v23, 23, v6
	v_add3_u32 v23, v30, v7, v23
	v_add_u32_e32 v7, 6, v23
	v_and_b32_e32 v22, 0xfffff, v22
	v_add_u32_e32 v52, v22, v6
	v_mov_b32_e32 v53, v21
	v_cmp_ne_u32_e32 vcc, 0, v7
                                        ; implicit-def: $vgpr6
	s_and_saveexec_b64 s[28:29], vcc
	s_xor_b64 s[28:29], exec, s[28:29]
; %bb.4005:                             ;   in Loop: Header=BB6_3875 Depth=3
	v_cmp_lt_u64_e32 vcc, s[88:89], v[52:53]
	v_add_u32_e32 v6, 7, v23
	v_cndmask_b32_e32 v6, v7, v6, vcc
	v_cndmask_b32_e64 v7, 0, 1, vcc
	v_lshrrev_b64 v[52:53], v7, v[52:53]
; %bb.4006:                             ;   in Loop: Header=BB6_3875 Depth=3
	s_andn2_saveexec_b64 s[28:29], s[28:29]
; %bb.4007:                             ;   in Loop: Header=BB6_3875 Depth=3
	v_bfe_u32 v6, v52, 23, 1
; %bb.4008:                             ;   in Loop: Header=BB6_3875 Depth=3
	s_or_b64 exec, exec, s[28:29]
	v_lshrrev_b64 v[22:23], 20, v[52:53]
	v_cmp_gt_i32_e32 vcc, 16, v6
	v_cndmask_b32_e32 v23, 0, v23, vcc
	v_cndmask_b32_e32 v22, 7, v22, vcc
	v_cmp_eq_u32_e32 vcc, 0, v6
	v_min_i32_e32 v6, 15, v6
	v_cmp_eq_u64_e64 s[28:29], 0, v[22:23]
	v_lshlrev_b32_e32 v6, 3, v6
	v_and_b32_e32 v6, 0xf8, v6
	v_and_or_b32 v6, v22, 7, v6
	s_and_b64 s[28:29], vcc, s[28:29]
	v_cndmask_b32_e64 v6, v6, 0, s[28:29]
	v_or_b32_e32 v53, v6, v28
.LBB6_4009:                             ;   in Loop: Header=BB6_3875 Depth=3
	s_or_b64 exec, exec, s[36:37]
                                        ; implicit-def: $vgpr28
.LBB6_4010:                             ;   in Loop: Header=BB6_3875 Depth=3
	s_andn2_saveexec_b64 s[28:29], s[34:35]
; %bb.4011:                             ;   in Loop: Header=BB6_3875 Depth=3
	v_or_b32_e32 v53, 0x7e, v28
; %bb.4012:                             ;   in Loop: Header=BB6_3875 Depth=3
	s_or_b64 exec, exec, s[28:29]
                                        ; implicit-def: $vgpr6
.LBB6_4013:                             ;   in Loop: Header=BB6_3875 Depth=3
	s_andn2_saveexec_b64 s[28:29], s[30:31]
; %bb.4014:                             ;   in Loop: Header=BB6_3875 Depth=3
	v_or_b32_sdwa v53, v6, s81 dst_sel:DWORD dst_unused:UNUSED_PAD src0_sel:BYTE_3 src1_sel:DWORD
; %bb.4015:                             ;   in Loop: Header=BB6_3875 Depth=3
	s_or_b64 exec, exec, s[28:29]
	v_lshrrev_b16_e32 v6, 8, v20
	v_cmp_ne_u16_e32 vcc, 0, v6
	v_mov_b32_e32 v7, 0
	v_mov_b32_e32 v22, 0
	s_and_saveexec_b64 s[28:29], vcc
	s_cbranch_execz .LBB6_4021
; %bb.4016:                             ;   in Loop: Header=BB6_3875 Depth=3
	v_cmp_ne_u16_e32 vcc, s80, v6
	v_bfrev_b32_e32 v22, 1
	s_and_saveexec_b64 s[30:31], vcc
	s_cbranch_execz .LBB6_4020
; %bb.4017:                             ;   in Loop: Header=BB6_3875 Depth=3
	v_and_b32_e32 v23, 0x7f, v6
	v_cmp_ne_u32_e32 vcc, s81, v23
	v_mov_b32_e32 v22, 0x7f800001
	s_and_saveexec_b64 s[34:35], vcc
	s_cbranch_execz .LBB6_4019
; %bb.4018:                             ;   in Loop: Header=BB6_3875 Depth=3
	v_and_b32_e32 v28, 7, v6
	v_ffbh_u32_e32 v22, v28
	v_min_u32_e32 v30, 32, v22
	v_subrev_u32_e32 v22, 28, v30
	v_lshrrev_b32_e32 v29, 3, v23
	v_cmp_gt_u32_e32 vcc, 8, v23
	v_lshlrev_b64 v[22:23], v22, v[6:7]
	v_sub_u32_e32 v6, 29, v30
	v_and_b32_e32 v22, 7, v22
	v_cndmask_b32_e32 v6, v29, v6, vcc
	v_cndmask_b32_e32 v22, v28, v22, vcc
	v_lshlrev_b32_e32 v20, 16, v20
	v_bfrev_b32_e32 v23, 60
	v_lshlrev_b32_e32 v22, 20, v22
	v_and_b32_e32 v20, 0x80000000, v20
	v_lshl_add_u32 v6, v6, 23, v23
	v_or3_b32 v22, v20, v6, v22
.LBB6_4019:                             ;   in Loop: Header=BB6_3875 Depth=3
	s_or_b64 exec, exec, s[34:35]
.LBB6_4020:                             ;   in Loop: Header=BB6_3875 Depth=3
	s_or_b64 exec, exec, s[30:31]
.LBB6_4021:                             ;   in Loop: Header=BB6_3875 Depth=3
	s_or_b64 exec, exec, s[28:29]
	v_lshrrev_b16_e32 v6, 8, v37
	v_cmp_ne_u16_e32 vcc, 0, v6
	s_and_saveexec_b64 s[28:29], vcc
	s_cbranch_execz .LBB6_4027
; %bb.4022:                             ;   in Loop: Header=BB6_3875 Depth=3
	v_cmp_ne_u16_e32 vcc, s80, v6
	v_bfrev_b32_e32 v7, 1
	s_and_saveexec_b64 s[30:31], vcc
	s_cbranch_execz .LBB6_4026
; %bb.4023:                             ;   in Loop: Header=BB6_3875 Depth=3
	v_and_b32_e32 v20, 0x7f, v6
	v_cmp_ne_u32_e32 vcc, s81, v20
	v_mov_b32_e32 v7, 0x7f800001
	s_and_saveexec_b64 s[34:35], vcc
	s_cbranch_execz .LBB6_4025
; %bb.4024:                             ;   in Loop: Header=BB6_3875 Depth=3
	v_and_b32_e32 v23, 7, v6
	v_ffbh_u32_e32 v7, v23
	v_lshrrev_b32_e32 v28, 3, v20
	v_cmp_gt_u32_e32 vcc, 8, v20
	v_min_u32_e32 v20, 32, v7
	v_subrev_u32_e32 v7, 28, v20
	v_lshlrev_b64 v[6:7], v7, v[6:7]
	v_sub_u32_e32 v7, 29, v20
	v_and_b32_e32 v6, 7, v6
	v_cndmask_b32_e32 v7, v28, v7, vcc
	v_cndmask_b32_e32 v6, v23, v6, vcc
	v_lshlrev_b32_e32 v20, 16, v37
	v_bfrev_b32_e32 v23, 60
	v_lshlrev_b32_e32 v6, 20, v6
	v_and_b32_e32 v20, 0x80000000, v20
	v_lshl_add_u32 v7, v7, 23, v23
	v_or3_b32 v7, v20, v7, v6
.LBB6_4025:                             ;   in Loop: Header=BB6_3875 Depth=3
	s_or_b64 exec, exec, s[34:35]
.LBB6_4026:                             ;   in Loop: Header=BB6_3875 Depth=3
	s_or_b64 exec, exec, s[30:31]
.LBB6_4027:                             ;   in Loop: Header=BB6_3875 Depth=3
	s_or_b64 exec, exec, s[28:29]
	v_mul_f32_e32 v6, v22, v7
	v_and_b32_e32 v20, 0x7f800000, v6
	v_cmp_ne_u64_e32 vcc, s[62:63], v[20:21]
                                        ; implicit-def: $vgpr52
	s_and_saveexec_b64 s[28:29], vcc
	s_xor_b64 s[30:31], exec, s[28:29]
	s_cbranch_execz .LBB6_4041
; %bb.4028:                             ;   in Loop: Header=BB6_3875 Depth=3
	v_and_b32_e32 v20, 0x7fffffff, v6
	v_cmp_gt_u64_e32 vcc, s[78:79], v[20:21]
	v_and_b32_sdwa v28, v6, s80 dst_sel:DWORD dst_unused:UNUSED_PAD src0_sel:BYTE_3 src1_sel:DWORD
                                        ; implicit-def: $vgpr52
	s_and_saveexec_b64 s[28:29], vcc
	s_xor_b64 s[34:35], exec, s[28:29]
	s_cbranch_execz .LBB6_4038
; %bb.4029:                             ;   in Loop: Header=BB6_3875 Depth=3
	v_mov_b32_e32 v52, 0
	v_cmp_ne_u32_e32 vcc, 0, v6
	s_and_saveexec_b64 s[36:37], vcc
	s_cbranch_execz .LBB6_4037
; %bb.4030:                             ;   in Loop: Header=BB6_3875 Depth=3
	v_bfe_u32 v29, v6, 23, 8
	v_and_b32_e32 v7, 0x7fffff, v6
	v_cmp_gt_u32_e64 s[28:29], s47, v29
	v_sub_u32_e32 v6, 0x79, v29
	v_cmp_eq_u32_e32 vcc, 0, v29
	v_cndmask_b32_e64 v6, 0, v6, s[28:29]
	v_mov_b32_e32 v22, 0x78
	v_cndmask_b32_e32 v30, v6, v22, vcc
	v_or_b32_e32 v20, 0x800000, v7
	v_add_u32_e32 v6, 20, v30
	v_cndmask_b32_e32 v20, v20, v7, vcc
	v_lshlrev_b64 v[6:7], v6, -1
	v_add_u32_e32 v22, 19, v30
	v_lshlrev_b64 v[22:23], v22, 1
	v_bfi_b32 v7, v7, 0, 0
	v_bfi_b32 v6, v6, 0, v20
	v_cmp_eq_u64_e64 s[28:29], v[6:7], v[22:23]
	v_lshrrev_b64 v[6:7], v30, v[20:21]
	v_mov_b32_e32 v23, v7
	v_mov_b32_e32 v22, v6
	s_and_saveexec_b64 s[38:39], s[28:29]
; %bb.4031:                             ;   in Loop: Header=BB6_3875 Depth=3
	v_bfe_u32 v7, v6, 20, 1
	v_add_co_u32_e64 v7, s[28:29], v6, v7
	v_add_co_u32_e64 v22, s[28:29], -1, v7
; %bb.4032:                             ;   in Loop: Header=BB6_3875 Depth=3
	s_or_b64 exec, exec, s[38:39]
	v_add_u32_e32 v7, 0xffffff81, v29
	v_mov_b32_e32 v20, 0xffffff82
	v_cndmask_b32_e32 v7, v7, v20, vcc
	v_lshrrev_b32_e32 v20, 23, v6
	v_add3_u32 v29, v30, v7, v20
	v_add_u32_e32 v23, 6, v29
	v_and_b32_e32 v7, 0xfffff, v22
	v_add_u32_e32 v20, v7, v6
	v_cmp_ne_u32_e32 vcc, 0, v23
                                        ; implicit-def: $vgpr6_vgpr7
                                        ; implicit-def: $vgpr22
	s_and_saveexec_b64 s[28:29], vcc
	s_xor_b64 s[28:29], exec, s[28:29]
; %bb.4033:                             ;   in Loop: Header=BB6_3875 Depth=3
	v_cmp_lt_u64_e32 vcc, s[88:89], v[20:21]
	v_add_u32_e32 v6, 7, v29
	v_cndmask_b32_e32 v22, v23, v6, vcc
	v_cndmask_b32_e64 v6, 0, 1, vcc
	v_lshrrev_b64 v[6:7], v6, v[20:21]
; %bb.4034:                             ;   in Loop: Header=BB6_3875 Depth=3
	s_andn2_saveexec_b64 s[28:29], s[28:29]
; %bb.4035:                             ;   in Loop: Header=BB6_3875 Depth=3
	v_mov_b32_e32 v6, v20
	v_bfe_u32 v22, v20, 23, 1
	v_mov_b32_e32 v7, v21
; %bb.4036:                             ;   in Loop: Header=BB6_3875 Depth=3
	s_or_b64 exec, exec, s[28:29]
	v_lshrrev_b64 v[6:7], 20, v[6:7]
	v_cmp_gt_i32_e32 vcc, 16, v22
	v_cndmask_b32_e32 v7, 0, v7, vcc
	v_cndmask_b32_e32 v6, 7, v6, vcc
	v_cmp_eq_u64_e64 s[28:29], 0, v[6:7]
	v_min_i32_e32 v7, 15, v22
	v_lshlrev_b32_e32 v7, 3, v7
	v_cmp_eq_u32_e32 vcc, 0, v22
	v_and_b32_e32 v7, 0xf8, v7
	v_and_or_b32 v6, v6, 7, v7
	s_and_b64 s[28:29], vcc, s[28:29]
	v_cndmask_b32_e64 v6, v6, 0, s[28:29]
	v_or_b32_e32 v52, v6, v28
.LBB6_4037:                             ;   in Loop: Header=BB6_3875 Depth=3
	s_or_b64 exec, exec, s[36:37]
                                        ; implicit-def: $vgpr28
.LBB6_4038:                             ;   in Loop: Header=BB6_3875 Depth=3
	s_andn2_saveexec_b64 s[28:29], s[34:35]
; %bb.4039:                             ;   in Loop: Header=BB6_3875 Depth=3
	v_or_b32_e32 v52, 0x7e, v28
; %bb.4040:                             ;   in Loop: Header=BB6_3875 Depth=3
	s_or_b64 exec, exec, s[28:29]
                                        ; implicit-def: $vgpr6
.LBB6_4041:                             ;   in Loop: Header=BB6_3875 Depth=3
	s_andn2_saveexec_b64 s[28:29], s[30:31]
; %bb.4042:                             ;   in Loop: Header=BB6_3875 Depth=3
	v_or_b32_sdwa v52, v6, s81 dst_sel:DWORD dst_unused:UNUSED_PAD src0_sel:BYTE_3 src1_sel:DWORD
; %bb.4043:                             ;   in Loop: Header=BB6_3875 Depth=3
	s_or_b64 exec, exec, s[28:29]
	v_lshrrev_b32_e32 v6, 16, v49
	v_cmp_ne_u16_sdwa vcc, v6, v21 src0_sel:BYTE_0 src1_sel:DWORD
	v_mov_b32_e32 v7, 0
	v_mov_b32_e32 v20, 0
	s_and_saveexec_b64 s[28:29], vcc
	s_cbranch_execz .LBB6_4049
; %bb.4044:                             ;   in Loop: Header=BB6_3875 Depth=3
	v_cmp_ne_u16_sdwa vcc, v6, s80 src0_sel:BYTE_0 src1_sel:DWORD
	v_bfrev_b32_e32 v20, 1
	s_and_saveexec_b64 s[30:31], vcc
	s_cbranch_execz .LBB6_4048
; %bb.4045:                             ;   in Loop: Header=BB6_3875 Depth=3
	v_bfe_u32 v22, v49, 16, 7
	v_cmp_ne_u32_e32 vcc, s81, v22
	v_mov_b32_e32 v20, 0x7f800001
	s_and_saveexec_b64 s[34:35], vcc
	s_cbranch_execz .LBB6_4047
; %bb.4046:                             ;   in Loop: Header=BB6_3875 Depth=3
	v_and_b32_e32 v20, 7, v6
	v_lshrrev_b32_e32 v28, 3, v22
	v_cmp_gt_u32_e32 vcc, 8, v22
	v_ffbh_u32_e32 v22, v20
	v_min_u32_e32 v29, 32, v22
	v_subrev_u32_e32 v22, 28, v29
	v_lshlrev_b64 v[22:23], v22, v[6:7]
	v_sub_u32_e32 v23, 29, v29
	v_and_b32_e32 v22, 7, v22
	v_cndmask_b32_e32 v23, v28, v23, vcc
	v_cndmask_b32_e32 v20, v20, v22, vcc
	v_lshlrev_b32_e32 v6, 24, v6
	v_bfrev_b32_e32 v22, 60
	v_lshlrev_b32_e32 v20, 20, v20
	v_and_b32_e32 v6, 0x80000000, v6
	v_lshl_add_u32 v22, v23, 23, v22
	v_or3_b32 v20, v6, v22, v20
.LBB6_4047:                             ;   in Loop: Header=BB6_3875 Depth=3
	s_or_b64 exec, exec, s[34:35]
.LBB6_4048:                             ;   in Loop: Header=BB6_3875 Depth=3
	s_or_b64 exec, exec, s[30:31]
.LBB6_4049:                             ;   in Loop: Header=BB6_3875 Depth=3
	s_or_b64 exec, exec, s[28:29]
	v_lshrrev_b32_e32 v6, 16, v37
	v_cmp_ne_u16_sdwa vcc, v6, v21 src0_sel:BYTE_0 src1_sel:DWORD
	s_and_saveexec_b64 s[28:29], vcc
	s_cbranch_execz .LBB6_4055
; %bb.4050:                             ;   in Loop: Header=BB6_3875 Depth=3
	v_cmp_ne_u16_sdwa vcc, v6, s80 src0_sel:BYTE_0 src1_sel:DWORD
	v_bfrev_b32_e32 v7, 1
	s_and_saveexec_b64 s[30:31], vcc
	s_cbranch_execz .LBB6_4054
; %bb.4051:                             ;   in Loop: Header=BB6_3875 Depth=3
	v_bfe_u32 v22, v37, 16, 7
	v_cmp_ne_u32_e32 vcc, s81, v22
	v_mov_b32_e32 v7, 0x7f800001
	s_and_saveexec_b64 s[34:35], vcc
	s_cbranch_execz .LBB6_4053
; %bb.4052:                             ;   in Loop: Header=BB6_3875 Depth=3
	v_and_b32_e32 v23, 7, v6
	v_ffbh_u32_e32 v7, v23
	v_lshrrev_b32_e32 v28, 3, v22
	v_cmp_gt_u32_e32 vcc, 8, v22
	v_min_u32_e32 v22, 32, v7
	v_subrev_u32_e32 v7, 28, v22
	v_lshlrev_b64 v[6:7], v7, v[6:7]
	v_sub_u32_e32 v7, 29, v22
	v_and_b32_e32 v6, 7, v6
	v_cndmask_b32_e32 v7, v28, v7, vcc
	v_cndmask_b32_e32 v6, v23, v6, vcc
	v_lshlrev_b32_e32 v22, 8, v37
	v_bfrev_b32_e32 v23, 60
	v_lshlrev_b32_e32 v6, 20, v6
	v_and_b32_e32 v22, 0x80000000, v22
	v_lshl_add_u32 v7, v7, 23, v23
	v_or3_b32 v7, v22, v7, v6
.LBB6_4053:                             ;   in Loop: Header=BB6_3875 Depth=3
	s_or_b64 exec, exec, s[34:35]
.LBB6_4054:                             ;   in Loop: Header=BB6_3875 Depth=3
	s_or_b64 exec, exec, s[30:31]
.LBB6_4055:                             ;   in Loop: Header=BB6_3875 Depth=3
	s_or_b64 exec, exec, s[28:29]
	v_mul_f32_e32 v6, v20, v7
	v_and_b32_e32 v20, 0x7f800000, v6
	v_cmp_ne_u64_e32 vcc, s[62:63], v[20:21]
                                        ; implicit-def: $vgpr7
                                        ; kill: killed $vgpr7
	s_and_saveexec_b64 s[28:29], vcc
	s_xor_b64 s[30:31], exec, s[28:29]
	s_cbranch_execz .LBB6_4069
; %bb.4056:                             ;   in Loop: Header=BB6_3875 Depth=3
	v_and_b32_e32 v20, 0x7fffffff, v6
	v_cmp_gt_u64_e32 vcc, s[78:79], v[20:21]
	v_and_b32_sdwa v28, v6, s80 dst_sel:DWORD dst_unused:UNUSED_PAD src0_sel:BYTE_3 src1_sel:DWORD
                                        ; implicit-def: $vgpr7
                                        ; kill: killed $vgpr7
	s_and_saveexec_b64 s[28:29], vcc
	s_xor_b64 s[34:35], exec, s[28:29]
	s_cbranch_execz .LBB6_4066
; %bb.4057:                             ;   in Loop: Header=BB6_3875 Depth=3
	v_mov_b32_e32 v7, 0
	v_cmp_ne_u32_e32 vcc, 0, v6
	buffer_store_dword v7, off, s[0:3], s33 offset:112 ; 4-byte Folded Spill
	s_and_saveexec_b64 s[36:37], vcc
	s_cbranch_execz .LBB6_4065
; %bb.4058:                             ;   in Loop: Header=BB6_3875 Depth=3
	v_bfe_u32 v29, v6, 23, 8
	v_and_b32_e32 v7, 0x7fffff, v6
	v_cmp_gt_u32_e64 s[28:29], s47, v29
	v_sub_u32_e32 v6, 0x79, v29
	v_cmp_eq_u32_e32 vcc, 0, v29
	v_cndmask_b32_e64 v6, 0, v6, s[28:29]
	v_mov_b32_e32 v22, 0x78
	v_cndmask_b32_e32 v30, v6, v22, vcc
	v_or_b32_e32 v20, 0x800000, v7
	v_add_u32_e32 v6, 20, v30
	v_cndmask_b32_e32 v20, v20, v7, vcc
	v_lshlrev_b64 v[6:7], v6, -1
	v_add_u32_e32 v22, 19, v30
	v_lshlrev_b64 v[22:23], v22, 1
	v_bfi_b32 v7, v7, 0, 0
	v_bfi_b32 v6, v6, 0, v20
	v_cmp_eq_u64_e64 s[28:29], v[6:7], v[22:23]
	v_lshrrev_b64 v[6:7], v30, v[20:21]
	v_mov_b32_e32 v23, v7
	v_mov_b32_e32 v22, v6
	s_and_saveexec_b64 s[38:39], s[28:29]
; %bb.4059:                             ;   in Loop: Header=BB6_3875 Depth=3
	v_bfe_u32 v7, v6, 20, 1
	v_add_co_u32_e64 v7, s[28:29], v6, v7
	v_add_co_u32_e64 v22, s[28:29], -1, v7
; %bb.4060:                             ;   in Loop: Header=BB6_3875 Depth=3
	s_or_b64 exec, exec, s[38:39]
	v_add_u32_e32 v7, 0xffffff81, v29
	v_mov_b32_e32 v20, 0xffffff82
	v_cndmask_b32_e32 v7, v7, v20, vcc
	v_lshrrev_b32_e32 v20, 23, v6
	v_add3_u32 v29, v30, v7, v20
	v_add_u32_e32 v23, 6, v29
	v_and_b32_e32 v7, 0xfffff, v22
	v_add_u32_e32 v20, v7, v6
	v_cmp_ne_u32_e32 vcc, 0, v23
                                        ; implicit-def: $vgpr6_vgpr7
                                        ; implicit-def: $vgpr22
	s_and_saveexec_b64 s[28:29], vcc
	s_xor_b64 s[28:29], exec, s[28:29]
; %bb.4061:                             ;   in Loop: Header=BB6_3875 Depth=3
	v_cmp_lt_u64_e32 vcc, s[88:89], v[20:21]
	v_add_u32_e32 v6, 7, v29
	v_cndmask_b32_e32 v22, v23, v6, vcc
	v_cndmask_b32_e64 v6, 0, 1, vcc
	v_lshrrev_b64 v[6:7], v6, v[20:21]
; %bb.4062:                             ;   in Loop: Header=BB6_3875 Depth=3
	s_andn2_saveexec_b64 s[28:29], s[28:29]
; %bb.4063:                             ;   in Loop: Header=BB6_3875 Depth=3
	v_mov_b32_e32 v6, v20
	v_bfe_u32 v22, v20, 23, 1
	v_mov_b32_e32 v7, v21
; %bb.4064:                             ;   in Loop: Header=BB6_3875 Depth=3
	s_or_b64 exec, exec, s[28:29]
	v_lshrrev_b64 v[6:7], 20, v[6:7]
	v_cmp_gt_i32_e32 vcc, 16, v22
	v_cndmask_b32_e32 v7, 0, v7, vcc
	v_cndmask_b32_e32 v6, 7, v6, vcc
	v_cmp_eq_u64_e64 s[28:29], 0, v[6:7]
	v_min_i32_e32 v7, 15, v22
	v_lshlrev_b32_e32 v7, 3, v7
	v_cmp_eq_u32_e32 vcc, 0, v22
	v_and_b32_e32 v7, 0xf8, v7
	v_and_or_b32 v6, v6, 7, v7
	s_and_b64 s[28:29], vcc, s[28:29]
	v_cndmask_b32_e64 v6, v6, 0, s[28:29]
	v_or_b32_e32 v6, v6, v28
	buffer_store_dword v6, off, s[0:3], s33 offset:112 ; 4-byte Folded Spill
.LBB6_4065:                             ;   in Loop: Header=BB6_3875 Depth=3
	s_or_b64 exec, exec, s[36:37]
                                        ; implicit-def: $vgpr28
.LBB6_4066:                             ;   in Loop: Header=BB6_3875 Depth=3
	s_andn2_saveexec_b64 s[28:29], s[34:35]
	s_cbranch_execz .LBB6_4068
; %bb.4067:                             ;   in Loop: Header=BB6_3875 Depth=3
	v_or_b32_e32 v6, 0x7e, v28
	buffer_store_dword v6, off, s[0:3], s33 offset:112 ; 4-byte Folded Spill
.LBB6_4068:                             ;   in Loop: Header=BB6_3875 Depth=3
	s_or_b64 exec, exec, s[28:29]
                                        ; implicit-def: $vgpr6
.LBB6_4069:                             ;   in Loop: Header=BB6_3875 Depth=3
	s_andn2_saveexec_b64 s[28:29], s[30:31]
	s_cbranch_execz .LBB6_4071
; %bb.4070:                             ;   in Loop: Header=BB6_3875 Depth=3
	v_or_b32_sdwa v6, v6, s81 dst_sel:DWORD dst_unused:UNUSED_PAD src0_sel:BYTE_3 src1_sel:DWORD
	buffer_store_dword v6, off, s[0:3], s33 offset:112 ; 4-byte Folded Spill
.LBB6_4071:                             ;   in Loop: Header=BB6_3875 Depth=3
	s_or_b64 exec, exec, s[28:29]
	v_cmp_lt_u64_e32 vcc, s[56:57], v[48:49]
	v_mov_b32_e32 v7, 0
	v_mov_b32_e32 v20, 0
	s_and_saveexec_b64 s[28:29], vcc
	s_cbranch_execz .LBB6_4077
; %bb.4072:                             ;   in Loop: Header=BB6_3875 Depth=3
	v_lshrrev_b32_e32 v6, 24, v49
	v_cmp_ne_u32_e32 vcc, s80, v6
	v_bfrev_b32_e32 v20, 1
	s_and_saveexec_b64 s[30:31], vcc
	s_cbranch_execz .LBB6_4076
; %bb.4073:                             ;   in Loop: Header=BB6_3875 Depth=3
	v_bfe_u32 v22, v49, 24, 7
	v_cmp_ne_u32_e32 vcc, s81, v22
	v_mov_b32_e32 v20, 0x7f800001
	s_and_saveexec_b64 s[34:35], vcc
	s_cbranch_execz .LBB6_4075
; %bb.4074:                             ;   in Loop: Header=BB6_3875 Depth=3
	v_and_b32_e32 v20, 7, v6
	v_lshrrev_b32_e32 v28, 3, v22
	v_cmp_gt_u32_e32 vcc, 8, v22
	v_ffbh_u32_e32 v22, v20
	v_min_u32_e32 v29, 32, v22
	v_subrev_u32_e32 v22, 28, v29
	v_lshlrev_b64 v[22:23], v22, v[6:7]
	v_sub_u32_e32 v23, 29, v29
	v_and_b32_e32 v22, 7, v22
	v_cndmask_b32_e32 v23, v28, v23, vcc
	v_cndmask_b32_e32 v20, v20, v22, vcc
	v_lshlrev_b32_e32 v6, 24, v6
	v_bfrev_b32_e32 v22, 60
	v_lshlrev_b32_e32 v20, 20, v20
	v_and_b32_e32 v6, 0x80000000, v6
	v_lshl_add_u32 v22, v23, 23, v22
	v_or3_b32 v20, v6, v22, v20
.LBB6_4075:                             ;   in Loop: Header=BB6_3875 Depth=3
	s_or_b64 exec, exec, s[34:35]
.LBB6_4076:                             ;   in Loop: Header=BB6_3875 Depth=3
	s_or_b64 exec, exec, s[30:31]
.LBB6_4077:                             ;   in Loop: Header=BB6_3875 Depth=3
	s_or_b64 exec, exec, s[28:29]
	v_cmp_lt_u64_e32 vcc, s[56:57], v[36:37]
	s_and_saveexec_b64 s[28:29], vcc
	s_cbranch_execz .LBB6_4083
; %bb.4078:                             ;   in Loop: Header=BB6_3875 Depth=3
	v_lshrrev_b32_e32 v6, 24, v37
	v_cmp_ne_u32_e32 vcc, s80, v6
	v_bfrev_b32_e32 v7, 1
	s_and_saveexec_b64 s[30:31], vcc
	s_cbranch_execz .LBB6_4082
; %bb.4079:                             ;   in Loop: Header=BB6_3875 Depth=3
	v_bfe_u32 v22, v37, 24, 7
	v_cmp_ne_u32_e32 vcc, s81, v22
	v_mov_b32_e32 v7, 0x7f800001
	s_and_saveexec_b64 s[34:35], vcc
	s_cbranch_execz .LBB6_4081
; %bb.4080:                             ;   in Loop: Header=BB6_3875 Depth=3
	v_and_b32_e32 v7, 7, v6
	v_lshrrev_b32_e32 v28, 3, v22
	v_cmp_gt_u32_e32 vcc, 8, v22
	v_ffbh_u32_e32 v22, v7
	v_min_u32_e32 v29, 32, v22
	v_subrev_u32_e32 v22, 28, v29
	v_lshlrev_b64 v[22:23], v22, v[6:7]
	v_sub_u32_e32 v23, 29, v29
	v_and_b32_e32 v22, 7, v22
	v_cndmask_b32_e32 v23, v28, v23, vcc
	v_cndmask_b32_e32 v7, v7, v22, vcc
	v_lshlrev_b32_e32 v6, 24, v6
	v_bfrev_b32_e32 v22, 60
	v_lshlrev_b32_e32 v7, 20, v7
	v_and_b32_e32 v6, 0x80000000, v6
	v_lshl_add_u32 v22, v23, 23, v22
	v_or3_b32 v7, v6, v22, v7
.LBB6_4081:                             ;   in Loop: Header=BB6_3875 Depth=3
	s_or_b64 exec, exec, s[34:35]
.LBB6_4082:                             ;   in Loop: Header=BB6_3875 Depth=3
	s_or_b64 exec, exec, s[30:31]
.LBB6_4083:                             ;   in Loop: Header=BB6_3875 Depth=3
	s_or_b64 exec, exec, s[28:29]
	v_mul_f32_e32 v6, v20, v7
	v_and_b32_e32 v20, 0x7f800000, v6
	v_cmp_ne_u64_e32 vcc, s[62:63], v[20:21]
                                        ; implicit-def: $vgpr7
                                        ; kill: killed $vgpr7
	s_and_saveexec_b64 s[28:29], vcc
	s_xor_b64 s[30:31], exec, s[28:29]
	s_cbranch_execz .LBB6_4097
; %bb.4084:                             ;   in Loop: Header=BB6_3875 Depth=3
	v_and_b32_e32 v20, 0x7fffffff, v6
	v_cmp_gt_u64_e32 vcc, s[78:79], v[20:21]
	v_and_b32_sdwa v28, v6, s80 dst_sel:DWORD dst_unused:UNUSED_PAD src0_sel:BYTE_3 src1_sel:DWORD
                                        ; implicit-def: $vgpr7
                                        ; kill: killed $vgpr7
	s_and_saveexec_b64 s[28:29], vcc
	s_xor_b64 s[34:35], exec, s[28:29]
	s_cbranch_execz .LBB6_4094
; %bb.4085:                             ;   in Loop: Header=BB6_3875 Depth=3
	v_mov_b32_e32 v7, 0
	v_cmp_ne_u32_e32 vcc, 0, v6
	buffer_store_dword v7, off, s[0:3], s33 offset:116 ; 4-byte Folded Spill
	s_and_saveexec_b64 s[36:37], vcc
	s_cbranch_execz .LBB6_4093
; %bb.4086:                             ;   in Loop: Header=BB6_3875 Depth=3
	v_bfe_u32 v29, v6, 23, 8
	v_and_b32_e32 v7, 0x7fffff, v6
	v_cmp_gt_u32_e64 s[28:29], s47, v29
	v_sub_u32_e32 v6, 0x79, v29
	v_cmp_eq_u32_e32 vcc, 0, v29
	v_cndmask_b32_e64 v6, 0, v6, s[28:29]
	v_mov_b32_e32 v22, 0x78
	v_cndmask_b32_e32 v30, v6, v22, vcc
	v_or_b32_e32 v20, 0x800000, v7
	v_add_u32_e32 v6, 20, v30
	v_cndmask_b32_e32 v20, v20, v7, vcc
	v_lshlrev_b64 v[6:7], v6, -1
	v_add_u32_e32 v22, 19, v30
	v_lshlrev_b64 v[22:23], v22, 1
	v_bfi_b32 v7, v7, 0, 0
	v_bfi_b32 v6, v6, 0, v20
	v_cmp_eq_u64_e64 s[28:29], v[6:7], v[22:23]
	v_lshrrev_b64 v[6:7], v30, v[20:21]
	v_mov_b32_e32 v23, v7
	v_mov_b32_e32 v22, v6
	s_and_saveexec_b64 s[38:39], s[28:29]
; %bb.4087:                             ;   in Loop: Header=BB6_3875 Depth=3
	v_bfe_u32 v7, v6, 20, 1
	v_add_co_u32_e64 v7, s[28:29], v6, v7
	v_add_co_u32_e64 v22, s[28:29], -1, v7
; %bb.4088:                             ;   in Loop: Header=BB6_3875 Depth=3
	s_or_b64 exec, exec, s[38:39]
	v_add_u32_e32 v7, 0xffffff81, v29
	v_mov_b32_e32 v20, 0xffffff82
	v_cndmask_b32_e32 v7, v7, v20, vcc
	v_lshrrev_b32_e32 v20, 23, v6
	v_add3_u32 v29, v30, v7, v20
	v_add_u32_e32 v23, 6, v29
	v_and_b32_e32 v7, 0xfffff, v22
	v_add_u32_e32 v20, v7, v6
	v_cmp_ne_u32_e32 vcc, 0, v23
                                        ; implicit-def: $vgpr6_vgpr7
                                        ; implicit-def: $vgpr22
	s_and_saveexec_b64 s[28:29], vcc
	s_xor_b64 s[28:29], exec, s[28:29]
; %bb.4089:                             ;   in Loop: Header=BB6_3875 Depth=3
	v_cmp_lt_u64_e32 vcc, s[88:89], v[20:21]
	v_add_u32_e32 v6, 7, v29
	v_cndmask_b32_e32 v22, v23, v6, vcc
	v_cndmask_b32_e64 v6, 0, 1, vcc
	v_lshrrev_b64 v[6:7], v6, v[20:21]
; %bb.4090:                             ;   in Loop: Header=BB6_3875 Depth=3
	s_andn2_saveexec_b64 s[28:29], s[28:29]
; %bb.4091:                             ;   in Loop: Header=BB6_3875 Depth=3
	v_mov_b32_e32 v6, v20
	v_bfe_u32 v22, v20, 23, 1
	v_mov_b32_e32 v7, v21
; %bb.4092:                             ;   in Loop: Header=BB6_3875 Depth=3
	s_or_b64 exec, exec, s[28:29]
	v_lshrrev_b64 v[6:7], 20, v[6:7]
	v_cmp_gt_i32_e32 vcc, 16, v22
	v_cndmask_b32_e32 v7, 0, v7, vcc
	v_cndmask_b32_e32 v6, 7, v6, vcc
	v_cmp_eq_u64_e64 s[28:29], 0, v[6:7]
	v_min_i32_e32 v7, 15, v22
	v_lshlrev_b32_e32 v7, 3, v7
	v_cmp_eq_u32_e32 vcc, 0, v22
	v_and_b32_e32 v7, 0xf8, v7
	v_and_or_b32 v6, v6, 7, v7
	s_and_b64 s[28:29], vcc, s[28:29]
	v_cndmask_b32_e64 v6, v6, 0, s[28:29]
	v_or_b32_e32 v6, v6, v28
	buffer_store_dword v6, off, s[0:3], s33 offset:116 ; 4-byte Folded Spill
.LBB6_4093:                             ;   in Loop: Header=BB6_3875 Depth=3
	s_or_b64 exec, exec, s[36:37]
                                        ; implicit-def: $vgpr28
.LBB6_4094:                             ;   in Loop: Header=BB6_3875 Depth=3
	s_andn2_saveexec_b64 s[28:29], s[34:35]
	s_cbranch_execz .LBB6_4096
; %bb.4095:                             ;   in Loop: Header=BB6_3875 Depth=3
	v_or_b32_e32 v6, 0x7e, v28
	buffer_store_dword v6, off, s[0:3], s33 offset:116 ; 4-byte Folded Spill
.LBB6_4096:                             ;   in Loop: Header=BB6_3875 Depth=3
	s_or_b64 exec, exec, s[28:29]
                                        ; implicit-def: $vgpr6
.LBB6_4097:                             ;   in Loop: Header=BB6_3875 Depth=3
	s_andn2_saveexec_b64 s[28:29], s[30:31]
	s_cbranch_execz .LBB6_4099
; %bb.4098:                             ;   in Loop: Header=BB6_3875 Depth=3
	v_or_b32_sdwa v6, v6, s81 dst_sel:DWORD dst_unused:UNUSED_PAD src0_sel:BYTE_3 src1_sel:DWORD
	buffer_store_dword v6, off, s[0:3], s33 offset:116 ; 4-byte Folded Spill
.LBB6_4099:                             ;   in Loop: Header=BB6_3875 Depth=3
	s_or_b64 exec, exec, s[28:29]
	v_cmp_ne_u16_sdwa vcc, v50, v21 src0_sel:BYTE_0 src1_sel:DWORD
	v_mov_b32_e32 v6, 0
	v_mov_b32_e32 v7, 0
	s_and_saveexec_b64 s[28:29], vcc
	s_cbranch_execz .LBB6_4105
; %bb.4100:                             ;   in Loop: Header=BB6_3875 Depth=3
	v_cmp_ne_u16_sdwa vcc, v50, s80 src0_sel:BYTE_0 src1_sel:DWORD
	v_bfrev_b32_e32 v7, 1
	s_and_saveexec_b64 s[30:31], vcc
	s_cbranch_execz .LBB6_4104
; %bb.4101:                             ;   in Loop: Header=BB6_3875 Depth=3
	v_and_b32_e32 v20, 0x7f, v50
	v_cmp_ne_u32_e32 vcc, s81, v20
	v_mov_b32_e32 v7, 0x7f800001
	s_and_saveexec_b64 s[34:35], vcc
	s_cbranch_execz .LBB6_4103
; %bb.4102:                             ;   in Loop: Header=BB6_3875 Depth=3
	v_and_b32_e32 v7, 7, v50
	v_ffbh_u32_e32 v7, v7
	v_min_u32_e32 v7, 32, v7
	v_lshrrev_b32_e32 v22, 3, v20
	v_cmp_gt_u32_e32 vcc, 8, v20
	v_subrev_u32_e32 v20, 28, v7
	v_sub_u32_e32 v7, 29, v7
	v_cndmask_b32_e32 v20, 0, v20, vcc
	v_cndmask_b32_e32 v7, v22, v7, vcc
	v_lshlrev_b64 v[22:23], v20, v[50:51]
	v_bfrev_b32_e32 v23, 60
	v_lshlrev_b32_e32 v20, 20, v22
	v_lshlrev_b32_e32 v22, 24, v50
	v_and_b32_e32 v20, 0x700000, v20
	v_and_b32_e32 v22, 0x80000000, v22
	v_lshl_add_u32 v7, v7, 23, v23
	v_or3_b32 v7, v22, v7, v20
.LBB6_4103:                             ;   in Loop: Header=BB6_3875 Depth=3
	s_or_b64 exec, exec, s[34:35]
.LBB6_4104:                             ;   in Loop: Header=BB6_3875 Depth=3
	s_or_b64 exec, exec, s[30:31]
.LBB6_4105:                             ;   in Loop: Header=BB6_3875 Depth=3
	s_or_b64 exec, exec, s[28:29]
	v_cmp_ne_u16_sdwa vcc, v38, v21 src0_sel:BYTE_0 src1_sel:DWORD
	s_and_saveexec_b64 s[28:29], vcc
	s_cbranch_execz .LBB6_4111
; %bb.4106:                             ;   in Loop: Header=BB6_3875 Depth=3
	v_cmp_ne_u16_sdwa vcc, v38, s80 src0_sel:BYTE_0 src1_sel:DWORD
	v_bfrev_b32_e32 v6, 1
	s_and_saveexec_b64 s[30:31], vcc
	s_cbranch_execz .LBB6_4110
; %bb.4107:                             ;   in Loop: Header=BB6_3875 Depth=3
	v_and_b32_e32 v20, 0x7f, v38
	v_cmp_ne_u32_e32 vcc, s81, v20
	v_mov_b32_e32 v6, 0x7f800001
	s_and_saveexec_b64 s[34:35], vcc
	s_cbranch_execz .LBB6_4109
; %bb.4108:                             ;   in Loop: Header=BB6_3875 Depth=3
	v_and_b32_e32 v6, 7, v38
	v_ffbh_u32_e32 v6, v6
	v_min_u32_e32 v6, 32, v6
	v_lshrrev_b32_e32 v22, 3, v20
	v_cmp_gt_u32_e32 vcc, 8, v20
	v_subrev_u32_e32 v20, 28, v6
	v_sub_u32_e32 v6, 29, v6
	v_cndmask_b32_e32 v20, 0, v20, vcc
	v_cndmask_b32_e32 v6, v22, v6, vcc
	v_lshlrev_b64 v[22:23], v20, v[38:39]
	v_bfrev_b32_e32 v23, 60
	v_lshlrev_b32_e32 v20, 20, v22
	v_lshlrev_b32_e32 v22, 24, v38
	v_and_b32_e32 v20, 0x700000, v20
	v_and_b32_e32 v22, 0x80000000, v22
	v_lshl_add_u32 v6, v6, 23, v23
	v_or3_b32 v6, v22, v6, v20
.LBB6_4109:                             ;   in Loop: Header=BB6_3875 Depth=3
	s_or_b64 exec, exec, s[34:35]
.LBB6_4110:                             ;   in Loop: Header=BB6_3875 Depth=3
	s_or_b64 exec, exec, s[30:31]
.LBB6_4111:                             ;   in Loop: Header=BB6_3875 Depth=3
	s_or_b64 exec, exec, s[28:29]
	v_mul_f32_e32 v6, v7, v6
	v_and_b32_e32 v20, 0x7f800000, v6
	v_cmp_ne_u64_e32 vcc, s[62:63], v[20:21]
                                        ; implicit-def: $vgpr7
                                        ; kill: killed $vgpr7
	s_and_saveexec_b64 s[28:29], vcc
	s_xor_b64 s[30:31], exec, s[28:29]
	s_cbranch_execz .LBB6_4125
; %bb.4112:                             ;   in Loop: Header=BB6_3875 Depth=3
	v_and_b32_e32 v20, 0x7fffffff, v6
	v_cmp_gt_u64_e32 vcc, s[78:79], v[20:21]
	v_and_b32_sdwa v28, v6, s80 dst_sel:DWORD dst_unused:UNUSED_PAD src0_sel:BYTE_3 src1_sel:DWORD
                                        ; implicit-def: $vgpr7
                                        ; kill: killed $vgpr7
	s_and_saveexec_b64 s[28:29], vcc
	s_xor_b64 s[34:35], exec, s[28:29]
	s_cbranch_execz .LBB6_4122
; %bb.4113:                             ;   in Loop: Header=BB6_3875 Depth=3
	v_mov_b32_e32 v7, 0
	v_cmp_ne_u32_e32 vcc, 0, v6
	buffer_store_dword v7, off, s[0:3], s33 offset:120 ; 4-byte Folded Spill
	s_and_saveexec_b64 s[36:37], vcc
	s_cbranch_execz .LBB6_4121
; %bb.4114:                             ;   in Loop: Header=BB6_3875 Depth=3
	v_bfe_u32 v29, v6, 23, 8
	v_and_b32_e32 v7, 0x7fffff, v6
	v_cmp_gt_u32_e64 s[28:29], s47, v29
	v_sub_u32_e32 v6, 0x79, v29
	v_cmp_eq_u32_e32 vcc, 0, v29
	v_cndmask_b32_e64 v6, 0, v6, s[28:29]
	v_mov_b32_e32 v22, 0x78
	v_cndmask_b32_e32 v30, v6, v22, vcc
	v_or_b32_e32 v20, 0x800000, v7
	v_add_u32_e32 v6, 20, v30
	v_cndmask_b32_e32 v20, v20, v7, vcc
	v_lshlrev_b64 v[6:7], v6, -1
	v_add_u32_e32 v22, 19, v30
	v_lshlrev_b64 v[22:23], v22, 1
	v_bfi_b32 v7, v7, 0, 0
	v_bfi_b32 v6, v6, 0, v20
	v_cmp_eq_u64_e64 s[28:29], v[6:7], v[22:23]
	v_lshrrev_b64 v[6:7], v30, v[20:21]
	v_mov_b32_e32 v23, v7
	v_mov_b32_e32 v22, v6
	s_and_saveexec_b64 s[38:39], s[28:29]
; %bb.4115:                             ;   in Loop: Header=BB6_3875 Depth=3
	v_bfe_u32 v7, v6, 20, 1
	v_add_co_u32_e64 v7, s[28:29], v6, v7
	v_add_co_u32_e64 v22, s[28:29], -1, v7
; %bb.4116:                             ;   in Loop: Header=BB6_3875 Depth=3
	s_or_b64 exec, exec, s[38:39]
	v_add_u32_e32 v7, 0xffffff81, v29
	v_mov_b32_e32 v20, 0xffffff82
	v_cndmask_b32_e32 v7, v7, v20, vcc
	v_lshrrev_b32_e32 v20, 23, v6
	v_add3_u32 v29, v30, v7, v20
	v_add_u32_e32 v23, 6, v29
	v_and_b32_e32 v7, 0xfffff, v22
	v_add_u32_e32 v20, v7, v6
	v_cmp_ne_u32_e32 vcc, 0, v23
                                        ; implicit-def: $vgpr6_vgpr7
                                        ; implicit-def: $vgpr22
	s_and_saveexec_b64 s[28:29], vcc
	s_xor_b64 s[28:29], exec, s[28:29]
; %bb.4117:                             ;   in Loop: Header=BB6_3875 Depth=3
	v_cmp_lt_u64_e32 vcc, s[88:89], v[20:21]
	v_add_u32_e32 v6, 7, v29
	v_cndmask_b32_e32 v22, v23, v6, vcc
	v_cndmask_b32_e64 v6, 0, 1, vcc
	v_lshrrev_b64 v[6:7], v6, v[20:21]
; %bb.4118:                             ;   in Loop: Header=BB6_3875 Depth=3
	s_andn2_saveexec_b64 s[28:29], s[28:29]
; %bb.4119:                             ;   in Loop: Header=BB6_3875 Depth=3
	v_mov_b32_e32 v6, v20
	v_bfe_u32 v22, v20, 23, 1
	v_mov_b32_e32 v7, v21
; %bb.4120:                             ;   in Loop: Header=BB6_3875 Depth=3
	s_or_b64 exec, exec, s[28:29]
	v_lshrrev_b64 v[6:7], 20, v[6:7]
	v_cmp_gt_i32_e32 vcc, 16, v22
	v_cndmask_b32_e32 v7, 0, v7, vcc
	v_cndmask_b32_e32 v6, 7, v6, vcc
	v_cmp_eq_u64_e64 s[28:29], 0, v[6:7]
	v_min_i32_e32 v7, 15, v22
	v_lshlrev_b32_e32 v7, 3, v7
	v_cmp_eq_u32_e32 vcc, 0, v22
	v_and_b32_e32 v7, 0xf8, v7
	v_and_or_b32 v6, v6, 7, v7
	s_and_b64 s[28:29], vcc, s[28:29]
	v_cndmask_b32_e64 v6, v6, 0, s[28:29]
	v_or_b32_e32 v6, v6, v28
	buffer_store_dword v6, off, s[0:3], s33 offset:120 ; 4-byte Folded Spill
.LBB6_4121:                             ;   in Loop: Header=BB6_3875 Depth=3
	s_or_b64 exec, exec, s[36:37]
                                        ; implicit-def: $vgpr28
.LBB6_4122:                             ;   in Loop: Header=BB6_3875 Depth=3
	s_andn2_saveexec_b64 s[28:29], s[34:35]
	s_cbranch_execz .LBB6_4124
; %bb.4123:                             ;   in Loop: Header=BB6_3875 Depth=3
	v_or_b32_e32 v6, 0x7e, v28
	buffer_store_dword v6, off, s[0:3], s33 offset:120 ; 4-byte Folded Spill
.LBB6_4124:                             ;   in Loop: Header=BB6_3875 Depth=3
	s_or_b64 exec, exec, s[28:29]
                                        ; implicit-def: $vgpr6
.LBB6_4125:                             ;   in Loop: Header=BB6_3875 Depth=3
	s_andn2_saveexec_b64 s[28:29], s[30:31]
	s_cbranch_execz .LBB6_4127
; %bb.4126:                             ;   in Loop: Header=BB6_3875 Depth=3
	v_or_b32_sdwa v6, v6, s81 dst_sel:DWORD dst_unused:UNUSED_PAD src0_sel:BYTE_3 src1_sel:DWORD
	buffer_store_dword v6, off, s[0:3], s33 offset:120 ; 4-byte Folded Spill
.LBB6_4127:                             ;   in Loop: Header=BB6_3875 Depth=3
	s_or_b64 exec, exec, s[28:29]
	v_lshrrev_b16_e32 v6, 8, v50
	v_cmp_ne_u16_e32 vcc, 0, v6
	v_mov_b32_e32 v7, 0
	v_mov_b32_e32 v20, 0
	s_and_saveexec_b64 s[28:29], vcc
	s_cbranch_execz .LBB6_4133
; %bb.4128:                             ;   in Loop: Header=BB6_3875 Depth=3
	v_cmp_ne_u16_e32 vcc, s80, v6
	v_bfrev_b32_e32 v20, 1
	s_and_saveexec_b64 s[30:31], vcc
	s_cbranch_execz .LBB6_4132
; %bb.4129:                             ;   in Loop: Header=BB6_3875 Depth=3
	v_and_b32_e32 v22, 0x7f, v6
	v_cmp_ne_u32_e32 vcc, s81, v22
	v_mov_b32_e32 v20, 0x7f800001
	s_and_saveexec_b64 s[34:35], vcc
	s_cbranch_execz .LBB6_4131
; %bb.4130:                             ;   in Loop: Header=BB6_3875 Depth=3
	v_and_b32_e32 v20, 7, v6
	v_lshrrev_b32_e32 v28, 3, v22
	v_cmp_gt_u32_e32 vcc, 8, v22
	v_ffbh_u32_e32 v22, v20
	v_min_u32_e32 v29, 32, v22
	v_subrev_u32_e32 v22, 28, v29
	v_lshlrev_b64 v[22:23], v22, v[6:7]
	v_sub_u32_e32 v6, 29, v29
	v_and_b32_e32 v22, 7, v22
	v_cndmask_b32_e32 v6, v28, v6, vcc
	v_cndmask_b32_e32 v20, v20, v22, vcc
	v_lshlrev_b32_e32 v22, 16, v50
	v_bfrev_b32_e32 v23, 60
	v_lshlrev_b32_e32 v20, 20, v20
	v_and_b32_e32 v22, 0x80000000, v22
	v_lshl_add_u32 v6, v6, 23, v23
	v_or3_b32 v20, v22, v6, v20
.LBB6_4131:                             ;   in Loop: Header=BB6_3875 Depth=3
	s_or_b64 exec, exec, s[34:35]
.LBB6_4132:                             ;   in Loop: Header=BB6_3875 Depth=3
	s_or_b64 exec, exec, s[30:31]
.LBB6_4133:                             ;   in Loop: Header=BB6_3875 Depth=3
	s_or_b64 exec, exec, s[28:29]
	v_lshrrev_b16_e32 v6, 8, v38
	v_cmp_ne_u16_e32 vcc, 0, v6
	s_and_saveexec_b64 s[28:29], vcc
	s_cbranch_execz .LBB6_4139
; %bb.4134:                             ;   in Loop: Header=BB6_3875 Depth=3
	v_cmp_ne_u16_e32 vcc, s80, v6
	v_bfrev_b32_e32 v7, 1
	s_and_saveexec_b64 s[30:31], vcc
	s_cbranch_execz .LBB6_4138
; %bb.4135:                             ;   in Loop: Header=BB6_3875 Depth=3
	v_and_b32_e32 v22, 0x7f, v6
	v_cmp_ne_u32_e32 vcc, s81, v22
	v_mov_b32_e32 v7, 0x7f800001
	s_and_saveexec_b64 s[34:35], vcc
	s_cbranch_execz .LBB6_4137
; %bb.4136:                             ;   in Loop: Header=BB6_3875 Depth=3
	v_and_b32_e32 v23, 7, v6
	v_ffbh_u32_e32 v7, v23
	v_lshrrev_b32_e32 v28, 3, v22
	v_cmp_gt_u32_e32 vcc, 8, v22
	v_min_u32_e32 v22, 32, v7
	v_subrev_u32_e32 v7, 28, v22
	v_lshlrev_b64 v[6:7], v7, v[6:7]
	v_sub_u32_e32 v7, 29, v22
	v_and_b32_e32 v6, 7, v6
	v_cndmask_b32_e32 v7, v28, v7, vcc
	v_cndmask_b32_e32 v6, v23, v6, vcc
	v_lshlrev_b32_e32 v22, 16, v38
	v_bfrev_b32_e32 v23, 60
	v_lshlrev_b32_e32 v6, 20, v6
	v_and_b32_e32 v22, 0x80000000, v22
	v_lshl_add_u32 v7, v7, 23, v23
	v_or3_b32 v7, v22, v7, v6
.LBB6_4137:                             ;   in Loop: Header=BB6_3875 Depth=3
	s_or_b64 exec, exec, s[34:35]
.LBB6_4138:                             ;   in Loop: Header=BB6_3875 Depth=3
	s_or_b64 exec, exec, s[30:31]
.LBB6_4139:                             ;   in Loop: Header=BB6_3875 Depth=3
	s_or_b64 exec, exec, s[28:29]
	v_mul_f32_e32 v6, v20, v7
	v_and_b32_e32 v20, 0x7f800000, v6
	v_cmp_ne_u64_e32 vcc, s[62:63], v[20:21]
                                        ; implicit-def: $vgpr7
                                        ; kill: killed $vgpr7
	s_and_saveexec_b64 s[28:29], vcc
	s_xor_b64 s[30:31], exec, s[28:29]
	s_cbranch_execz .LBB6_4153
; %bb.4140:                             ;   in Loop: Header=BB6_3875 Depth=3
	v_and_b32_e32 v20, 0x7fffffff, v6
	v_cmp_gt_u64_e32 vcc, s[78:79], v[20:21]
	v_and_b32_sdwa v28, v6, s80 dst_sel:DWORD dst_unused:UNUSED_PAD src0_sel:BYTE_3 src1_sel:DWORD
                                        ; implicit-def: $vgpr7
                                        ; kill: killed $vgpr7
	s_and_saveexec_b64 s[28:29], vcc
	s_xor_b64 s[34:35], exec, s[28:29]
	s_cbranch_execz .LBB6_4150
; %bb.4141:                             ;   in Loop: Header=BB6_3875 Depth=3
	v_mov_b32_e32 v7, 0
	v_cmp_ne_u32_e32 vcc, 0, v6
	buffer_store_dword v7, off, s[0:3], s33 offset:124 ; 4-byte Folded Spill
	s_and_saveexec_b64 s[36:37], vcc
	s_cbranch_execz .LBB6_4149
; %bb.4142:                             ;   in Loop: Header=BB6_3875 Depth=3
	v_bfe_u32 v29, v6, 23, 8
	v_and_b32_e32 v7, 0x7fffff, v6
	v_cmp_gt_u32_e64 s[28:29], s47, v29
	v_sub_u32_e32 v6, 0x79, v29
	v_cmp_eq_u32_e32 vcc, 0, v29
	v_cndmask_b32_e64 v6, 0, v6, s[28:29]
	v_mov_b32_e32 v22, 0x78
	v_cndmask_b32_e32 v30, v6, v22, vcc
	v_or_b32_e32 v20, 0x800000, v7
	v_add_u32_e32 v6, 20, v30
	v_cndmask_b32_e32 v20, v20, v7, vcc
	v_lshlrev_b64 v[6:7], v6, -1
	v_add_u32_e32 v22, 19, v30
	v_lshlrev_b64 v[22:23], v22, 1
	v_bfi_b32 v7, v7, 0, 0
	v_bfi_b32 v6, v6, 0, v20
	v_cmp_eq_u64_e64 s[28:29], v[6:7], v[22:23]
	v_lshrrev_b64 v[6:7], v30, v[20:21]
	v_mov_b32_e32 v23, v7
	v_mov_b32_e32 v22, v6
	s_and_saveexec_b64 s[38:39], s[28:29]
; %bb.4143:                             ;   in Loop: Header=BB6_3875 Depth=3
	v_bfe_u32 v7, v6, 20, 1
	v_add_co_u32_e64 v7, s[28:29], v6, v7
	v_add_co_u32_e64 v22, s[28:29], -1, v7
; %bb.4144:                             ;   in Loop: Header=BB6_3875 Depth=3
	s_or_b64 exec, exec, s[38:39]
	v_add_u32_e32 v7, 0xffffff81, v29
	v_mov_b32_e32 v20, 0xffffff82
	v_cndmask_b32_e32 v7, v7, v20, vcc
	v_lshrrev_b32_e32 v20, 23, v6
	v_add3_u32 v29, v30, v7, v20
	v_add_u32_e32 v23, 6, v29
	v_and_b32_e32 v7, 0xfffff, v22
	v_add_u32_e32 v20, v7, v6
	v_cmp_ne_u32_e32 vcc, 0, v23
                                        ; implicit-def: $vgpr6_vgpr7
                                        ; implicit-def: $vgpr22
	s_and_saveexec_b64 s[28:29], vcc
	s_xor_b64 s[28:29], exec, s[28:29]
; %bb.4145:                             ;   in Loop: Header=BB6_3875 Depth=3
	v_cmp_lt_u64_e32 vcc, s[88:89], v[20:21]
	v_add_u32_e32 v6, 7, v29
	v_cndmask_b32_e32 v22, v23, v6, vcc
	v_cndmask_b32_e64 v6, 0, 1, vcc
	v_lshrrev_b64 v[6:7], v6, v[20:21]
; %bb.4146:                             ;   in Loop: Header=BB6_3875 Depth=3
	s_andn2_saveexec_b64 s[28:29], s[28:29]
; %bb.4147:                             ;   in Loop: Header=BB6_3875 Depth=3
	v_mov_b32_e32 v6, v20
	v_bfe_u32 v22, v20, 23, 1
	v_mov_b32_e32 v7, v21
; %bb.4148:                             ;   in Loop: Header=BB6_3875 Depth=3
	s_or_b64 exec, exec, s[28:29]
	v_lshrrev_b64 v[6:7], 20, v[6:7]
	v_cmp_gt_i32_e32 vcc, 16, v22
	v_cndmask_b32_e32 v7, 0, v7, vcc
	v_cndmask_b32_e32 v6, 7, v6, vcc
	v_cmp_eq_u64_e64 s[28:29], 0, v[6:7]
	v_min_i32_e32 v7, 15, v22
	v_lshlrev_b32_e32 v7, 3, v7
	v_cmp_eq_u32_e32 vcc, 0, v22
	v_and_b32_e32 v7, 0xf8, v7
	v_and_or_b32 v6, v6, 7, v7
	s_and_b64 s[28:29], vcc, s[28:29]
	v_cndmask_b32_e64 v6, v6, 0, s[28:29]
	v_or_b32_e32 v6, v6, v28
	buffer_store_dword v6, off, s[0:3], s33 offset:124 ; 4-byte Folded Spill
.LBB6_4149:                             ;   in Loop: Header=BB6_3875 Depth=3
	s_or_b64 exec, exec, s[36:37]
                                        ; implicit-def: $vgpr28
.LBB6_4150:                             ;   in Loop: Header=BB6_3875 Depth=3
	s_andn2_saveexec_b64 s[28:29], s[34:35]
	s_cbranch_execz .LBB6_4152
; %bb.4151:                             ;   in Loop: Header=BB6_3875 Depth=3
	v_or_b32_e32 v6, 0x7e, v28
	buffer_store_dword v6, off, s[0:3], s33 offset:124 ; 4-byte Folded Spill
.LBB6_4152:                             ;   in Loop: Header=BB6_3875 Depth=3
	s_or_b64 exec, exec, s[28:29]
                                        ; implicit-def: $vgpr6
.LBB6_4153:                             ;   in Loop: Header=BB6_3875 Depth=3
	s_andn2_saveexec_b64 s[28:29], s[30:31]
	s_cbranch_execz .LBB6_4155
; %bb.4154:                             ;   in Loop: Header=BB6_3875 Depth=3
	v_or_b32_sdwa v6, v6, s81 dst_sel:DWORD dst_unused:UNUSED_PAD src0_sel:BYTE_3 src1_sel:DWORD
	buffer_store_dword v6, off, s[0:3], s33 offset:124 ; 4-byte Folded Spill
.LBB6_4155:                             ;   in Loop: Header=BB6_3875 Depth=3
	s_or_b64 exec, exec, s[28:29]
	v_lshrrev_b32_e32 v6, 16, v50
	v_cmp_ne_u16_sdwa vcc, v6, v21 src0_sel:BYTE_0 src1_sel:DWORD
	v_mov_b32_e32 v7, 0
	v_mov_b32_e32 v20, 0
	s_and_saveexec_b64 s[28:29], vcc
	s_cbranch_execz .LBB6_4161
; %bb.4156:                             ;   in Loop: Header=BB6_3875 Depth=3
	v_cmp_ne_u16_sdwa vcc, v6, s80 src0_sel:BYTE_0 src1_sel:DWORD
	v_bfrev_b32_e32 v20, 1
	s_and_saveexec_b64 s[30:31], vcc
	s_cbranch_execz .LBB6_4160
; %bb.4157:                             ;   in Loop: Header=BB6_3875 Depth=3
	v_bfe_u32 v22, v50, 16, 7
	v_cmp_ne_u32_e32 vcc, s81, v22
	v_mov_b32_e32 v20, 0x7f800001
	s_and_saveexec_b64 s[34:35], vcc
	s_cbranch_execz .LBB6_4159
; %bb.4158:                             ;   in Loop: Header=BB6_3875 Depth=3
	v_and_b32_e32 v20, 7, v6
	v_lshrrev_b32_e32 v28, 3, v22
	v_cmp_gt_u32_e32 vcc, 8, v22
	v_ffbh_u32_e32 v22, v20
	v_min_u32_e32 v29, 32, v22
	v_subrev_u32_e32 v22, 28, v29
	v_lshlrev_b64 v[22:23], v22, v[6:7]
	v_sub_u32_e32 v23, 29, v29
	v_and_b32_e32 v22, 7, v22
	v_cndmask_b32_e32 v23, v28, v23, vcc
	v_cndmask_b32_e32 v20, v20, v22, vcc
	v_lshlrev_b32_e32 v6, 24, v6
	v_bfrev_b32_e32 v22, 60
	v_lshlrev_b32_e32 v20, 20, v20
	v_and_b32_e32 v6, 0x80000000, v6
	v_lshl_add_u32 v22, v23, 23, v22
	v_or3_b32 v20, v6, v22, v20
.LBB6_4159:                             ;   in Loop: Header=BB6_3875 Depth=3
	s_or_b64 exec, exec, s[34:35]
.LBB6_4160:                             ;   in Loop: Header=BB6_3875 Depth=3
	s_or_b64 exec, exec, s[30:31]
.LBB6_4161:                             ;   in Loop: Header=BB6_3875 Depth=3
	s_or_b64 exec, exec, s[28:29]
	v_lshrrev_b32_e32 v6, 16, v38
	v_cmp_ne_u16_sdwa vcc, v6, v21 src0_sel:BYTE_0 src1_sel:DWORD
	s_and_saveexec_b64 s[28:29], vcc
	s_cbranch_execz .LBB6_4167
; %bb.4162:                             ;   in Loop: Header=BB6_3875 Depth=3
	v_cmp_ne_u16_sdwa vcc, v6, s80 src0_sel:BYTE_0 src1_sel:DWORD
	v_bfrev_b32_e32 v7, 1
	s_and_saveexec_b64 s[30:31], vcc
	s_cbranch_execz .LBB6_4166
; %bb.4163:                             ;   in Loop: Header=BB6_3875 Depth=3
	v_bfe_u32 v22, v38, 16, 7
	v_cmp_ne_u32_e32 vcc, s81, v22
	v_mov_b32_e32 v7, 0x7f800001
	s_and_saveexec_b64 s[34:35], vcc
	s_cbranch_execz .LBB6_4165
; %bb.4164:                             ;   in Loop: Header=BB6_3875 Depth=3
	v_and_b32_e32 v23, 7, v6
	v_ffbh_u32_e32 v7, v23
	v_lshrrev_b32_e32 v28, 3, v22
	v_cmp_gt_u32_e32 vcc, 8, v22
	v_min_u32_e32 v22, 32, v7
	v_subrev_u32_e32 v7, 28, v22
	v_lshlrev_b64 v[6:7], v7, v[6:7]
	v_sub_u32_e32 v7, 29, v22
	v_and_b32_e32 v6, 7, v6
	v_cndmask_b32_e32 v7, v28, v7, vcc
	v_cndmask_b32_e32 v6, v23, v6, vcc
	v_lshlrev_b32_e32 v22, 8, v38
	v_bfrev_b32_e32 v23, 60
	v_lshlrev_b32_e32 v6, 20, v6
	v_and_b32_e32 v22, 0x80000000, v22
	v_lshl_add_u32 v7, v7, 23, v23
	v_or3_b32 v7, v22, v7, v6
.LBB6_4165:                             ;   in Loop: Header=BB6_3875 Depth=3
	s_or_b64 exec, exec, s[34:35]
.LBB6_4166:                             ;   in Loop: Header=BB6_3875 Depth=3
	s_or_b64 exec, exec, s[30:31]
.LBB6_4167:                             ;   in Loop: Header=BB6_3875 Depth=3
	s_or_b64 exec, exec, s[28:29]
	v_mul_f32_e32 v6, v20, v7
	v_and_b32_e32 v20, 0x7f800000, v6
	v_cmp_ne_u64_e32 vcc, s[62:63], v[20:21]
                                        ; implicit-def: $vgpr7
                                        ; kill: killed $vgpr7
	s_and_saveexec_b64 s[28:29], vcc
	s_xor_b64 s[30:31], exec, s[28:29]
	s_cbranch_execz .LBB6_4181
; %bb.4168:                             ;   in Loop: Header=BB6_3875 Depth=3
	v_and_b32_e32 v20, 0x7fffffff, v6
	v_cmp_gt_u64_e32 vcc, s[78:79], v[20:21]
	v_and_b32_sdwa v28, v6, s80 dst_sel:DWORD dst_unused:UNUSED_PAD src0_sel:BYTE_3 src1_sel:DWORD
                                        ; implicit-def: $vgpr7
                                        ; kill: killed $vgpr7
	s_and_saveexec_b64 s[28:29], vcc
	s_xor_b64 s[34:35], exec, s[28:29]
	s_cbranch_execz .LBB6_4178
; %bb.4169:                             ;   in Loop: Header=BB6_3875 Depth=3
	v_mov_b32_e32 v7, 0
	v_cmp_ne_u32_e32 vcc, 0, v6
	buffer_store_dword v7, off, s[0:3], s33 offset:128 ; 4-byte Folded Spill
	s_and_saveexec_b64 s[36:37], vcc
	s_cbranch_execz .LBB6_4177
; %bb.4170:                             ;   in Loop: Header=BB6_3875 Depth=3
	v_bfe_u32 v29, v6, 23, 8
	v_and_b32_e32 v7, 0x7fffff, v6
	v_cmp_gt_u32_e64 s[28:29], s47, v29
	v_sub_u32_e32 v6, 0x79, v29
	v_cmp_eq_u32_e32 vcc, 0, v29
	v_cndmask_b32_e64 v6, 0, v6, s[28:29]
	v_mov_b32_e32 v22, 0x78
	v_cndmask_b32_e32 v30, v6, v22, vcc
	v_or_b32_e32 v20, 0x800000, v7
	v_add_u32_e32 v6, 20, v30
	v_cndmask_b32_e32 v20, v20, v7, vcc
	v_lshlrev_b64 v[6:7], v6, -1
	v_add_u32_e32 v22, 19, v30
	v_lshlrev_b64 v[22:23], v22, 1
	v_bfi_b32 v7, v7, 0, 0
	v_bfi_b32 v6, v6, 0, v20
	v_cmp_eq_u64_e64 s[28:29], v[6:7], v[22:23]
	v_lshrrev_b64 v[6:7], v30, v[20:21]
	v_mov_b32_e32 v23, v7
	v_mov_b32_e32 v22, v6
	s_and_saveexec_b64 s[38:39], s[28:29]
; %bb.4171:                             ;   in Loop: Header=BB6_3875 Depth=3
	v_bfe_u32 v7, v6, 20, 1
	v_add_co_u32_e64 v7, s[28:29], v6, v7
	v_add_co_u32_e64 v22, s[28:29], -1, v7
; %bb.4172:                             ;   in Loop: Header=BB6_3875 Depth=3
	s_or_b64 exec, exec, s[38:39]
	v_add_u32_e32 v7, 0xffffff81, v29
	v_mov_b32_e32 v20, 0xffffff82
	v_cndmask_b32_e32 v7, v7, v20, vcc
	v_lshrrev_b32_e32 v20, 23, v6
	v_add3_u32 v29, v30, v7, v20
	v_add_u32_e32 v23, 6, v29
	v_and_b32_e32 v7, 0xfffff, v22
	v_add_u32_e32 v20, v7, v6
	v_cmp_ne_u32_e32 vcc, 0, v23
                                        ; implicit-def: $vgpr6_vgpr7
                                        ; implicit-def: $vgpr22
	s_and_saveexec_b64 s[28:29], vcc
	s_xor_b64 s[28:29], exec, s[28:29]
; %bb.4173:                             ;   in Loop: Header=BB6_3875 Depth=3
	v_cmp_lt_u64_e32 vcc, s[88:89], v[20:21]
	v_add_u32_e32 v6, 7, v29
	v_cndmask_b32_e32 v22, v23, v6, vcc
	v_cndmask_b32_e64 v6, 0, 1, vcc
	v_lshrrev_b64 v[6:7], v6, v[20:21]
; %bb.4174:                             ;   in Loop: Header=BB6_3875 Depth=3
	s_andn2_saveexec_b64 s[28:29], s[28:29]
; %bb.4175:                             ;   in Loop: Header=BB6_3875 Depth=3
	v_mov_b32_e32 v6, v20
	v_bfe_u32 v22, v20, 23, 1
	v_mov_b32_e32 v7, v21
; %bb.4176:                             ;   in Loop: Header=BB6_3875 Depth=3
	s_or_b64 exec, exec, s[28:29]
	v_lshrrev_b64 v[6:7], 20, v[6:7]
	v_cmp_gt_i32_e32 vcc, 16, v22
	v_cndmask_b32_e32 v7, 0, v7, vcc
	v_cndmask_b32_e32 v6, 7, v6, vcc
	v_cmp_eq_u64_e64 s[28:29], 0, v[6:7]
	v_min_i32_e32 v7, 15, v22
	v_lshlrev_b32_e32 v7, 3, v7
	v_cmp_eq_u32_e32 vcc, 0, v22
	v_and_b32_e32 v7, 0xf8, v7
	v_and_or_b32 v6, v6, 7, v7
	s_and_b64 s[28:29], vcc, s[28:29]
	v_cndmask_b32_e64 v6, v6, 0, s[28:29]
	v_or_b32_e32 v6, v6, v28
	buffer_store_dword v6, off, s[0:3], s33 offset:128 ; 4-byte Folded Spill
.LBB6_4177:                             ;   in Loop: Header=BB6_3875 Depth=3
	s_or_b64 exec, exec, s[36:37]
                                        ; implicit-def: $vgpr28
.LBB6_4178:                             ;   in Loop: Header=BB6_3875 Depth=3
	s_andn2_saveexec_b64 s[28:29], s[34:35]
	s_cbranch_execz .LBB6_4180
; %bb.4179:                             ;   in Loop: Header=BB6_3875 Depth=3
	v_or_b32_e32 v6, 0x7e, v28
	buffer_store_dword v6, off, s[0:3], s33 offset:128 ; 4-byte Folded Spill
.LBB6_4180:                             ;   in Loop: Header=BB6_3875 Depth=3
	s_or_b64 exec, exec, s[28:29]
                                        ; implicit-def: $vgpr6
.LBB6_4181:                             ;   in Loop: Header=BB6_3875 Depth=3
	s_andn2_saveexec_b64 s[28:29], s[30:31]
	s_cbranch_execz .LBB6_4183
; %bb.4182:                             ;   in Loop: Header=BB6_3875 Depth=3
	v_or_b32_sdwa v6, v6, s81 dst_sel:DWORD dst_unused:UNUSED_PAD src0_sel:BYTE_3 src1_sel:DWORD
	buffer_store_dword v6, off, s[0:3], s33 offset:128 ; 4-byte Folded Spill
.LBB6_4183:                             ;   in Loop: Header=BB6_3875 Depth=3
	s_or_b64 exec, exec, s[28:29]
	v_cmp_lt_u32_e32 vcc, s57, v50
	v_mov_b32_e32 v7, 0
	v_mov_b32_e32 v20, 0
	s_and_saveexec_b64 s[28:29], vcc
	s_cbranch_execz .LBB6_4189
; %bb.4184:                             ;   in Loop: Header=BB6_3875 Depth=3
	v_lshrrev_b32_e32 v6, 24, v50
	v_cmp_ne_u32_e32 vcc, s80, v6
	v_bfrev_b32_e32 v20, 1
	s_and_saveexec_b64 s[30:31], vcc
	s_cbranch_execz .LBB6_4188
; %bb.4185:                             ;   in Loop: Header=BB6_3875 Depth=3
	v_bfe_u32 v22, v50, 24, 7
	v_cmp_ne_u32_e32 vcc, s81, v22
	v_mov_b32_e32 v20, 0x7f800001
	s_and_saveexec_b64 s[34:35], vcc
	s_cbranch_execz .LBB6_4187
; %bb.4186:                             ;   in Loop: Header=BB6_3875 Depth=3
	v_and_b32_e32 v20, 7, v6
	v_lshrrev_b32_e32 v28, 3, v22
	v_cmp_gt_u32_e32 vcc, 8, v22
	v_ffbh_u32_e32 v22, v20
	v_min_u32_e32 v29, 32, v22
	v_subrev_u32_e32 v22, 28, v29
	v_lshlrev_b64 v[22:23], v22, v[6:7]
	v_sub_u32_e32 v23, 29, v29
	v_and_b32_e32 v22, 7, v22
	v_cndmask_b32_e32 v23, v28, v23, vcc
	v_cndmask_b32_e32 v20, v20, v22, vcc
	v_lshlrev_b32_e32 v6, 24, v6
	v_bfrev_b32_e32 v22, 60
	v_lshlrev_b32_e32 v20, 20, v20
	v_and_b32_e32 v6, 0x80000000, v6
	v_lshl_add_u32 v22, v23, 23, v22
	v_or3_b32 v20, v6, v22, v20
.LBB6_4187:                             ;   in Loop: Header=BB6_3875 Depth=3
	s_or_b64 exec, exec, s[34:35]
.LBB6_4188:                             ;   in Loop: Header=BB6_3875 Depth=3
	s_or_b64 exec, exec, s[30:31]
.LBB6_4189:                             ;   in Loop: Header=BB6_3875 Depth=3
	s_or_b64 exec, exec, s[28:29]
	v_cmp_lt_u32_e32 vcc, s57, v38
	s_and_saveexec_b64 s[28:29], vcc
	s_cbranch_execz .LBB6_4195
; %bb.4190:                             ;   in Loop: Header=BB6_3875 Depth=3
	v_lshrrev_b32_e32 v6, 24, v38
	v_cmp_ne_u32_e32 vcc, s80, v6
	v_bfrev_b32_e32 v7, 1
	s_and_saveexec_b64 s[30:31], vcc
	s_cbranch_execz .LBB6_4194
; %bb.4191:                             ;   in Loop: Header=BB6_3875 Depth=3
	v_bfe_u32 v22, v38, 24, 7
	v_cmp_ne_u32_e32 vcc, s81, v22
	v_mov_b32_e32 v7, 0x7f800001
	s_and_saveexec_b64 s[34:35], vcc
	s_cbranch_execz .LBB6_4193
; %bb.4192:                             ;   in Loop: Header=BB6_3875 Depth=3
	v_and_b32_e32 v7, 7, v6
	v_lshrrev_b32_e32 v28, 3, v22
	v_cmp_gt_u32_e32 vcc, 8, v22
	v_ffbh_u32_e32 v22, v7
	v_min_u32_e32 v29, 32, v22
	v_subrev_u32_e32 v22, 28, v29
	v_lshlrev_b64 v[22:23], v22, v[6:7]
	v_sub_u32_e32 v23, 29, v29
	v_and_b32_e32 v22, 7, v22
	v_cndmask_b32_e32 v23, v28, v23, vcc
	v_cndmask_b32_e32 v7, v7, v22, vcc
	v_lshlrev_b32_e32 v6, 24, v6
	v_bfrev_b32_e32 v22, 60
	v_lshlrev_b32_e32 v7, 20, v7
	v_and_b32_e32 v6, 0x80000000, v6
	v_lshl_add_u32 v22, v23, 23, v22
	v_or3_b32 v7, v6, v22, v7
.LBB6_4193:                             ;   in Loop: Header=BB6_3875 Depth=3
	s_or_b64 exec, exec, s[34:35]
.LBB6_4194:                             ;   in Loop: Header=BB6_3875 Depth=3
	s_or_b64 exec, exec, s[30:31]
.LBB6_4195:                             ;   in Loop: Header=BB6_3875 Depth=3
	s_or_b64 exec, exec, s[28:29]
	v_mul_f32_e32 v6, v20, v7
	v_and_b32_e32 v20, 0x7f800000, v6
	v_cmp_ne_u64_e32 vcc, s[62:63], v[20:21]
                                        ; implicit-def: $vgpr7
                                        ; kill: killed $vgpr7
	s_and_saveexec_b64 s[28:29], vcc
	s_xor_b64 s[30:31], exec, s[28:29]
	s_cbranch_execz .LBB6_4209
; %bb.4196:                             ;   in Loop: Header=BB6_3875 Depth=3
	v_and_b32_e32 v20, 0x7fffffff, v6
	v_cmp_gt_u64_e32 vcc, s[78:79], v[20:21]
	v_and_b32_sdwa v28, v6, s80 dst_sel:DWORD dst_unused:UNUSED_PAD src0_sel:BYTE_3 src1_sel:DWORD
                                        ; implicit-def: $vgpr7
                                        ; kill: killed $vgpr7
	s_and_saveexec_b64 s[28:29], vcc
	s_xor_b64 s[34:35], exec, s[28:29]
	s_cbranch_execz .LBB6_4206
; %bb.4197:                             ;   in Loop: Header=BB6_3875 Depth=3
	v_mov_b32_e32 v7, 0
	v_cmp_ne_u32_e32 vcc, 0, v6
	buffer_store_dword v7, off, s[0:3], s33 offset:132 ; 4-byte Folded Spill
	s_and_saveexec_b64 s[36:37], vcc
	s_cbranch_execz .LBB6_4205
; %bb.4198:                             ;   in Loop: Header=BB6_3875 Depth=3
	v_bfe_u32 v29, v6, 23, 8
	v_and_b32_e32 v7, 0x7fffff, v6
	v_cmp_gt_u32_e64 s[28:29], s47, v29
	v_sub_u32_e32 v6, 0x79, v29
	v_cmp_eq_u32_e32 vcc, 0, v29
	v_cndmask_b32_e64 v6, 0, v6, s[28:29]
	v_mov_b32_e32 v22, 0x78
	v_cndmask_b32_e32 v30, v6, v22, vcc
	v_or_b32_e32 v20, 0x800000, v7
	v_add_u32_e32 v6, 20, v30
	v_cndmask_b32_e32 v20, v20, v7, vcc
	v_lshlrev_b64 v[6:7], v6, -1
	v_add_u32_e32 v22, 19, v30
	v_lshlrev_b64 v[22:23], v22, 1
	v_bfi_b32 v7, v7, 0, 0
	v_bfi_b32 v6, v6, 0, v20
	v_cmp_eq_u64_e64 s[28:29], v[6:7], v[22:23]
	v_lshrrev_b64 v[6:7], v30, v[20:21]
	v_mov_b32_e32 v23, v7
	v_mov_b32_e32 v22, v6
	s_and_saveexec_b64 s[38:39], s[28:29]
; %bb.4199:                             ;   in Loop: Header=BB6_3875 Depth=3
	v_bfe_u32 v7, v6, 20, 1
	v_add_co_u32_e64 v7, s[28:29], v6, v7
	v_add_co_u32_e64 v22, s[28:29], -1, v7
; %bb.4200:                             ;   in Loop: Header=BB6_3875 Depth=3
	s_or_b64 exec, exec, s[38:39]
	v_add_u32_e32 v7, 0xffffff81, v29
	v_mov_b32_e32 v20, 0xffffff82
	v_cndmask_b32_e32 v7, v7, v20, vcc
	v_lshrrev_b32_e32 v20, 23, v6
	v_add3_u32 v29, v30, v7, v20
	v_add_u32_e32 v23, 6, v29
	v_and_b32_e32 v7, 0xfffff, v22
	v_add_u32_e32 v20, v7, v6
	v_cmp_ne_u32_e32 vcc, 0, v23
                                        ; implicit-def: $vgpr6_vgpr7
                                        ; implicit-def: $vgpr22
	s_and_saveexec_b64 s[28:29], vcc
	s_xor_b64 s[28:29], exec, s[28:29]
; %bb.4201:                             ;   in Loop: Header=BB6_3875 Depth=3
	v_cmp_lt_u64_e32 vcc, s[88:89], v[20:21]
	v_add_u32_e32 v6, 7, v29
	v_cndmask_b32_e32 v22, v23, v6, vcc
	v_cndmask_b32_e64 v6, 0, 1, vcc
	v_lshrrev_b64 v[6:7], v6, v[20:21]
; %bb.4202:                             ;   in Loop: Header=BB6_3875 Depth=3
	s_andn2_saveexec_b64 s[28:29], s[28:29]
; %bb.4203:                             ;   in Loop: Header=BB6_3875 Depth=3
	v_mov_b32_e32 v6, v20
	v_bfe_u32 v22, v20, 23, 1
	v_mov_b32_e32 v7, v21
; %bb.4204:                             ;   in Loop: Header=BB6_3875 Depth=3
	s_or_b64 exec, exec, s[28:29]
	v_lshrrev_b64 v[6:7], 20, v[6:7]
	v_cmp_gt_i32_e32 vcc, 16, v22
	v_cndmask_b32_e32 v7, 0, v7, vcc
	v_cndmask_b32_e32 v6, 7, v6, vcc
	v_cmp_eq_u64_e64 s[28:29], 0, v[6:7]
	v_min_i32_e32 v7, 15, v22
	v_lshlrev_b32_e32 v7, 3, v7
	v_cmp_eq_u32_e32 vcc, 0, v22
	v_and_b32_e32 v7, 0xf8, v7
	v_and_or_b32 v6, v6, 7, v7
	s_and_b64 s[28:29], vcc, s[28:29]
	v_cndmask_b32_e64 v6, v6, 0, s[28:29]
	v_or_b32_e32 v6, v6, v28
	buffer_store_dword v6, off, s[0:3], s33 offset:132 ; 4-byte Folded Spill
.LBB6_4205:                             ;   in Loop: Header=BB6_3875 Depth=3
	s_or_b64 exec, exec, s[36:37]
                                        ; implicit-def: $vgpr28
.LBB6_4206:                             ;   in Loop: Header=BB6_3875 Depth=3
	s_andn2_saveexec_b64 s[28:29], s[34:35]
	s_cbranch_execz .LBB6_4208
; %bb.4207:                             ;   in Loop: Header=BB6_3875 Depth=3
	v_or_b32_e32 v6, 0x7e, v28
	buffer_store_dword v6, off, s[0:3], s33 offset:132 ; 4-byte Folded Spill
.LBB6_4208:                             ;   in Loop: Header=BB6_3875 Depth=3
	s_or_b64 exec, exec, s[28:29]
                                        ; implicit-def: $vgpr6
.LBB6_4209:                             ;   in Loop: Header=BB6_3875 Depth=3
	s_andn2_saveexec_b64 s[28:29], s[30:31]
	s_cbranch_execz .LBB6_4211
; %bb.4210:                             ;   in Loop: Header=BB6_3875 Depth=3
	v_or_b32_sdwa v6, v6, s81 dst_sel:DWORD dst_unused:UNUSED_PAD src0_sel:BYTE_3 src1_sel:DWORD
	buffer_store_dword v6, off, s[0:3], s33 offset:132 ; 4-byte Folded Spill
.LBB6_4211:                             ;   in Loop: Header=BB6_3875 Depth=3
	s_or_b64 exec, exec, s[28:29]
	v_mov_b32_e32 v20, v51
	v_cmp_ne_u16_sdwa vcc, v51, v21 src0_sel:BYTE_0 src1_sel:DWORD
	v_mov_b32_e32 v7, 0
	v_mov_b32_e32 v6, 0
	s_and_saveexec_b64 s[28:29], vcc
	s_cbranch_execz .LBB6_4217
; %bb.4212:                             ;   in Loop: Header=BB6_3875 Depth=3
	v_cmp_ne_u16_sdwa vcc, v51, s80 src0_sel:BYTE_0 src1_sel:DWORD
	v_bfrev_b32_e32 v6, 1
	s_and_saveexec_b64 s[30:31], vcc
	s_cbranch_execz .LBB6_4216
; %bb.4213:                             ;   in Loop: Header=BB6_3875 Depth=3
	v_and_b32_e32 v22, 0x7f, v51
	v_cmp_ne_u32_e32 vcc, s81, v22
	v_mov_b32_e32 v6, 0x7f800001
	s_and_saveexec_b64 s[34:35], vcc
	s_cbranch_execz .LBB6_4215
; %bb.4214:                             ;   in Loop: Header=BB6_3875 Depth=3
	v_and_b32_e32 v6, 7, v51
	v_ffbh_u32_e32 v6, v6
	v_min_u32_e32 v6, 32, v6
	v_lshrrev_b32_e32 v23, 3, v22
	v_cmp_gt_u32_e32 vcc, 8, v22
	v_subrev_u32_e32 v22, 28, v6
	v_sub_u32_e32 v6, 29, v6
	v_cndmask_b32_e32 v22, 0, v22, vcc
	v_cndmask_b32_e32 v6, v23, v6, vcc
	v_lshlrev_b64 v[22:23], v22, v[20:21]
	v_lshlrev_b32_e32 v23, 24, v20
	v_lshlrev_b32_e32 v22, 20, v22
	v_bfrev_b32_e32 v28, 60
	v_and_b32_e32 v22, 0x700000, v22
	v_and_b32_e32 v23, 0x80000000, v23
	v_lshl_add_u32 v6, v6, 23, v28
	v_or3_b32 v6, v23, v6, v22
.LBB6_4215:                             ;   in Loop: Header=BB6_3875 Depth=3
	s_or_b64 exec, exec, s[34:35]
.LBB6_4216:                             ;   in Loop: Header=BB6_3875 Depth=3
	s_or_b64 exec, exec, s[30:31]
.LBB6_4217:                             ;   in Loop: Header=BB6_3875 Depth=3
	s_or_b64 exec, exec, s[28:29]
	v_cmp_ne_u16_sdwa vcc, v39, v21 src0_sel:BYTE_0 src1_sel:DWORD
	s_and_saveexec_b64 s[28:29], vcc
	s_cbranch_execz .LBB6_4223
; %bb.4218:                             ;   in Loop: Header=BB6_3875 Depth=3
	v_cmp_ne_u16_sdwa vcc, v39, s80 src0_sel:BYTE_0 src1_sel:DWORD
	v_bfrev_b32_e32 v7, 1
	s_and_saveexec_b64 s[30:31], vcc
	s_cbranch_execz .LBB6_4222
; %bb.4219:                             ;   in Loop: Header=BB6_3875 Depth=3
	v_and_b32_e32 v22, 0x7f, v39
	v_cmp_ne_u32_e32 vcc, s81, v22
	v_mov_b32_e32 v7, 0x7f800001
	s_and_saveexec_b64 s[34:35], vcc
	s_cbranch_execz .LBB6_4221
; %bb.4220:                             ;   in Loop: Header=BB6_3875 Depth=3
	v_and_b32_e32 v7, 7, v39
	v_ffbh_u32_e32 v7, v7
	v_min_u32_e32 v7, 32, v7
	v_lshrrev_b32_e32 v23, 3, v22
	v_cmp_gt_u32_e32 vcc, 8, v22
	v_subrev_u32_e32 v22, 28, v7
	v_mov_b32_e32 v28, v39
	v_mov_b32_e32 v29, v21
	v_sub_u32_e32 v7, 29, v7
	v_cndmask_b32_e32 v22, 0, v22, vcc
	v_cndmask_b32_e32 v7, v23, v7, vcc
	v_lshlrev_b64 v[22:23], v22, v[28:29]
	v_lshlrev_b32_e32 v23, 24, v28
	v_lshlrev_b32_e32 v22, 20, v22
	v_bfrev_b32_e32 v28, 60
	v_and_b32_e32 v22, 0x700000, v22
	v_and_b32_e32 v23, 0x80000000, v23
	v_lshl_add_u32 v7, v7, 23, v28
	v_or3_b32 v7, v23, v7, v22
.LBB6_4221:                             ;   in Loop: Header=BB6_3875 Depth=3
	s_or_b64 exec, exec, s[34:35]
.LBB6_4222:                             ;   in Loop: Header=BB6_3875 Depth=3
	s_or_b64 exec, exec, s[30:31]
.LBB6_4223:                             ;   in Loop: Header=BB6_3875 Depth=3
	s_or_b64 exec, exec, s[28:29]
	v_mul_f32_e32 v6, v6, v7
	v_and_b32_e32 v22, 0x7f800000, v6
	v_mov_b32_e32 v23, v21
	v_cmp_ne_u64_e32 vcc, s[62:63], v[22:23]
                                        ; implicit-def: $vgpr7
                                        ; kill: killed $vgpr7
	s_and_saveexec_b64 s[28:29], vcc
	s_xor_b64 s[30:31], exec, s[28:29]
	s_cbranch_execz .LBB6_4237
; %bb.4224:                             ;   in Loop: Header=BB6_3875 Depth=3
	v_and_b32_e32 v22, 0x7fffffff, v6
	v_mov_b32_e32 v23, v21
	v_cmp_gt_u64_e32 vcc, s[78:79], v[22:23]
	v_and_b32_sdwa v28, v6, s80 dst_sel:DWORD dst_unused:UNUSED_PAD src0_sel:BYTE_3 src1_sel:DWORD
                                        ; implicit-def: $vgpr7
                                        ; kill: killed $vgpr7
	s_and_saveexec_b64 s[28:29], vcc
	s_xor_b64 s[34:35], exec, s[28:29]
	s_cbranch_execz .LBB6_4234
; %bb.4225:                             ;   in Loop: Header=BB6_3875 Depth=3
	v_mov_b32_e32 v7, 0
	v_cmp_ne_u32_e32 vcc, 0, v6
	buffer_store_dword v7, off, s[0:3], s33 offset:136 ; 4-byte Folded Spill
	s_and_saveexec_b64 s[36:37], vcc
	s_cbranch_execz .LBB6_4233
; %bb.4226:                             ;   in Loop: Header=BB6_3875 Depth=3
	v_bfe_u32 v29, v6, 23, 8
	v_and_b32_e32 v7, 0x7fffff, v6
	v_cmp_gt_u32_e64 s[28:29], s47, v29
	v_sub_u32_e32 v6, 0x79, v29
	v_cmp_eq_u32_e32 vcc, 0, v29
	v_cndmask_b32_e64 v6, 0, v6, s[28:29]
	v_mov_b32_e32 v23, 0x78
	v_or_b32_e32 v22, 0x800000, v7
	v_cndmask_b32_e32 v30, v6, v23, vcc
	v_cndmask_b32_e32 v6, v22, v7, vcc
	v_add_u32_e32 v22, 20, v30
	v_lshlrev_b64 v[22:23], v22, -1
	v_mov_b32_e32 v7, v21
	v_add_u32_e32 v36, 19, v30
	v_bfi_b32 v22, v22, 0, v6
	v_lshlrev_b64 v[36:37], v36, 1
	v_lshrrev_b64 v[6:7], v30, v[6:7]
	v_bfi_b32 v23, v23, 0, 0
	v_cmp_eq_u64_e64 s[28:29], v[22:23], v[36:37]
	v_mov_b32_e32 v23, v7
	v_mov_b32_e32 v22, v6
	s_and_saveexec_b64 s[38:39], s[28:29]
; %bb.4227:                             ;   in Loop: Header=BB6_3875 Depth=3
	v_bfe_u32 v7, v6, 20, 1
	v_add_co_u32_e64 v7, s[28:29], v6, v7
	v_add_co_u32_e64 v22, s[28:29], -1, v7
; %bb.4228:                             ;   in Loop: Header=BB6_3875 Depth=3
	s_or_b64 exec, exec, s[38:39]
	v_add_u32_e32 v7, 0xffffff81, v29
	v_mov_b32_e32 v23, 0xffffff82
	v_cndmask_b32_e32 v7, v7, v23, vcc
	v_lshrrev_b32_e32 v23, 23, v6
	v_add3_u32 v23, v30, v7, v23
	v_add_u32_e32 v7, 6, v23
	v_and_b32_e32 v22, 0xfffff, v22
	v_add_u32_e32 v36, v22, v6
	v_mov_b32_e32 v37, v21
	v_cmp_ne_u32_e32 vcc, 0, v7
                                        ; implicit-def: $vgpr6
	s_and_saveexec_b64 s[28:29], vcc
	s_xor_b64 s[28:29], exec, s[28:29]
; %bb.4229:                             ;   in Loop: Header=BB6_3875 Depth=3
	v_cmp_lt_u64_e32 vcc, s[88:89], v[36:37]
	v_add_u32_e32 v6, 7, v23
	v_cndmask_b32_e32 v6, v7, v6, vcc
	v_cndmask_b32_e64 v7, 0, 1, vcc
	v_lshrrev_b64 v[36:37], v7, v[36:37]
; %bb.4230:                             ;   in Loop: Header=BB6_3875 Depth=3
	s_andn2_saveexec_b64 s[28:29], s[28:29]
; %bb.4231:                             ;   in Loop: Header=BB6_3875 Depth=3
	v_bfe_u32 v6, v36, 23, 1
; %bb.4232:                             ;   in Loop: Header=BB6_3875 Depth=3
	s_or_b64 exec, exec, s[28:29]
	v_lshrrev_b64 v[22:23], 20, v[36:37]
	v_cmp_gt_i32_e32 vcc, 16, v6
	v_cndmask_b32_e32 v23, 0, v23, vcc
	v_cndmask_b32_e32 v22, 7, v22, vcc
	v_cmp_eq_u32_e32 vcc, 0, v6
	v_min_i32_e32 v6, 15, v6
	v_cmp_eq_u64_e64 s[28:29], 0, v[22:23]
	v_lshlrev_b32_e32 v6, 3, v6
	v_and_b32_e32 v6, 0xf8, v6
	v_and_or_b32 v6, v22, 7, v6
	s_and_b64 s[28:29], vcc, s[28:29]
	v_cndmask_b32_e64 v6, v6, 0, s[28:29]
	v_or_b32_e32 v6, v6, v28
	buffer_store_dword v6, off, s[0:3], s33 offset:136 ; 4-byte Folded Spill
.LBB6_4233:                             ;   in Loop: Header=BB6_3875 Depth=3
	s_or_b64 exec, exec, s[36:37]
                                        ; implicit-def: $vgpr28
.LBB6_4234:                             ;   in Loop: Header=BB6_3875 Depth=3
	s_andn2_saveexec_b64 s[28:29], s[34:35]
	s_cbranch_execz .LBB6_4236
; %bb.4235:                             ;   in Loop: Header=BB6_3875 Depth=3
	v_or_b32_e32 v6, 0x7e, v28
	buffer_store_dword v6, off, s[0:3], s33 offset:136 ; 4-byte Folded Spill
.LBB6_4236:                             ;   in Loop: Header=BB6_3875 Depth=3
	s_or_b64 exec, exec, s[28:29]
                                        ; implicit-def: $vgpr6
.LBB6_4237:                             ;   in Loop: Header=BB6_3875 Depth=3
	s_andn2_saveexec_b64 s[28:29], s[30:31]
	s_cbranch_execz .LBB6_4239
; %bb.4238:                             ;   in Loop: Header=BB6_3875 Depth=3
	v_or_b32_sdwa v6, v6, s81 dst_sel:DWORD dst_unused:UNUSED_PAD src0_sel:BYTE_3 src1_sel:DWORD
	buffer_store_dword v6, off, s[0:3], s33 offset:136 ; 4-byte Folded Spill
.LBB6_4239:                             ;   in Loop: Header=BB6_3875 Depth=3
	s_or_b64 exec, exec, s[28:29]
	v_lshrrev_b16_e32 v6, 8, v20
	v_cmp_ne_u16_e32 vcc, 0, v6
	v_mov_b32_e32 v7, 0
	v_mov_b32_e32 v22, 0
	s_and_saveexec_b64 s[28:29], vcc
	s_cbranch_execz .LBB6_4245
; %bb.4240:                             ;   in Loop: Header=BB6_3875 Depth=3
	v_cmp_ne_u16_e32 vcc, s80, v6
	v_bfrev_b32_e32 v22, 1
	s_and_saveexec_b64 s[30:31], vcc
	s_cbranch_execz .LBB6_4244
; %bb.4241:                             ;   in Loop: Header=BB6_3875 Depth=3
	v_and_b32_e32 v23, 0x7f, v6
	v_cmp_ne_u32_e32 vcc, s81, v23
	v_mov_b32_e32 v22, 0x7f800001
	s_and_saveexec_b64 s[34:35], vcc
	s_cbranch_execz .LBB6_4243
; %bb.4242:                             ;   in Loop: Header=BB6_3875 Depth=3
	v_and_b32_e32 v28, 7, v6
	v_ffbh_u32_e32 v22, v28
	v_min_u32_e32 v30, 32, v22
	v_subrev_u32_e32 v22, 28, v30
	v_lshrrev_b32_e32 v29, 3, v23
	v_cmp_gt_u32_e32 vcc, 8, v23
	v_lshlrev_b64 v[22:23], v22, v[6:7]
	v_sub_u32_e32 v6, 29, v30
	v_and_b32_e32 v22, 7, v22
	v_cndmask_b32_e32 v6, v29, v6, vcc
	v_cndmask_b32_e32 v22, v28, v22, vcc
	v_lshlrev_b32_e32 v20, 16, v20
	v_bfrev_b32_e32 v23, 60
	v_lshlrev_b32_e32 v22, 20, v22
	v_and_b32_e32 v20, 0x80000000, v20
	v_lshl_add_u32 v6, v6, 23, v23
	v_or3_b32 v22, v20, v6, v22
.LBB6_4243:                             ;   in Loop: Header=BB6_3875 Depth=3
	s_or_b64 exec, exec, s[34:35]
.LBB6_4244:                             ;   in Loop: Header=BB6_3875 Depth=3
	s_or_b64 exec, exec, s[30:31]
.LBB6_4245:                             ;   in Loop: Header=BB6_3875 Depth=3
	s_or_b64 exec, exec, s[28:29]
	v_lshrrev_b16_e32 v6, 8, v39
	v_cmp_ne_u16_e32 vcc, 0, v6
	s_and_saveexec_b64 s[28:29], vcc
	s_cbranch_execz .LBB6_4251
; %bb.4246:                             ;   in Loop: Header=BB6_3875 Depth=3
	v_cmp_ne_u16_e32 vcc, s80, v6
	v_bfrev_b32_e32 v7, 1
	s_and_saveexec_b64 s[30:31], vcc
	s_cbranch_execz .LBB6_4250
; %bb.4247:                             ;   in Loop: Header=BB6_3875 Depth=3
	v_and_b32_e32 v20, 0x7f, v6
	v_cmp_ne_u32_e32 vcc, s81, v20
	v_mov_b32_e32 v7, 0x7f800001
	s_and_saveexec_b64 s[34:35], vcc
	s_cbranch_execz .LBB6_4249
; %bb.4248:                             ;   in Loop: Header=BB6_3875 Depth=3
	v_and_b32_e32 v23, 7, v6
	v_ffbh_u32_e32 v7, v23
	v_lshrrev_b32_e32 v28, 3, v20
	v_cmp_gt_u32_e32 vcc, 8, v20
	v_min_u32_e32 v20, 32, v7
	v_subrev_u32_e32 v7, 28, v20
	v_lshlrev_b64 v[6:7], v7, v[6:7]
	v_sub_u32_e32 v7, 29, v20
	v_and_b32_e32 v6, 7, v6
	v_cndmask_b32_e32 v7, v28, v7, vcc
	v_cndmask_b32_e32 v6, v23, v6, vcc
	v_lshlrev_b32_e32 v20, 16, v39
	v_bfrev_b32_e32 v23, 60
	v_lshlrev_b32_e32 v6, 20, v6
	v_and_b32_e32 v20, 0x80000000, v20
	v_lshl_add_u32 v7, v7, 23, v23
	v_or3_b32 v7, v20, v7, v6
.LBB6_4249:                             ;   in Loop: Header=BB6_3875 Depth=3
	s_or_b64 exec, exec, s[34:35]
.LBB6_4250:                             ;   in Loop: Header=BB6_3875 Depth=3
	s_or_b64 exec, exec, s[30:31]
.LBB6_4251:                             ;   in Loop: Header=BB6_3875 Depth=3
	s_or_b64 exec, exec, s[28:29]
	v_mul_f32_e32 v6, v22, v7
	v_and_b32_e32 v20, 0x7f800000, v6
	v_cmp_ne_u64_e32 vcc, s[62:63], v[20:21]
                                        ; implicit-def: $vgpr7
                                        ; kill: killed $vgpr7
	s_and_saveexec_b64 s[28:29], vcc
	s_xor_b64 s[30:31], exec, s[28:29]
	s_cbranch_execz .LBB6_4265
; %bb.4252:                             ;   in Loop: Header=BB6_3875 Depth=3
	v_and_b32_e32 v20, 0x7fffffff, v6
	v_cmp_gt_u64_e32 vcc, s[78:79], v[20:21]
	v_and_b32_sdwa v28, v6, s80 dst_sel:DWORD dst_unused:UNUSED_PAD src0_sel:BYTE_3 src1_sel:DWORD
                                        ; implicit-def: $vgpr7
                                        ; kill: killed $vgpr7
	s_and_saveexec_b64 s[28:29], vcc
	s_xor_b64 s[34:35], exec, s[28:29]
	s_cbranch_execz .LBB6_4262
; %bb.4253:                             ;   in Loop: Header=BB6_3875 Depth=3
	v_mov_b32_e32 v7, 0
	v_cmp_ne_u32_e32 vcc, 0, v6
	buffer_store_dword v7, off, s[0:3], s33 offset:140 ; 4-byte Folded Spill
	s_and_saveexec_b64 s[36:37], vcc
	s_cbranch_execz .LBB6_4261
; %bb.4254:                             ;   in Loop: Header=BB6_3875 Depth=3
	v_bfe_u32 v29, v6, 23, 8
	v_and_b32_e32 v7, 0x7fffff, v6
	v_cmp_gt_u32_e64 s[28:29], s47, v29
	v_sub_u32_e32 v6, 0x79, v29
	v_cmp_eq_u32_e32 vcc, 0, v29
	v_cndmask_b32_e64 v6, 0, v6, s[28:29]
	v_mov_b32_e32 v22, 0x78
	v_cndmask_b32_e32 v30, v6, v22, vcc
	v_or_b32_e32 v20, 0x800000, v7
	v_add_u32_e32 v6, 20, v30
	v_cndmask_b32_e32 v20, v20, v7, vcc
	v_lshlrev_b64 v[6:7], v6, -1
	v_add_u32_e32 v22, 19, v30
	v_lshlrev_b64 v[22:23], v22, 1
	v_bfi_b32 v7, v7, 0, 0
	v_bfi_b32 v6, v6, 0, v20
	v_cmp_eq_u64_e64 s[28:29], v[6:7], v[22:23]
	v_lshrrev_b64 v[6:7], v30, v[20:21]
	v_mov_b32_e32 v23, v7
	v_mov_b32_e32 v22, v6
	s_and_saveexec_b64 s[38:39], s[28:29]
; %bb.4255:                             ;   in Loop: Header=BB6_3875 Depth=3
	v_bfe_u32 v7, v6, 20, 1
	v_add_co_u32_e64 v7, s[28:29], v6, v7
	v_add_co_u32_e64 v22, s[28:29], -1, v7
; %bb.4256:                             ;   in Loop: Header=BB6_3875 Depth=3
	s_or_b64 exec, exec, s[38:39]
	v_add_u32_e32 v7, 0xffffff81, v29
	v_mov_b32_e32 v20, 0xffffff82
	v_cndmask_b32_e32 v7, v7, v20, vcc
	v_lshrrev_b32_e32 v20, 23, v6
	v_add3_u32 v29, v30, v7, v20
	v_add_u32_e32 v23, 6, v29
	v_and_b32_e32 v7, 0xfffff, v22
	v_add_u32_e32 v20, v7, v6
	v_cmp_ne_u32_e32 vcc, 0, v23
                                        ; implicit-def: $vgpr6_vgpr7
                                        ; implicit-def: $vgpr22
	s_and_saveexec_b64 s[28:29], vcc
	s_xor_b64 s[28:29], exec, s[28:29]
; %bb.4257:                             ;   in Loop: Header=BB6_3875 Depth=3
	v_cmp_lt_u64_e32 vcc, s[88:89], v[20:21]
	v_add_u32_e32 v6, 7, v29
	v_cndmask_b32_e32 v22, v23, v6, vcc
	v_cndmask_b32_e64 v6, 0, 1, vcc
	v_lshrrev_b64 v[6:7], v6, v[20:21]
; %bb.4258:                             ;   in Loop: Header=BB6_3875 Depth=3
	s_andn2_saveexec_b64 s[28:29], s[28:29]
; %bb.4259:                             ;   in Loop: Header=BB6_3875 Depth=3
	v_mov_b32_e32 v6, v20
	v_bfe_u32 v22, v20, 23, 1
	v_mov_b32_e32 v7, v21
; %bb.4260:                             ;   in Loop: Header=BB6_3875 Depth=3
	s_or_b64 exec, exec, s[28:29]
	v_lshrrev_b64 v[6:7], 20, v[6:7]
	v_cmp_gt_i32_e32 vcc, 16, v22
	v_cndmask_b32_e32 v7, 0, v7, vcc
	v_cndmask_b32_e32 v6, 7, v6, vcc
	v_cmp_eq_u64_e64 s[28:29], 0, v[6:7]
	v_min_i32_e32 v7, 15, v22
	v_lshlrev_b32_e32 v7, 3, v7
	v_cmp_eq_u32_e32 vcc, 0, v22
	v_and_b32_e32 v7, 0xf8, v7
	v_and_or_b32 v6, v6, 7, v7
	s_and_b64 s[28:29], vcc, s[28:29]
	v_cndmask_b32_e64 v6, v6, 0, s[28:29]
	v_or_b32_e32 v6, v6, v28
	buffer_store_dword v6, off, s[0:3], s33 offset:140 ; 4-byte Folded Spill
.LBB6_4261:                             ;   in Loop: Header=BB6_3875 Depth=3
	s_or_b64 exec, exec, s[36:37]
                                        ; implicit-def: $vgpr28
.LBB6_4262:                             ;   in Loop: Header=BB6_3875 Depth=3
	s_andn2_saveexec_b64 s[28:29], s[34:35]
	s_cbranch_execz .LBB6_4264
; %bb.4263:                             ;   in Loop: Header=BB6_3875 Depth=3
	v_or_b32_e32 v6, 0x7e, v28
	buffer_store_dword v6, off, s[0:3], s33 offset:140 ; 4-byte Folded Spill
.LBB6_4264:                             ;   in Loop: Header=BB6_3875 Depth=3
	s_or_b64 exec, exec, s[28:29]
                                        ; implicit-def: $vgpr6
.LBB6_4265:                             ;   in Loop: Header=BB6_3875 Depth=3
	s_andn2_saveexec_b64 s[28:29], s[30:31]
	s_cbranch_execz .LBB6_4267
; %bb.4266:                             ;   in Loop: Header=BB6_3875 Depth=3
	v_or_b32_sdwa v6, v6, s81 dst_sel:DWORD dst_unused:UNUSED_PAD src0_sel:BYTE_3 src1_sel:DWORD
	buffer_store_dword v6, off, s[0:3], s33 offset:140 ; 4-byte Folded Spill
.LBB6_4267:                             ;   in Loop: Header=BB6_3875 Depth=3
	s_or_b64 exec, exec, s[28:29]
	v_lshrrev_b32_e32 v6, 16, v51
	v_cmp_ne_u16_sdwa vcc, v6, v21 src0_sel:BYTE_0 src1_sel:DWORD
	v_mov_b32_e32 v7, 0
	v_mov_b32_e32 v20, 0
	s_and_saveexec_b64 s[28:29], vcc
	s_cbranch_execz .LBB6_4273
; %bb.4268:                             ;   in Loop: Header=BB6_3875 Depth=3
	v_cmp_ne_u16_sdwa vcc, v6, s80 src0_sel:BYTE_0 src1_sel:DWORD
	v_bfrev_b32_e32 v20, 1
	s_and_saveexec_b64 s[30:31], vcc
	s_cbranch_execz .LBB6_4272
; %bb.4269:                             ;   in Loop: Header=BB6_3875 Depth=3
	v_bfe_u32 v22, v51, 16, 7
	v_cmp_ne_u32_e32 vcc, s81, v22
	v_mov_b32_e32 v20, 0x7f800001
	s_and_saveexec_b64 s[34:35], vcc
	s_cbranch_execz .LBB6_4271
; %bb.4270:                             ;   in Loop: Header=BB6_3875 Depth=3
	v_and_b32_e32 v20, 7, v6
	v_lshrrev_b32_e32 v28, 3, v22
	v_cmp_gt_u32_e32 vcc, 8, v22
	v_ffbh_u32_e32 v22, v20
	v_min_u32_e32 v29, 32, v22
	v_subrev_u32_e32 v22, 28, v29
	v_lshlrev_b64 v[22:23], v22, v[6:7]
	v_sub_u32_e32 v23, 29, v29
	v_and_b32_e32 v22, 7, v22
	v_cndmask_b32_e32 v23, v28, v23, vcc
	v_cndmask_b32_e32 v20, v20, v22, vcc
	v_lshlrev_b32_e32 v6, 24, v6
	v_bfrev_b32_e32 v22, 60
	v_lshlrev_b32_e32 v20, 20, v20
	v_and_b32_e32 v6, 0x80000000, v6
	v_lshl_add_u32 v22, v23, 23, v22
	v_or3_b32 v20, v6, v22, v20
.LBB6_4271:                             ;   in Loop: Header=BB6_3875 Depth=3
	s_or_b64 exec, exec, s[34:35]
.LBB6_4272:                             ;   in Loop: Header=BB6_3875 Depth=3
	s_or_b64 exec, exec, s[30:31]
.LBB6_4273:                             ;   in Loop: Header=BB6_3875 Depth=3
	s_or_b64 exec, exec, s[28:29]
	v_lshrrev_b32_e32 v6, 16, v39
	v_cmp_ne_u16_sdwa vcc, v6, v21 src0_sel:BYTE_0 src1_sel:DWORD
	s_and_saveexec_b64 s[28:29], vcc
	s_cbranch_execz .LBB6_4279
; %bb.4274:                             ;   in Loop: Header=BB6_3875 Depth=3
	v_cmp_ne_u16_sdwa vcc, v6, s80 src0_sel:BYTE_0 src1_sel:DWORD
	v_bfrev_b32_e32 v7, 1
	s_and_saveexec_b64 s[30:31], vcc
	s_cbranch_execz .LBB6_4278
; %bb.4275:                             ;   in Loop: Header=BB6_3875 Depth=3
	v_bfe_u32 v22, v39, 16, 7
	v_cmp_ne_u32_e32 vcc, s81, v22
	v_mov_b32_e32 v7, 0x7f800001
	s_and_saveexec_b64 s[34:35], vcc
	s_cbranch_execz .LBB6_4277
; %bb.4276:                             ;   in Loop: Header=BB6_3875 Depth=3
	v_and_b32_e32 v23, 7, v6
	v_ffbh_u32_e32 v7, v23
	v_lshrrev_b32_e32 v28, 3, v22
	v_cmp_gt_u32_e32 vcc, 8, v22
	v_min_u32_e32 v22, 32, v7
	v_subrev_u32_e32 v7, 28, v22
	v_lshlrev_b64 v[6:7], v7, v[6:7]
	v_sub_u32_e32 v7, 29, v22
	v_and_b32_e32 v6, 7, v6
	v_cndmask_b32_e32 v7, v28, v7, vcc
	v_cndmask_b32_e32 v6, v23, v6, vcc
	v_lshlrev_b32_e32 v22, 8, v39
	v_bfrev_b32_e32 v23, 60
	v_lshlrev_b32_e32 v6, 20, v6
	v_and_b32_e32 v22, 0x80000000, v22
	v_lshl_add_u32 v7, v7, 23, v23
	v_or3_b32 v7, v22, v7, v6
.LBB6_4277:                             ;   in Loop: Header=BB6_3875 Depth=3
	s_or_b64 exec, exec, s[34:35]
.LBB6_4278:                             ;   in Loop: Header=BB6_3875 Depth=3
	s_or_b64 exec, exec, s[30:31]
.LBB6_4279:                             ;   in Loop: Header=BB6_3875 Depth=3
	s_or_b64 exec, exec, s[28:29]
	v_mul_f32_e32 v6, v20, v7
	v_and_b32_e32 v20, 0x7f800000, v6
	v_cmp_ne_u64_e32 vcc, s[62:63], v[20:21]
                                        ; implicit-def: $vgpr7
                                        ; kill: killed $vgpr7
	s_and_saveexec_b64 s[28:29], vcc
	s_xor_b64 s[30:31], exec, s[28:29]
	s_cbranch_execz .LBB6_4293
; %bb.4280:                             ;   in Loop: Header=BB6_3875 Depth=3
	v_and_b32_e32 v20, 0x7fffffff, v6
	v_cmp_gt_u64_e32 vcc, s[78:79], v[20:21]
	v_and_b32_sdwa v28, v6, s80 dst_sel:DWORD dst_unused:UNUSED_PAD src0_sel:BYTE_3 src1_sel:DWORD
                                        ; implicit-def: $vgpr7
                                        ; kill: killed $vgpr7
	s_and_saveexec_b64 s[28:29], vcc
	s_xor_b64 s[34:35], exec, s[28:29]
	s_cbranch_execz .LBB6_4290
; %bb.4281:                             ;   in Loop: Header=BB6_3875 Depth=3
	v_mov_b32_e32 v7, 0
	v_cmp_ne_u32_e32 vcc, 0, v6
	buffer_store_dword v7, off, s[0:3], s33 offset:144 ; 4-byte Folded Spill
	s_and_saveexec_b64 s[36:37], vcc
	s_cbranch_execz .LBB6_4289
; %bb.4282:                             ;   in Loop: Header=BB6_3875 Depth=3
	v_bfe_u32 v29, v6, 23, 8
	v_and_b32_e32 v7, 0x7fffff, v6
	v_cmp_gt_u32_e64 s[28:29], s47, v29
	v_sub_u32_e32 v6, 0x79, v29
	v_cmp_eq_u32_e32 vcc, 0, v29
	v_cndmask_b32_e64 v6, 0, v6, s[28:29]
	v_mov_b32_e32 v22, 0x78
	v_cndmask_b32_e32 v30, v6, v22, vcc
	v_or_b32_e32 v20, 0x800000, v7
	v_add_u32_e32 v6, 20, v30
	v_cndmask_b32_e32 v20, v20, v7, vcc
	v_lshlrev_b64 v[6:7], v6, -1
	v_add_u32_e32 v22, 19, v30
	v_lshlrev_b64 v[22:23], v22, 1
	v_bfi_b32 v7, v7, 0, 0
	v_bfi_b32 v6, v6, 0, v20
	v_cmp_eq_u64_e64 s[28:29], v[6:7], v[22:23]
	v_lshrrev_b64 v[6:7], v30, v[20:21]
	v_mov_b32_e32 v23, v7
	v_mov_b32_e32 v22, v6
	s_and_saveexec_b64 s[38:39], s[28:29]
; %bb.4283:                             ;   in Loop: Header=BB6_3875 Depth=3
	v_bfe_u32 v7, v6, 20, 1
	v_add_co_u32_e64 v7, s[28:29], v6, v7
	v_add_co_u32_e64 v22, s[28:29], -1, v7
; %bb.4284:                             ;   in Loop: Header=BB6_3875 Depth=3
	s_or_b64 exec, exec, s[38:39]
	v_add_u32_e32 v7, 0xffffff81, v29
	v_mov_b32_e32 v20, 0xffffff82
	v_cndmask_b32_e32 v7, v7, v20, vcc
	v_lshrrev_b32_e32 v20, 23, v6
	v_add3_u32 v29, v30, v7, v20
	v_add_u32_e32 v23, 6, v29
	v_and_b32_e32 v7, 0xfffff, v22
	v_add_u32_e32 v20, v7, v6
	v_cmp_ne_u32_e32 vcc, 0, v23
                                        ; implicit-def: $vgpr6_vgpr7
                                        ; implicit-def: $vgpr22
	s_and_saveexec_b64 s[28:29], vcc
	s_xor_b64 s[28:29], exec, s[28:29]
; %bb.4285:                             ;   in Loop: Header=BB6_3875 Depth=3
	v_cmp_lt_u64_e32 vcc, s[88:89], v[20:21]
	v_add_u32_e32 v6, 7, v29
	v_cndmask_b32_e32 v22, v23, v6, vcc
	v_cndmask_b32_e64 v6, 0, 1, vcc
	v_lshrrev_b64 v[6:7], v6, v[20:21]
; %bb.4286:                             ;   in Loop: Header=BB6_3875 Depth=3
	s_andn2_saveexec_b64 s[28:29], s[28:29]
; %bb.4287:                             ;   in Loop: Header=BB6_3875 Depth=3
	v_mov_b32_e32 v6, v20
	v_bfe_u32 v22, v20, 23, 1
	v_mov_b32_e32 v7, v21
; %bb.4288:                             ;   in Loop: Header=BB6_3875 Depth=3
	s_or_b64 exec, exec, s[28:29]
	v_lshrrev_b64 v[6:7], 20, v[6:7]
	v_cmp_gt_i32_e32 vcc, 16, v22
	v_cndmask_b32_e32 v7, 0, v7, vcc
	v_cndmask_b32_e32 v6, 7, v6, vcc
	v_cmp_eq_u64_e64 s[28:29], 0, v[6:7]
	v_min_i32_e32 v7, 15, v22
	v_lshlrev_b32_e32 v7, 3, v7
	v_cmp_eq_u32_e32 vcc, 0, v22
	v_and_b32_e32 v7, 0xf8, v7
	v_and_or_b32 v6, v6, 7, v7
	s_and_b64 s[28:29], vcc, s[28:29]
	v_cndmask_b32_e64 v6, v6, 0, s[28:29]
	v_or_b32_e32 v6, v6, v28
	buffer_store_dword v6, off, s[0:3], s33 offset:144 ; 4-byte Folded Spill
.LBB6_4289:                             ;   in Loop: Header=BB6_3875 Depth=3
	s_or_b64 exec, exec, s[36:37]
                                        ; implicit-def: $vgpr28
.LBB6_4290:                             ;   in Loop: Header=BB6_3875 Depth=3
	s_andn2_saveexec_b64 s[28:29], s[34:35]
	s_cbranch_execz .LBB6_4292
; %bb.4291:                             ;   in Loop: Header=BB6_3875 Depth=3
	v_or_b32_e32 v6, 0x7e, v28
	buffer_store_dword v6, off, s[0:3], s33 offset:144 ; 4-byte Folded Spill
.LBB6_4292:                             ;   in Loop: Header=BB6_3875 Depth=3
	s_or_b64 exec, exec, s[28:29]
                                        ; implicit-def: $vgpr6
.LBB6_4293:                             ;   in Loop: Header=BB6_3875 Depth=3
	s_andn2_saveexec_b64 s[28:29], s[30:31]
	s_cbranch_execz .LBB6_4295
; %bb.4294:                             ;   in Loop: Header=BB6_3875 Depth=3
	v_or_b32_sdwa v6, v6, s81 dst_sel:DWORD dst_unused:UNUSED_PAD src0_sel:BYTE_3 src1_sel:DWORD
	buffer_store_dword v6, off, s[0:3], s33 offset:144 ; 4-byte Folded Spill
.LBB6_4295:                             ;   in Loop: Header=BB6_3875 Depth=3
	s_or_b64 exec, exec, s[28:29]
	v_cmp_lt_u64_e32 vcc, s[56:57], v[50:51]
	v_mov_b32_e32 v7, 0
	v_mov_b32_e32 v20, 0
	s_and_saveexec_b64 s[28:29], vcc
	s_cbranch_execz .LBB6_4301
; %bb.4296:                             ;   in Loop: Header=BB6_3875 Depth=3
	v_lshrrev_b32_e32 v6, 24, v51
	v_cmp_ne_u32_e32 vcc, s80, v6
	v_bfrev_b32_e32 v20, 1
	s_and_saveexec_b64 s[30:31], vcc
	s_cbranch_execz .LBB6_4300
; %bb.4297:                             ;   in Loop: Header=BB6_3875 Depth=3
	v_bfe_u32 v22, v51, 24, 7
	v_cmp_ne_u32_e32 vcc, s81, v22
	v_mov_b32_e32 v20, 0x7f800001
	s_and_saveexec_b64 s[34:35], vcc
	s_cbranch_execz .LBB6_4299
; %bb.4298:                             ;   in Loop: Header=BB6_3875 Depth=3
	v_and_b32_e32 v20, 7, v6
	v_lshrrev_b32_e32 v28, 3, v22
	v_cmp_gt_u32_e32 vcc, 8, v22
	v_ffbh_u32_e32 v22, v20
	v_min_u32_e32 v29, 32, v22
	v_subrev_u32_e32 v22, 28, v29
	v_lshlrev_b64 v[22:23], v22, v[6:7]
	v_sub_u32_e32 v23, 29, v29
	v_and_b32_e32 v22, 7, v22
	v_cndmask_b32_e32 v23, v28, v23, vcc
	v_cndmask_b32_e32 v20, v20, v22, vcc
	v_lshlrev_b32_e32 v6, 24, v6
	v_bfrev_b32_e32 v22, 60
	v_lshlrev_b32_e32 v20, 20, v20
	v_and_b32_e32 v6, 0x80000000, v6
	v_lshl_add_u32 v22, v23, 23, v22
	v_or3_b32 v20, v6, v22, v20
.LBB6_4299:                             ;   in Loop: Header=BB6_3875 Depth=3
	s_or_b64 exec, exec, s[34:35]
.LBB6_4300:                             ;   in Loop: Header=BB6_3875 Depth=3
	s_or_b64 exec, exec, s[30:31]
.LBB6_4301:                             ;   in Loop: Header=BB6_3875 Depth=3
	s_or_b64 exec, exec, s[28:29]
	v_cmp_lt_u64_e32 vcc, s[56:57], v[38:39]
	s_and_saveexec_b64 s[28:29], vcc
	s_cbranch_execz .LBB6_4307
; %bb.4302:                             ;   in Loop: Header=BB6_3875 Depth=3
	v_lshrrev_b32_e32 v6, 24, v39
	v_cmp_ne_u32_e32 vcc, s80, v6
	v_bfrev_b32_e32 v7, 1
	s_and_saveexec_b64 s[30:31], vcc
	s_cbranch_execz .LBB6_4306
; %bb.4303:                             ;   in Loop: Header=BB6_3875 Depth=3
	v_bfe_u32 v22, v39, 24, 7
	v_cmp_ne_u32_e32 vcc, s81, v22
	v_mov_b32_e32 v7, 0x7f800001
	s_and_saveexec_b64 s[34:35], vcc
	s_cbranch_execz .LBB6_4305
; %bb.4304:                             ;   in Loop: Header=BB6_3875 Depth=3
	v_and_b32_e32 v7, 7, v6
	v_lshrrev_b32_e32 v28, 3, v22
	v_cmp_gt_u32_e32 vcc, 8, v22
	v_ffbh_u32_e32 v22, v7
	v_min_u32_e32 v29, 32, v22
	v_subrev_u32_e32 v22, 28, v29
	v_lshlrev_b64 v[22:23], v22, v[6:7]
	v_sub_u32_e32 v23, 29, v29
	v_and_b32_e32 v22, 7, v22
	v_cndmask_b32_e32 v23, v28, v23, vcc
	v_cndmask_b32_e32 v7, v7, v22, vcc
	v_lshlrev_b32_e32 v6, 24, v6
	v_bfrev_b32_e32 v22, 60
	v_lshlrev_b32_e32 v7, 20, v7
	v_and_b32_e32 v6, 0x80000000, v6
	v_lshl_add_u32 v22, v23, 23, v22
	v_or3_b32 v7, v6, v22, v7
.LBB6_4305:                             ;   in Loop: Header=BB6_3875 Depth=3
	s_or_b64 exec, exec, s[34:35]
.LBB6_4306:                             ;   in Loop: Header=BB6_3875 Depth=3
	s_or_b64 exec, exec, s[30:31]
.LBB6_4307:                             ;   in Loop: Header=BB6_3875 Depth=3
	s_or_b64 exec, exec, s[28:29]
	v_mul_f32_e32 v6, v20, v7
	v_and_b32_e32 v20, 0x7f800000, v6
	v_cmp_ne_u64_e32 vcc, s[62:63], v[20:21]
                                        ; implicit-def: $vgpr7
                                        ; kill: killed $vgpr7
	s_and_saveexec_b64 s[28:29], vcc
	s_xor_b64 s[30:31], exec, s[28:29]
	s_cbranch_execz .LBB6_4321
; %bb.4308:                             ;   in Loop: Header=BB6_3875 Depth=3
	v_and_b32_e32 v20, 0x7fffffff, v6
	v_cmp_gt_u64_e32 vcc, s[78:79], v[20:21]
	v_and_b32_sdwa v28, v6, s80 dst_sel:DWORD dst_unused:UNUSED_PAD src0_sel:BYTE_3 src1_sel:DWORD
                                        ; implicit-def: $vgpr7
                                        ; kill: killed $vgpr7
	s_and_saveexec_b64 s[28:29], vcc
	s_xor_b64 s[34:35], exec, s[28:29]
	s_cbranch_execz .LBB6_4318
; %bb.4309:                             ;   in Loop: Header=BB6_3875 Depth=3
	v_mov_b32_e32 v7, 0
	v_cmp_ne_u32_e32 vcc, 0, v6
	buffer_store_dword v7, off, s[0:3], s33 offset:148 ; 4-byte Folded Spill
	s_and_saveexec_b64 s[36:37], vcc
	s_cbranch_execz .LBB6_4317
; %bb.4310:                             ;   in Loop: Header=BB6_3875 Depth=3
	v_bfe_u32 v29, v6, 23, 8
	v_and_b32_e32 v7, 0x7fffff, v6
	v_cmp_gt_u32_e64 s[28:29], s47, v29
	v_sub_u32_e32 v6, 0x79, v29
	v_cmp_eq_u32_e32 vcc, 0, v29
	v_cndmask_b32_e64 v6, 0, v6, s[28:29]
	v_mov_b32_e32 v22, 0x78
	v_cndmask_b32_e32 v30, v6, v22, vcc
	v_or_b32_e32 v20, 0x800000, v7
	v_add_u32_e32 v6, 20, v30
	v_cndmask_b32_e32 v20, v20, v7, vcc
	v_lshlrev_b64 v[6:7], v6, -1
	v_add_u32_e32 v22, 19, v30
	v_lshlrev_b64 v[22:23], v22, 1
	v_bfi_b32 v7, v7, 0, 0
	v_bfi_b32 v6, v6, 0, v20
	v_cmp_eq_u64_e64 s[28:29], v[6:7], v[22:23]
	v_lshrrev_b64 v[6:7], v30, v[20:21]
	v_mov_b32_e32 v23, v7
	v_mov_b32_e32 v22, v6
	s_and_saveexec_b64 s[38:39], s[28:29]
; %bb.4311:                             ;   in Loop: Header=BB6_3875 Depth=3
	v_bfe_u32 v7, v6, 20, 1
	v_add_co_u32_e64 v7, s[28:29], v6, v7
	v_add_co_u32_e64 v22, s[28:29], -1, v7
; %bb.4312:                             ;   in Loop: Header=BB6_3875 Depth=3
	s_or_b64 exec, exec, s[38:39]
	v_add_u32_e32 v7, 0xffffff81, v29
	v_mov_b32_e32 v20, 0xffffff82
	v_cndmask_b32_e32 v7, v7, v20, vcc
	v_lshrrev_b32_e32 v20, 23, v6
	v_add3_u32 v29, v30, v7, v20
	v_add_u32_e32 v23, 6, v29
	v_and_b32_e32 v7, 0xfffff, v22
	v_add_u32_e32 v20, v7, v6
	v_cmp_ne_u32_e32 vcc, 0, v23
                                        ; implicit-def: $vgpr6_vgpr7
                                        ; implicit-def: $vgpr22
	s_and_saveexec_b64 s[28:29], vcc
	s_xor_b64 s[28:29], exec, s[28:29]
; %bb.4313:                             ;   in Loop: Header=BB6_3875 Depth=3
	v_cmp_lt_u64_e32 vcc, s[88:89], v[20:21]
	v_add_u32_e32 v6, 7, v29
	v_cndmask_b32_e32 v22, v23, v6, vcc
	v_cndmask_b32_e64 v6, 0, 1, vcc
	v_lshrrev_b64 v[6:7], v6, v[20:21]
; %bb.4314:                             ;   in Loop: Header=BB6_3875 Depth=3
	s_andn2_saveexec_b64 s[28:29], s[28:29]
; %bb.4315:                             ;   in Loop: Header=BB6_3875 Depth=3
	v_mov_b32_e32 v6, v20
	v_bfe_u32 v22, v20, 23, 1
	v_mov_b32_e32 v7, v21
; %bb.4316:                             ;   in Loop: Header=BB6_3875 Depth=3
	s_or_b64 exec, exec, s[28:29]
	v_lshrrev_b64 v[6:7], 20, v[6:7]
	v_cmp_gt_i32_e32 vcc, 16, v22
	v_cndmask_b32_e32 v7, 0, v7, vcc
	v_cndmask_b32_e32 v6, 7, v6, vcc
	v_cmp_eq_u64_e64 s[28:29], 0, v[6:7]
	v_min_i32_e32 v7, 15, v22
	v_lshlrev_b32_e32 v7, 3, v7
	v_cmp_eq_u32_e32 vcc, 0, v22
	v_and_b32_e32 v7, 0xf8, v7
	v_and_or_b32 v6, v6, 7, v7
	s_and_b64 s[28:29], vcc, s[28:29]
	v_cndmask_b32_e64 v6, v6, 0, s[28:29]
	v_or_b32_e32 v6, v6, v28
	buffer_store_dword v6, off, s[0:3], s33 offset:148 ; 4-byte Folded Spill
.LBB6_4317:                             ;   in Loop: Header=BB6_3875 Depth=3
	s_or_b64 exec, exec, s[36:37]
                                        ; implicit-def: $vgpr28
.LBB6_4318:                             ;   in Loop: Header=BB6_3875 Depth=3
	s_andn2_saveexec_b64 s[28:29], s[34:35]
	s_cbranch_execz .LBB6_4320
; %bb.4319:                             ;   in Loop: Header=BB6_3875 Depth=3
	v_or_b32_e32 v6, 0x7e, v28
	buffer_store_dword v6, off, s[0:3], s33 offset:148 ; 4-byte Folded Spill
.LBB6_4320:                             ;   in Loop: Header=BB6_3875 Depth=3
	s_or_b64 exec, exec, s[28:29]
                                        ; implicit-def: $vgpr6
.LBB6_4321:                             ;   in Loop: Header=BB6_3875 Depth=3
	s_andn2_saveexec_b64 s[28:29], s[30:31]
	s_cbranch_execz .LBB6_4323
; %bb.4322:                             ;   in Loop: Header=BB6_3875 Depth=3
	v_or_b32_sdwa v6, v6, s81 dst_sel:DWORD dst_unused:UNUSED_PAD src0_sel:BYTE_3 src1_sel:DWORD
	buffer_store_dword v6, off, s[0:3], s33 offset:148 ; 4-byte Folded Spill
.LBB6_4323:                             ;   in Loop: Header=BB6_3875 Depth=3
	s_or_b64 exec, exec, s[28:29]
	v_cmp_ne_u16_sdwa vcc, v32, v21 src0_sel:BYTE_0 src1_sel:DWORD
	v_mov_b32_e32 v6, 0
	v_mov_b32_e32 v7, 0
	s_and_saveexec_b64 s[28:29], vcc
	s_cbranch_execz .LBB6_4329
; %bb.4324:                             ;   in Loop: Header=BB6_3875 Depth=3
	v_cmp_ne_u16_sdwa vcc, v32, s80 src0_sel:BYTE_0 src1_sel:DWORD
	v_bfrev_b32_e32 v7, 1
	s_and_saveexec_b64 s[30:31], vcc
	s_cbranch_execz .LBB6_4328
; %bb.4325:                             ;   in Loop: Header=BB6_3875 Depth=3
	v_and_b32_e32 v20, 0x7f, v32
	v_cmp_ne_u32_e32 vcc, s81, v20
	v_mov_b32_e32 v7, 0x7f800001
	s_and_saveexec_b64 s[34:35], vcc
	s_cbranch_execz .LBB6_4327
; %bb.4326:                             ;   in Loop: Header=BB6_3875 Depth=3
	v_and_b32_e32 v7, 7, v32
	v_ffbh_u32_e32 v7, v7
	v_min_u32_e32 v7, 32, v7
	v_lshrrev_b32_e32 v22, 3, v20
	v_cmp_gt_u32_e32 vcc, 8, v20
	v_subrev_u32_e32 v20, 28, v7
	v_sub_u32_e32 v7, 29, v7
	v_cndmask_b32_e32 v20, 0, v20, vcc
	v_cndmask_b32_e32 v7, v22, v7, vcc
	v_lshlrev_b64 v[22:23], v20, v[32:33]
	v_bfrev_b32_e32 v23, 60
	v_lshlrev_b32_e32 v20, 20, v22
	v_lshlrev_b32_e32 v22, 24, v32
	v_and_b32_e32 v20, 0x700000, v20
	v_and_b32_e32 v22, 0x80000000, v22
	v_lshl_add_u32 v7, v7, 23, v23
	v_or3_b32 v7, v22, v7, v20
.LBB6_4327:                             ;   in Loop: Header=BB6_3875 Depth=3
	s_or_b64 exec, exec, s[34:35]
.LBB6_4328:                             ;   in Loop: Header=BB6_3875 Depth=3
	s_or_b64 exec, exec, s[30:31]
.LBB6_4329:                             ;   in Loop: Header=BB6_3875 Depth=3
	s_or_b64 exec, exec, s[28:29]
	s_waitcnt vmcnt(2)
	v_cmp_ne_u16_sdwa vcc, v24, v21 src0_sel:BYTE_0 src1_sel:DWORD
	s_and_saveexec_b64 s[28:29], vcc
	s_cbranch_execz .LBB6_4335
; %bb.4330:                             ;   in Loop: Header=BB6_3875 Depth=3
	v_cmp_ne_u16_sdwa vcc, v24, s80 src0_sel:BYTE_0 src1_sel:DWORD
	v_bfrev_b32_e32 v6, 1
	s_and_saveexec_b64 s[30:31], vcc
	s_cbranch_execz .LBB6_4334
; %bb.4331:                             ;   in Loop: Header=BB6_3875 Depth=3
	v_and_b32_e32 v20, 0x7f, v24
	v_cmp_ne_u32_e32 vcc, s81, v20
	v_mov_b32_e32 v6, 0x7f800001
	s_and_saveexec_b64 s[34:35], vcc
	s_cbranch_execz .LBB6_4333
; %bb.4332:                             ;   in Loop: Header=BB6_3875 Depth=3
	v_and_b32_e32 v6, 7, v24
	v_ffbh_u32_e32 v6, v6
	v_min_u32_e32 v6, 32, v6
	v_lshrrev_b32_e32 v22, 3, v20
	v_cmp_gt_u32_e32 vcc, 8, v20
	v_subrev_u32_e32 v20, 28, v6
	v_sub_u32_e32 v6, 29, v6
	v_cndmask_b32_e32 v20, 0, v20, vcc
	v_cndmask_b32_e32 v6, v22, v6, vcc
	v_lshlrev_b64 v[22:23], v20, v[24:25]
	v_bfrev_b32_e32 v23, 60
	v_lshlrev_b32_e32 v20, 20, v22
	v_lshlrev_b32_e32 v22, 24, v24
	v_and_b32_e32 v20, 0x700000, v20
	v_and_b32_e32 v22, 0x80000000, v22
	v_lshl_add_u32 v6, v6, 23, v23
	v_or3_b32 v6, v22, v6, v20
.LBB6_4333:                             ;   in Loop: Header=BB6_3875 Depth=3
	s_or_b64 exec, exec, s[34:35]
.LBB6_4334:                             ;   in Loop: Header=BB6_3875 Depth=3
	s_or_b64 exec, exec, s[30:31]
.LBB6_4335:                             ;   in Loop: Header=BB6_3875 Depth=3
	s_or_b64 exec, exec, s[28:29]
	v_mul_f32_e32 v6, v7, v6
	v_and_b32_e32 v20, 0x7f800000, v6
	v_cmp_ne_u64_e32 vcc, s[62:63], v[20:21]
                                        ; implicit-def: $vgpr7
                                        ; kill: killed $vgpr7
	s_and_saveexec_b64 s[28:29], vcc
	s_xor_b64 s[30:31], exec, s[28:29]
	s_cbranch_execz .LBB6_4349
; %bb.4336:                             ;   in Loop: Header=BB6_3875 Depth=3
	v_and_b32_e32 v20, 0x7fffffff, v6
	v_cmp_gt_u64_e32 vcc, s[78:79], v[20:21]
	v_and_b32_sdwa v28, v6, s80 dst_sel:DWORD dst_unused:UNUSED_PAD src0_sel:BYTE_3 src1_sel:DWORD
                                        ; implicit-def: $vgpr7
                                        ; kill: killed $vgpr7
	s_and_saveexec_b64 s[28:29], vcc
	s_xor_b64 s[34:35], exec, s[28:29]
	s_cbranch_execz .LBB6_4346
; %bb.4337:                             ;   in Loop: Header=BB6_3875 Depth=3
	v_mov_b32_e32 v7, 0
	v_cmp_ne_u32_e32 vcc, 0, v6
	buffer_store_dword v7, off, s[0:3], s33 offset:152 ; 4-byte Folded Spill
	s_and_saveexec_b64 s[36:37], vcc
	s_cbranch_execz .LBB6_4345
; %bb.4338:                             ;   in Loop: Header=BB6_3875 Depth=3
	v_bfe_u32 v29, v6, 23, 8
	v_and_b32_e32 v7, 0x7fffff, v6
	v_cmp_gt_u32_e64 s[28:29], s47, v29
	v_sub_u32_e32 v6, 0x79, v29
	v_cmp_eq_u32_e32 vcc, 0, v29
	v_cndmask_b32_e64 v6, 0, v6, s[28:29]
	v_mov_b32_e32 v22, 0x78
	v_cndmask_b32_e32 v30, v6, v22, vcc
	v_or_b32_e32 v20, 0x800000, v7
	v_add_u32_e32 v6, 20, v30
	v_cndmask_b32_e32 v20, v20, v7, vcc
	v_lshlrev_b64 v[6:7], v6, -1
	v_add_u32_e32 v22, 19, v30
	v_lshlrev_b64 v[22:23], v22, 1
	v_bfi_b32 v7, v7, 0, 0
	v_bfi_b32 v6, v6, 0, v20
	v_cmp_eq_u64_e64 s[28:29], v[6:7], v[22:23]
	v_lshrrev_b64 v[6:7], v30, v[20:21]
	v_mov_b32_e32 v23, v7
	v_mov_b32_e32 v22, v6
	s_and_saveexec_b64 s[38:39], s[28:29]
; %bb.4339:                             ;   in Loop: Header=BB6_3875 Depth=3
	v_bfe_u32 v7, v6, 20, 1
	v_add_co_u32_e64 v7, s[28:29], v6, v7
	v_add_co_u32_e64 v22, s[28:29], -1, v7
; %bb.4340:                             ;   in Loop: Header=BB6_3875 Depth=3
	s_or_b64 exec, exec, s[38:39]
	v_add_u32_e32 v7, 0xffffff81, v29
	v_mov_b32_e32 v20, 0xffffff82
	v_cndmask_b32_e32 v7, v7, v20, vcc
	v_lshrrev_b32_e32 v20, 23, v6
	v_add3_u32 v29, v30, v7, v20
	v_add_u32_e32 v23, 6, v29
	v_and_b32_e32 v7, 0xfffff, v22
	v_add_u32_e32 v20, v7, v6
	v_cmp_ne_u32_e32 vcc, 0, v23
                                        ; implicit-def: $vgpr6_vgpr7
                                        ; implicit-def: $vgpr22
	s_and_saveexec_b64 s[28:29], vcc
	s_xor_b64 s[28:29], exec, s[28:29]
; %bb.4341:                             ;   in Loop: Header=BB6_3875 Depth=3
	v_cmp_lt_u64_e32 vcc, s[88:89], v[20:21]
	v_add_u32_e32 v6, 7, v29
	v_cndmask_b32_e32 v22, v23, v6, vcc
	v_cndmask_b32_e64 v6, 0, 1, vcc
	v_lshrrev_b64 v[6:7], v6, v[20:21]
; %bb.4342:                             ;   in Loop: Header=BB6_3875 Depth=3
	s_andn2_saveexec_b64 s[28:29], s[28:29]
; %bb.4343:                             ;   in Loop: Header=BB6_3875 Depth=3
	v_mov_b32_e32 v6, v20
	v_bfe_u32 v22, v20, 23, 1
	v_mov_b32_e32 v7, v21
; %bb.4344:                             ;   in Loop: Header=BB6_3875 Depth=3
	s_or_b64 exec, exec, s[28:29]
	v_lshrrev_b64 v[6:7], 20, v[6:7]
	v_cmp_gt_i32_e32 vcc, 16, v22
	v_cndmask_b32_e32 v7, 0, v7, vcc
	v_cndmask_b32_e32 v6, 7, v6, vcc
	v_cmp_eq_u64_e64 s[28:29], 0, v[6:7]
	v_min_i32_e32 v7, 15, v22
	v_lshlrev_b32_e32 v7, 3, v7
	v_cmp_eq_u32_e32 vcc, 0, v22
	v_and_b32_e32 v7, 0xf8, v7
	v_and_or_b32 v6, v6, 7, v7
	s_and_b64 s[28:29], vcc, s[28:29]
	v_cndmask_b32_e64 v6, v6, 0, s[28:29]
	v_or_b32_e32 v6, v6, v28
	buffer_store_dword v6, off, s[0:3], s33 offset:152 ; 4-byte Folded Spill
.LBB6_4345:                             ;   in Loop: Header=BB6_3875 Depth=3
	s_or_b64 exec, exec, s[36:37]
                                        ; implicit-def: $vgpr28
.LBB6_4346:                             ;   in Loop: Header=BB6_3875 Depth=3
	s_andn2_saveexec_b64 s[28:29], s[34:35]
	s_cbranch_execz .LBB6_4348
; %bb.4347:                             ;   in Loop: Header=BB6_3875 Depth=3
	v_or_b32_e32 v6, 0x7e, v28
	buffer_store_dword v6, off, s[0:3], s33 offset:152 ; 4-byte Folded Spill
.LBB6_4348:                             ;   in Loop: Header=BB6_3875 Depth=3
	s_or_b64 exec, exec, s[28:29]
                                        ; implicit-def: $vgpr6
.LBB6_4349:                             ;   in Loop: Header=BB6_3875 Depth=3
	s_andn2_saveexec_b64 s[28:29], s[30:31]
	s_cbranch_execz .LBB6_4351
; %bb.4350:                             ;   in Loop: Header=BB6_3875 Depth=3
	v_or_b32_sdwa v6, v6, s81 dst_sel:DWORD dst_unused:UNUSED_PAD src0_sel:BYTE_3 src1_sel:DWORD
	buffer_store_dword v6, off, s[0:3], s33 offset:152 ; 4-byte Folded Spill
.LBB6_4351:                             ;   in Loop: Header=BB6_3875 Depth=3
	s_or_b64 exec, exec, s[28:29]
	v_lshrrev_b16_e32 v6, 8, v32
	v_cmp_ne_u16_e32 vcc, 0, v6
	v_mov_b32_e32 v7, 0
	v_mov_b32_e32 v20, 0
	s_and_saveexec_b64 s[28:29], vcc
	s_cbranch_execz .LBB6_4357
; %bb.4352:                             ;   in Loop: Header=BB6_3875 Depth=3
	v_cmp_ne_u16_e32 vcc, s80, v6
	v_bfrev_b32_e32 v20, 1
	s_and_saveexec_b64 s[30:31], vcc
	s_cbranch_execz .LBB6_4356
; %bb.4353:                             ;   in Loop: Header=BB6_3875 Depth=3
	v_and_b32_e32 v22, 0x7f, v6
	v_cmp_ne_u32_e32 vcc, s81, v22
	v_mov_b32_e32 v20, 0x7f800001
	s_and_saveexec_b64 s[34:35], vcc
	s_cbranch_execz .LBB6_4355
; %bb.4354:                             ;   in Loop: Header=BB6_3875 Depth=3
	v_and_b32_e32 v20, 7, v6
	v_lshrrev_b32_e32 v28, 3, v22
	v_cmp_gt_u32_e32 vcc, 8, v22
	v_ffbh_u32_e32 v22, v20
	v_min_u32_e32 v29, 32, v22
	v_subrev_u32_e32 v22, 28, v29
	v_lshlrev_b64 v[22:23], v22, v[6:7]
	v_sub_u32_e32 v6, 29, v29
	v_and_b32_e32 v22, 7, v22
	v_cndmask_b32_e32 v6, v28, v6, vcc
	v_cndmask_b32_e32 v20, v20, v22, vcc
	v_lshlrev_b32_e32 v22, 16, v32
	v_bfrev_b32_e32 v23, 60
	v_lshlrev_b32_e32 v20, 20, v20
	v_and_b32_e32 v22, 0x80000000, v22
	v_lshl_add_u32 v6, v6, 23, v23
	v_or3_b32 v20, v22, v6, v20
.LBB6_4355:                             ;   in Loop: Header=BB6_3875 Depth=3
	s_or_b64 exec, exec, s[34:35]
.LBB6_4356:                             ;   in Loop: Header=BB6_3875 Depth=3
	s_or_b64 exec, exec, s[30:31]
.LBB6_4357:                             ;   in Loop: Header=BB6_3875 Depth=3
	s_or_b64 exec, exec, s[28:29]
	v_lshrrev_b16_e32 v6, 8, v24
	v_cmp_ne_u16_e32 vcc, 0, v6
	s_and_saveexec_b64 s[28:29], vcc
	s_cbranch_execz .LBB6_4363
; %bb.4358:                             ;   in Loop: Header=BB6_3875 Depth=3
	v_cmp_ne_u16_e32 vcc, s80, v6
	v_bfrev_b32_e32 v7, 1
	s_and_saveexec_b64 s[30:31], vcc
	s_cbranch_execz .LBB6_4362
; %bb.4359:                             ;   in Loop: Header=BB6_3875 Depth=3
	v_and_b32_e32 v22, 0x7f, v6
	v_cmp_ne_u32_e32 vcc, s81, v22
	v_mov_b32_e32 v7, 0x7f800001
	s_and_saveexec_b64 s[34:35], vcc
	s_cbranch_execz .LBB6_4361
; %bb.4360:                             ;   in Loop: Header=BB6_3875 Depth=3
	v_and_b32_e32 v23, 7, v6
	v_ffbh_u32_e32 v7, v23
	v_lshrrev_b32_e32 v28, 3, v22
	v_cmp_gt_u32_e32 vcc, 8, v22
	v_min_u32_e32 v22, 32, v7
	v_subrev_u32_e32 v7, 28, v22
	v_lshlrev_b64 v[6:7], v7, v[6:7]
	v_sub_u32_e32 v7, 29, v22
	v_and_b32_e32 v6, 7, v6
	v_cndmask_b32_e32 v7, v28, v7, vcc
	v_cndmask_b32_e32 v6, v23, v6, vcc
	v_lshlrev_b32_e32 v22, 16, v24
	v_bfrev_b32_e32 v23, 60
	v_lshlrev_b32_e32 v6, 20, v6
	v_and_b32_e32 v22, 0x80000000, v22
	v_lshl_add_u32 v7, v7, 23, v23
	v_or3_b32 v7, v22, v7, v6
.LBB6_4361:                             ;   in Loop: Header=BB6_3875 Depth=3
	s_or_b64 exec, exec, s[34:35]
.LBB6_4362:                             ;   in Loop: Header=BB6_3875 Depth=3
	s_or_b64 exec, exec, s[30:31]
.LBB6_4363:                             ;   in Loop: Header=BB6_3875 Depth=3
	s_or_b64 exec, exec, s[28:29]
	v_mul_f32_e32 v6, v20, v7
	v_and_b32_e32 v20, 0x7f800000, v6
	v_cmp_ne_u64_e32 vcc, s[62:63], v[20:21]
                                        ; implicit-def: $vgpr7
                                        ; kill: killed $vgpr7
	s_and_saveexec_b64 s[28:29], vcc
	s_xor_b64 s[30:31], exec, s[28:29]
	s_cbranch_execz .LBB6_4377
; %bb.4364:                             ;   in Loop: Header=BB6_3875 Depth=3
	v_and_b32_e32 v20, 0x7fffffff, v6
	v_cmp_gt_u64_e32 vcc, s[78:79], v[20:21]
	v_and_b32_sdwa v28, v6, s80 dst_sel:DWORD dst_unused:UNUSED_PAD src0_sel:BYTE_3 src1_sel:DWORD
                                        ; implicit-def: $vgpr7
                                        ; kill: killed $vgpr7
	s_and_saveexec_b64 s[28:29], vcc
	s_xor_b64 s[34:35], exec, s[28:29]
	s_cbranch_execz .LBB6_4374
; %bb.4365:                             ;   in Loop: Header=BB6_3875 Depth=3
	v_mov_b32_e32 v7, 0
	v_cmp_ne_u32_e32 vcc, 0, v6
	buffer_store_dword v7, off, s[0:3], s33 offset:156 ; 4-byte Folded Spill
	s_and_saveexec_b64 s[36:37], vcc
	s_cbranch_execz .LBB6_4373
; %bb.4366:                             ;   in Loop: Header=BB6_3875 Depth=3
	v_bfe_u32 v29, v6, 23, 8
	v_and_b32_e32 v7, 0x7fffff, v6
	v_cmp_gt_u32_e64 s[28:29], s47, v29
	v_sub_u32_e32 v6, 0x79, v29
	v_cmp_eq_u32_e32 vcc, 0, v29
	v_cndmask_b32_e64 v6, 0, v6, s[28:29]
	v_mov_b32_e32 v22, 0x78
	v_cndmask_b32_e32 v30, v6, v22, vcc
	v_or_b32_e32 v20, 0x800000, v7
	v_add_u32_e32 v6, 20, v30
	v_cndmask_b32_e32 v20, v20, v7, vcc
	v_lshlrev_b64 v[6:7], v6, -1
	v_add_u32_e32 v22, 19, v30
	v_lshlrev_b64 v[22:23], v22, 1
	v_bfi_b32 v7, v7, 0, 0
	v_bfi_b32 v6, v6, 0, v20
	v_cmp_eq_u64_e64 s[28:29], v[6:7], v[22:23]
	v_lshrrev_b64 v[6:7], v30, v[20:21]
	v_mov_b32_e32 v23, v7
	v_mov_b32_e32 v22, v6
	s_and_saveexec_b64 s[38:39], s[28:29]
; %bb.4367:                             ;   in Loop: Header=BB6_3875 Depth=3
	v_bfe_u32 v7, v6, 20, 1
	v_add_co_u32_e64 v7, s[28:29], v6, v7
	v_add_co_u32_e64 v22, s[28:29], -1, v7
; %bb.4368:                             ;   in Loop: Header=BB6_3875 Depth=3
	s_or_b64 exec, exec, s[38:39]
	v_add_u32_e32 v7, 0xffffff81, v29
	v_mov_b32_e32 v20, 0xffffff82
	v_cndmask_b32_e32 v7, v7, v20, vcc
	v_lshrrev_b32_e32 v20, 23, v6
	v_add3_u32 v29, v30, v7, v20
	v_add_u32_e32 v23, 6, v29
	v_and_b32_e32 v7, 0xfffff, v22
	v_add_u32_e32 v20, v7, v6
	v_cmp_ne_u32_e32 vcc, 0, v23
                                        ; implicit-def: $vgpr6_vgpr7
                                        ; implicit-def: $vgpr22
	s_and_saveexec_b64 s[28:29], vcc
	s_xor_b64 s[28:29], exec, s[28:29]
; %bb.4369:                             ;   in Loop: Header=BB6_3875 Depth=3
	v_cmp_lt_u64_e32 vcc, s[88:89], v[20:21]
	v_add_u32_e32 v6, 7, v29
	v_cndmask_b32_e32 v22, v23, v6, vcc
	v_cndmask_b32_e64 v6, 0, 1, vcc
	v_lshrrev_b64 v[6:7], v6, v[20:21]
; %bb.4370:                             ;   in Loop: Header=BB6_3875 Depth=3
	s_andn2_saveexec_b64 s[28:29], s[28:29]
; %bb.4371:                             ;   in Loop: Header=BB6_3875 Depth=3
	v_mov_b32_e32 v6, v20
	v_bfe_u32 v22, v20, 23, 1
	v_mov_b32_e32 v7, v21
; %bb.4372:                             ;   in Loop: Header=BB6_3875 Depth=3
	s_or_b64 exec, exec, s[28:29]
	v_lshrrev_b64 v[6:7], 20, v[6:7]
	v_cmp_gt_i32_e32 vcc, 16, v22
	v_cndmask_b32_e32 v7, 0, v7, vcc
	v_cndmask_b32_e32 v6, 7, v6, vcc
	v_cmp_eq_u64_e64 s[28:29], 0, v[6:7]
	v_min_i32_e32 v7, 15, v22
	v_lshlrev_b32_e32 v7, 3, v7
	v_cmp_eq_u32_e32 vcc, 0, v22
	v_and_b32_e32 v7, 0xf8, v7
	v_and_or_b32 v6, v6, 7, v7
	s_and_b64 s[28:29], vcc, s[28:29]
	v_cndmask_b32_e64 v6, v6, 0, s[28:29]
	v_or_b32_e32 v6, v6, v28
	buffer_store_dword v6, off, s[0:3], s33 offset:156 ; 4-byte Folded Spill
.LBB6_4373:                             ;   in Loop: Header=BB6_3875 Depth=3
	s_or_b64 exec, exec, s[36:37]
                                        ; implicit-def: $vgpr28
.LBB6_4374:                             ;   in Loop: Header=BB6_3875 Depth=3
	s_andn2_saveexec_b64 s[28:29], s[34:35]
	s_cbranch_execz .LBB6_4376
; %bb.4375:                             ;   in Loop: Header=BB6_3875 Depth=3
	v_or_b32_e32 v6, 0x7e, v28
	buffer_store_dword v6, off, s[0:3], s33 offset:156 ; 4-byte Folded Spill
.LBB6_4376:                             ;   in Loop: Header=BB6_3875 Depth=3
	s_or_b64 exec, exec, s[28:29]
                                        ; implicit-def: $vgpr6
.LBB6_4377:                             ;   in Loop: Header=BB6_3875 Depth=3
	s_andn2_saveexec_b64 s[28:29], s[30:31]
	s_cbranch_execz .LBB6_4379
; %bb.4378:                             ;   in Loop: Header=BB6_3875 Depth=3
	v_or_b32_sdwa v6, v6, s81 dst_sel:DWORD dst_unused:UNUSED_PAD src0_sel:BYTE_3 src1_sel:DWORD
	buffer_store_dword v6, off, s[0:3], s33 offset:156 ; 4-byte Folded Spill
.LBB6_4379:                             ;   in Loop: Header=BB6_3875 Depth=3
	s_or_b64 exec, exec, s[28:29]
	v_lshrrev_b32_e32 v6, 16, v32
	v_cmp_ne_u16_sdwa vcc, v6, v21 src0_sel:BYTE_0 src1_sel:DWORD
	v_mov_b32_e32 v7, 0
	v_mov_b32_e32 v20, 0
	s_and_saveexec_b64 s[28:29], vcc
	s_cbranch_execz .LBB6_4385
; %bb.4380:                             ;   in Loop: Header=BB6_3875 Depth=3
	v_cmp_ne_u16_sdwa vcc, v6, s80 src0_sel:BYTE_0 src1_sel:DWORD
	v_bfrev_b32_e32 v20, 1
	s_and_saveexec_b64 s[30:31], vcc
	s_cbranch_execz .LBB6_4384
; %bb.4381:                             ;   in Loop: Header=BB6_3875 Depth=3
	v_bfe_u32 v22, v32, 16, 7
	v_cmp_ne_u32_e32 vcc, s81, v22
	v_mov_b32_e32 v20, 0x7f800001
	s_and_saveexec_b64 s[34:35], vcc
	s_cbranch_execz .LBB6_4383
; %bb.4382:                             ;   in Loop: Header=BB6_3875 Depth=3
	v_and_b32_e32 v20, 7, v6
	v_lshrrev_b32_e32 v28, 3, v22
	v_cmp_gt_u32_e32 vcc, 8, v22
	v_ffbh_u32_e32 v22, v20
	v_min_u32_e32 v29, 32, v22
	v_subrev_u32_e32 v22, 28, v29
	v_lshlrev_b64 v[22:23], v22, v[6:7]
	v_sub_u32_e32 v23, 29, v29
	v_and_b32_e32 v22, 7, v22
	v_cndmask_b32_e32 v23, v28, v23, vcc
	v_cndmask_b32_e32 v20, v20, v22, vcc
	v_lshlrev_b32_e32 v6, 24, v6
	v_bfrev_b32_e32 v22, 60
	v_lshlrev_b32_e32 v20, 20, v20
	v_and_b32_e32 v6, 0x80000000, v6
	v_lshl_add_u32 v22, v23, 23, v22
	v_or3_b32 v20, v6, v22, v20
.LBB6_4383:                             ;   in Loop: Header=BB6_3875 Depth=3
	s_or_b64 exec, exec, s[34:35]
.LBB6_4384:                             ;   in Loop: Header=BB6_3875 Depth=3
	s_or_b64 exec, exec, s[30:31]
.LBB6_4385:                             ;   in Loop: Header=BB6_3875 Depth=3
	s_or_b64 exec, exec, s[28:29]
	v_lshrrev_b32_e32 v6, 16, v24
	v_cmp_ne_u16_sdwa vcc, v6, v21 src0_sel:BYTE_0 src1_sel:DWORD
	s_and_saveexec_b64 s[28:29], vcc
	s_cbranch_execz .LBB6_4391
; %bb.4386:                             ;   in Loop: Header=BB6_3875 Depth=3
	v_cmp_ne_u16_sdwa vcc, v6, s80 src0_sel:BYTE_0 src1_sel:DWORD
	v_bfrev_b32_e32 v7, 1
	s_and_saveexec_b64 s[30:31], vcc
	s_cbranch_execz .LBB6_4390
; %bb.4387:                             ;   in Loop: Header=BB6_3875 Depth=3
	v_bfe_u32 v22, v24, 16, 7
	v_cmp_ne_u32_e32 vcc, s81, v22
	v_mov_b32_e32 v7, 0x7f800001
	s_and_saveexec_b64 s[34:35], vcc
	s_cbranch_execz .LBB6_4389
; %bb.4388:                             ;   in Loop: Header=BB6_3875 Depth=3
	v_and_b32_e32 v23, 7, v6
	v_ffbh_u32_e32 v7, v23
	v_lshrrev_b32_e32 v28, 3, v22
	v_cmp_gt_u32_e32 vcc, 8, v22
	v_min_u32_e32 v22, 32, v7
	v_subrev_u32_e32 v7, 28, v22
	v_lshlrev_b64 v[6:7], v7, v[6:7]
	v_sub_u32_e32 v7, 29, v22
	v_and_b32_e32 v6, 7, v6
	v_cndmask_b32_e32 v7, v28, v7, vcc
	v_cndmask_b32_e32 v6, v23, v6, vcc
	v_lshlrev_b32_e32 v22, 8, v24
	v_bfrev_b32_e32 v23, 60
	v_lshlrev_b32_e32 v6, 20, v6
	v_and_b32_e32 v22, 0x80000000, v22
	v_lshl_add_u32 v7, v7, 23, v23
	v_or3_b32 v7, v22, v7, v6
.LBB6_4389:                             ;   in Loop: Header=BB6_3875 Depth=3
	s_or_b64 exec, exec, s[34:35]
.LBB6_4390:                             ;   in Loop: Header=BB6_3875 Depth=3
	s_or_b64 exec, exec, s[30:31]
.LBB6_4391:                             ;   in Loop: Header=BB6_3875 Depth=3
	s_or_b64 exec, exec, s[28:29]
	v_mul_f32_e32 v6, v20, v7
	v_and_b32_e32 v20, 0x7f800000, v6
	v_cmp_ne_u64_e32 vcc, s[62:63], v[20:21]
                                        ; implicit-def: $vgpr7
                                        ; kill: killed $vgpr7
	s_and_saveexec_b64 s[28:29], vcc
	s_xor_b64 s[30:31], exec, s[28:29]
	s_cbranch_execz .LBB6_4405
; %bb.4392:                             ;   in Loop: Header=BB6_3875 Depth=3
	v_and_b32_e32 v20, 0x7fffffff, v6
	v_cmp_gt_u64_e32 vcc, s[78:79], v[20:21]
	v_and_b32_sdwa v28, v6, s80 dst_sel:DWORD dst_unused:UNUSED_PAD src0_sel:BYTE_3 src1_sel:DWORD
                                        ; implicit-def: $vgpr7
                                        ; kill: killed $vgpr7
	s_and_saveexec_b64 s[28:29], vcc
	s_xor_b64 s[34:35], exec, s[28:29]
	s_cbranch_execz .LBB6_4402
; %bb.4393:                             ;   in Loop: Header=BB6_3875 Depth=3
	v_mov_b32_e32 v7, 0
	v_cmp_ne_u32_e32 vcc, 0, v6
	buffer_store_dword v7, off, s[0:3], s33 offset:160 ; 4-byte Folded Spill
	s_and_saveexec_b64 s[36:37], vcc
	s_cbranch_execz .LBB6_4401
; %bb.4394:                             ;   in Loop: Header=BB6_3875 Depth=3
	v_bfe_u32 v29, v6, 23, 8
	v_and_b32_e32 v7, 0x7fffff, v6
	v_cmp_gt_u32_e64 s[28:29], s47, v29
	v_sub_u32_e32 v6, 0x79, v29
	v_cmp_eq_u32_e32 vcc, 0, v29
	v_cndmask_b32_e64 v6, 0, v6, s[28:29]
	v_mov_b32_e32 v22, 0x78
	v_cndmask_b32_e32 v30, v6, v22, vcc
	v_or_b32_e32 v20, 0x800000, v7
	v_add_u32_e32 v6, 20, v30
	v_cndmask_b32_e32 v20, v20, v7, vcc
	v_lshlrev_b64 v[6:7], v6, -1
	v_add_u32_e32 v22, 19, v30
	v_lshlrev_b64 v[22:23], v22, 1
	v_bfi_b32 v7, v7, 0, 0
	v_bfi_b32 v6, v6, 0, v20
	v_cmp_eq_u64_e64 s[28:29], v[6:7], v[22:23]
	v_lshrrev_b64 v[6:7], v30, v[20:21]
	v_mov_b32_e32 v23, v7
	v_mov_b32_e32 v22, v6
	s_and_saveexec_b64 s[38:39], s[28:29]
; %bb.4395:                             ;   in Loop: Header=BB6_3875 Depth=3
	v_bfe_u32 v7, v6, 20, 1
	v_add_co_u32_e64 v7, s[28:29], v6, v7
	v_add_co_u32_e64 v22, s[28:29], -1, v7
; %bb.4396:                             ;   in Loop: Header=BB6_3875 Depth=3
	s_or_b64 exec, exec, s[38:39]
	v_add_u32_e32 v7, 0xffffff81, v29
	v_mov_b32_e32 v20, 0xffffff82
	v_cndmask_b32_e32 v7, v7, v20, vcc
	v_lshrrev_b32_e32 v20, 23, v6
	v_add3_u32 v29, v30, v7, v20
	v_add_u32_e32 v23, 6, v29
	v_and_b32_e32 v7, 0xfffff, v22
	v_add_u32_e32 v20, v7, v6
	v_cmp_ne_u32_e32 vcc, 0, v23
                                        ; implicit-def: $vgpr6_vgpr7
                                        ; implicit-def: $vgpr22
	s_and_saveexec_b64 s[28:29], vcc
	s_xor_b64 s[28:29], exec, s[28:29]
; %bb.4397:                             ;   in Loop: Header=BB6_3875 Depth=3
	v_cmp_lt_u64_e32 vcc, s[88:89], v[20:21]
	v_add_u32_e32 v6, 7, v29
	v_cndmask_b32_e32 v22, v23, v6, vcc
	v_cndmask_b32_e64 v6, 0, 1, vcc
	v_lshrrev_b64 v[6:7], v6, v[20:21]
; %bb.4398:                             ;   in Loop: Header=BB6_3875 Depth=3
	s_andn2_saveexec_b64 s[28:29], s[28:29]
; %bb.4399:                             ;   in Loop: Header=BB6_3875 Depth=3
	v_mov_b32_e32 v6, v20
	v_bfe_u32 v22, v20, 23, 1
	v_mov_b32_e32 v7, v21
; %bb.4400:                             ;   in Loop: Header=BB6_3875 Depth=3
	s_or_b64 exec, exec, s[28:29]
	v_lshrrev_b64 v[6:7], 20, v[6:7]
	v_cmp_gt_i32_e32 vcc, 16, v22
	v_cndmask_b32_e32 v7, 0, v7, vcc
	v_cndmask_b32_e32 v6, 7, v6, vcc
	v_cmp_eq_u64_e64 s[28:29], 0, v[6:7]
	v_min_i32_e32 v7, 15, v22
	v_lshlrev_b32_e32 v7, 3, v7
	v_cmp_eq_u32_e32 vcc, 0, v22
	v_and_b32_e32 v7, 0xf8, v7
	v_and_or_b32 v6, v6, 7, v7
	s_and_b64 s[28:29], vcc, s[28:29]
	v_cndmask_b32_e64 v6, v6, 0, s[28:29]
	v_or_b32_e32 v6, v6, v28
	buffer_store_dword v6, off, s[0:3], s33 offset:160 ; 4-byte Folded Spill
.LBB6_4401:                             ;   in Loop: Header=BB6_3875 Depth=3
	s_or_b64 exec, exec, s[36:37]
                                        ; implicit-def: $vgpr28
.LBB6_4402:                             ;   in Loop: Header=BB6_3875 Depth=3
	s_andn2_saveexec_b64 s[28:29], s[34:35]
	s_cbranch_execz .LBB6_4404
; %bb.4403:                             ;   in Loop: Header=BB6_3875 Depth=3
	v_or_b32_e32 v6, 0x7e, v28
	buffer_store_dword v6, off, s[0:3], s33 offset:160 ; 4-byte Folded Spill
.LBB6_4404:                             ;   in Loop: Header=BB6_3875 Depth=3
	s_or_b64 exec, exec, s[28:29]
                                        ; implicit-def: $vgpr6
.LBB6_4405:                             ;   in Loop: Header=BB6_3875 Depth=3
	s_andn2_saveexec_b64 s[28:29], s[30:31]
	s_cbranch_execz .LBB6_4407
; %bb.4406:                             ;   in Loop: Header=BB6_3875 Depth=3
	v_or_b32_sdwa v6, v6, s81 dst_sel:DWORD dst_unused:UNUSED_PAD src0_sel:BYTE_3 src1_sel:DWORD
	buffer_store_dword v6, off, s[0:3], s33 offset:160 ; 4-byte Folded Spill
.LBB6_4407:                             ;   in Loop: Header=BB6_3875 Depth=3
	s_or_b64 exec, exec, s[28:29]
	v_cmp_lt_u32_e32 vcc, s57, v32
	v_mov_b32_e32 v7, 0
	v_mov_b32_e32 v20, 0
	s_and_saveexec_b64 s[28:29], vcc
	s_cbranch_execz .LBB6_4413
; %bb.4408:                             ;   in Loop: Header=BB6_3875 Depth=3
	v_lshrrev_b32_e32 v6, 24, v32
	v_cmp_ne_u32_e32 vcc, s80, v6
	v_bfrev_b32_e32 v20, 1
	s_and_saveexec_b64 s[30:31], vcc
	s_cbranch_execz .LBB6_4412
; %bb.4409:                             ;   in Loop: Header=BB6_3875 Depth=3
	v_bfe_u32 v22, v32, 24, 7
	v_cmp_ne_u32_e32 vcc, s81, v22
	v_mov_b32_e32 v20, 0x7f800001
	s_and_saveexec_b64 s[34:35], vcc
	s_cbranch_execz .LBB6_4411
; %bb.4410:                             ;   in Loop: Header=BB6_3875 Depth=3
	v_and_b32_e32 v20, 7, v6
	v_lshrrev_b32_e32 v28, 3, v22
	v_cmp_gt_u32_e32 vcc, 8, v22
	v_ffbh_u32_e32 v22, v20
	v_min_u32_e32 v29, 32, v22
	v_subrev_u32_e32 v22, 28, v29
	v_lshlrev_b64 v[22:23], v22, v[6:7]
	v_sub_u32_e32 v23, 29, v29
	v_and_b32_e32 v22, 7, v22
	v_cndmask_b32_e32 v23, v28, v23, vcc
	v_cndmask_b32_e32 v20, v20, v22, vcc
	v_lshlrev_b32_e32 v6, 24, v6
	v_bfrev_b32_e32 v22, 60
	v_lshlrev_b32_e32 v20, 20, v20
	v_and_b32_e32 v6, 0x80000000, v6
	v_lshl_add_u32 v22, v23, 23, v22
	v_or3_b32 v20, v6, v22, v20
.LBB6_4411:                             ;   in Loop: Header=BB6_3875 Depth=3
	s_or_b64 exec, exec, s[34:35]
.LBB6_4412:                             ;   in Loop: Header=BB6_3875 Depth=3
	s_or_b64 exec, exec, s[30:31]
.LBB6_4413:                             ;   in Loop: Header=BB6_3875 Depth=3
	s_or_b64 exec, exec, s[28:29]
	v_cmp_lt_u32_e32 vcc, s57, v24
	s_and_saveexec_b64 s[28:29], vcc
	s_cbranch_execz .LBB6_4419
; %bb.4414:                             ;   in Loop: Header=BB6_3875 Depth=3
	v_lshrrev_b32_e32 v6, 24, v24
	v_cmp_ne_u32_e32 vcc, s80, v6
	v_bfrev_b32_e32 v7, 1
	s_and_saveexec_b64 s[30:31], vcc
	s_cbranch_execz .LBB6_4418
; %bb.4415:                             ;   in Loop: Header=BB6_3875 Depth=3
	v_bfe_u32 v22, v24, 24, 7
	v_cmp_ne_u32_e32 vcc, s81, v22
	v_mov_b32_e32 v7, 0x7f800001
	s_and_saveexec_b64 s[34:35], vcc
	s_cbranch_execz .LBB6_4417
; %bb.4416:                             ;   in Loop: Header=BB6_3875 Depth=3
	v_and_b32_e32 v7, 7, v6
	v_lshrrev_b32_e32 v28, 3, v22
	v_cmp_gt_u32_e32 vcc, 8, v22
	v_ffbh_u32_e32 v22, v7
	v_min_u32_e32 v29, 32, v22
	v_subrev_u32_e32 v22, 28, v29
	v_lshlrev_b64 v[22:23], v22, v[6:7]
	v_sub_u32_e32 v23, 29, v29
	v_and_b32_e32 v22, 7, v22
	v_cndmask_b32_e32 v23, v28, v23, vcc
	v_cndmask_b32_e32 v7, v7, v22, vcc
	v_lshlrev_b32_e32 v6, 24, v6
	v_bfrev_b32_e32 v22, 60
	v_lshlrev_b32_e32 v7, 20, v7
	v_and_b32_e32 v6, 0x80000000, v6
	v_lshl_add_u32 v22, v23, 23, v22
	v_or3_b32 v7, v6, v22, v7
.LBB6_4417:                             ;   in Loop: Header=BB6_3875 Depth=3
	s_or_b64 exec, exec, s[34:35]
.LBB6_4418:                             ;   in Loop: Header=BB6_3875 Depth=3
	s_or_b64 exec, exec, s[30:31]
.LBB6_4419:                             ;   in Loop: Header=BB6_3875 Depth=3
	s_or_b64 exec, exec, s[28:29]
	v_mul_f32_e32 v6, v20, v7
	v_and_b32_e32 v20, 0x7f800000, v6
	v_cmp_ne_u64_e32 vcc, s[62:63], v[20:21]
                                        ; implicit-def: $vgpr7
                                        ; kill: killed $vgpr7
	s_and_saveexec_b64 s[28:29], vcc
	s_xor_b64 s[30:31], exec, s[28:29]
	s_cbranch_execz .LBB6_4433
; %bb.4420:                             ;   in Loop: Header=BB6_3875 Depth=3
	v_and_b32_e32 v20, 0x7fffffff, v6
	v_cmp_gt_u64_e32 vcc, s[78:79], v[20:21]
	v_and_b32_sdwa v28, v6, s80 dst_sel:DWORD dst_unused:UNUSED_PAD src0_sel:BYTE_3 src1_sel:DWORD
                                        ; implicit-def: $vgpr7
                                        ; kill: killed $vgpr7
	s_and_saveexec_b64 s[28:29], vcc
	s_xor_b64 s[34:35], exec, s[28:29]
	s_cbranch_execz .LBB6_4430
; %bb.4421:                             ;   in Loop: Header=BB6_3875 Depth=3
	v_mov_b32_e32 v7, 0
	v_cmp_ne_u32_e32 vcc, 0, v6
	buffer_store_dword v7, off, s[0:3], s33 offset:164 ; 4-byte Folded Spill
	s_and_saveexec_b64 s[36:37], vcc
	s_cbranch_execz .LBB6_4429
; %bb.4422:                             ;   in Loop: Header=BB6_3875 Depth=3
	v_bfe_u32 v29, v6, 23, 8
	v_and_b32_e32 v7, 0x7fffff, v6
	v_cmp_gt_u32_e64 s[28:29], s47, v29
	v_sub_u32_e32 v6, 0x79, v29
	v_cmp_eq_u32_e32 vcc, 0, v29
	v_cndmask_b32_e64 v6, 0, v6, s[28:29]
	v_mov_b32_e32 v22, 0x78
	v_cndmask_b32_e32 v30, v6, v22, vcc
	v_or_b32_e32 v20, 0x800000, v7
	v_add_u32_e32 v6, 20, v30
	v_cndmask_b32_e32 v20, v20, v7, vcc
	v_lshlrev_b64 v[6:7], v6, -1
	v_add_u32_e32 v22, 19, v30
	v_lshlrev_b64 v[22:23], v22, 1
	v_bfi_b32 v7, v7, 0, 0
	v_bfi_b32 v6, v6, 0, v20
	v_cmp_eq_u64_e64 s[28:29], v[6:7], v[22:23]
	v_lshrrev_b64 v[6:7], v30, v[20:21]
	v_mov_b32_e32 v23, v7
	v_mov_b32_e32 v22, v6
	s_and_saveexec_b64 s[38:39], s[28:29]
; %bb.4423:                             ;   in Loop: Header=BB6_3875 Depth=3
	v_bfe_u32 v7, v6, 20, 1
	v_add_co_u32_e64 v7, s[28:29], v6, v7
	v_add_co_u32_e64 v22, s[28:29], -1, v7
; %bb.4424:                             ;   in Loop: Header=BB6_3875 Depth=3
	s_or_b64 exec, exec, s[38:39]
	v_add_u32_e32 v7, 0xffffff81, v29
	v_mov_b32_e32 v20, 0xffffff82
	v_cndmask_b32_e32 v7, v7, v20, vcc
	v_lshrrev_b32_e32 v20, 23, v6
	v_add3_u32 v29, v30, v7, v20
	v_add_u32_e32 v23, 6, v29
	v_and_b32_e32 v7, 0xfffff, v22
	v_add_u32_e32 v20, v7, v6
	v_cmp_ne_u32_e32 vcc, 0, v23
                                        ; implicit-def: $vgpr6_vgpr7
                                        ; implicit-def: $vgpr22
	s_and_saveexec_b64 s[28:29], vcc
	s_xor_b64 s[28:29], exec, s[28:29]
; %bb.4425:                             ;   in Loop: Header=BB6_3875 Depth=3
	v_cmp_lt_u64_e32 vcc, s[88:89], v[20:21]
	v_add_u32_e32 v6, 7, v29
	v_cndmask_b32_e32 v22, v23, v6, vcc
	v_cndmask_b32_e64 v6, 0, 1, vcc
	v_lshrrev_b64 v[6:7], v6, v[20:21]
; %bb.4426:                             ;   in Loop: Header=BB6_3875 Depth=3
	s_andn2_saveexec_b64 s[28:29], s[28:29]
; %bb.4427:                             ;   in Loop: Header=BB6_3875 Depth=3
	v_mov_b32_e32 v6, v20
	v_bfe_u32 v22, v20, 23, 1
	v_mov_b32_e32 v7, v21
; %bb.4428:                             ;   in Loop: Header=BB6_3875 Depth=3
	s_or_b64 exec, exec, s[28:29]
	v_lshrrev_b64 v[6:7], 20, v[6:7]
	v_cmp_gt_i32_e32 vcc, 16, v22
	v_cndmask_b32_e32 v7, 0, v7, vcc
	v_cndmask_b32_e32 v6, 7, v6, vcc
	v_cmp_eq_u64_e64 s[28:29], 0, v[6:7]
	v_min_i32_e32 v7, 15, v22
	v_lshlrev_b32_e32 v7, 3, v7
	v_cmp_eq_u32_e32 vcc, 0, v22
	v_and_b32_e32 v7, 0xf8, v7
	v_and_or_b32 v6, v6, 7, v7
	s_and_b64 s[28:29], vcc, s[28:29]
	v_cndmask_b32_e64 v6, v6, 0, s[28:29]
	v_or_b32_e32 v6, v6, v28
	buffer_store_dword v6, off, s[0:3], s33 offset:164 ; 4-byte Folded Spill
.LBB6_4429:                             ;   in Loop: Header=BB6_3875 Depth=3
	s_or_b64 exec, exec, s[36:37]
                                        ; implicit-def: $vgpr28
.LBB6_4430:                             ;   in Loop: Header=BB6_3875 Depth=3
	s_andn2_saveexec_b64 s[28:29], s[34:35]
	s_cbranch_execz .LBB6_4432
; %bb.4431:                             ;   in Loop: Header=BB6_3875 Depth=3
	v_or_b32_e32 v6, 0x7e, v28
	buffer_store_dword v6, off, s[0:3], s33 offset:164 ; 4-byte Folded Spill
.LBB6_4432:                             ;   in Loop: Header=BB6_3875 Depth=3
	s_or_b64 exec, exec, s[28:29]
                                        ; implicit-def: $vgpr6
.LBB6_4433:                             ;   in Loop: Header=BB6_3875 Depth=3
	s_andn2_saveexec_b64 s[28:29], s[30:31]
	s_cbranch_execz .LBB6_4435
; %bb.4434:                             ;   in Loop: Header=BB6_3875 Depth=3
	v_or_b32_sdwa v6, v6, s81 dst_sel:DWORD dst_unused:UNUSED_PAD src0_sel:BYTE_3 src1_sel:DWORD
	buffer_store_dword v6, off, s[0:3], s33 offset:164 ; 4-byte Folded Spill
.LBB6_4435:                             ;   in Loop: Header=BB6_3875 Depth=3
	s_or_b64 exec, exec, s[28:29]
	v_mov_b32_e32 v20, v33
	v_cmp_ne_u16_sdwa vcc, v33, v21 src0_sel:BYTE_0 src1_sel:DWORD
	v_mov_b32_e32 v7, 0
	v_mov_b32_e32 v6, 0
	s_and_saveexec_b64 s[28:29], vcc
	s_cbranch_execz .LBB6_4441
; %bb.4436:                             ;   in Loop: Header=BB6_3875 Depth=3
	v_cmp_ne_u16_sdwa vcc, v33, s80 src0_sel:BYTE_0 src1_sel:DWORD
	v_bfrev_b32_e32 v6, 1
	s_and_saveexec_b64 s[30:31], vcc
	s_cbranch_execz .LBB6_4440
; %bb.4437:                             ;   in Loop: Header=BB6_3875 Depth=3
	v_and_b32_e32 v22, 0x7f, v33
	v_cmp_ne_u32_e32 vcc, s81, v22
	v_mov_b32_e32 v6, 0x7f800001
	s_and_saveexec_b64 s[34:35], vcc
	s_cbranch_execz .LBB6_4439
; %bb.4438:                             ;   in Loop: Header=BB6_3875 Depth=3
	v_and_b32_e32 v6, 7, v33
	v_ffbh_u32_e32 v6, v6
	v_min_u32_e32 v6, 32, v6
	v_lshrrev_b32_e32 v23, 3, v22
	v_cmp_gt_u32_e32 vcc, 8, v22
	v_subrev_u32_e32 v22, 28, v6
	v_sub_u32_e32 v6, 29, v6
	v_cndmask_b32_e32 v22, 0, v22, vcc
	v_cndmask_b32_e32 v6, v23, v6, vcc
	v_lshlrev_b64 v[22:23], v22, v[20:21]
	v_lshlrev_b32_e32 v23, 24, v20
	v_lshlrev_b32_e32 v22, 20, v22
	v_bfrev_b32_e32 v28, 60
	v_and_b32_e32 v22, 0x700000, v22
	v_and_b32_e32 v23, 0x80000000, v23
	v_lshl_add_u32 v6, v6, 23, v28
	v_or3_b32 v6, v23, v6, v22
.LBB6_4439:                             ;   in Loop: Header=BB6_3875 Depth=3
	s_or_b64 exec, exec, s[34:35]
.LBB6_4440:                             ;   in Loop: Header=BB6_3875 Depth=3
	s_or_b64 exec, exec, s[30:31]
.LBB6_4441:                             ;   in Loop: Header=BB6_3875 Depth=3
	s_or_b64 exec, exec, s[28:29]
	v_cmp_ne_u16_sdwa vcc, v25, v21 src0_sel:BYTE_0 src1_sel:DWORD
	s_and_saveexec_b64 s[28:29], vcc
	s_cbranch_execz .LBB6_4447
; %bb.4442:                             ;   in Loop: Header=BB6_3875 Depth=3
	v_cmp_ne_u16_sdwa vcc, v25, s80 src0_sel:BYTE_0 src1_sel:DWORD
	v_bfrev_b32_e32 v7, 1
	s_and_saveexec_b64 s[30:31], vcc
	s_cbranch_execz .LBB6_4446
; %bb.4443:                             ;   in Loop: Header=BB6_3875 Depth=3
	v_and_b32_e32 v22, 0x7f, v25
	v_cmp_ne_u32_e32 vcc, s81, v22
	v_mov_b32_e32 v7, 0x7f800001
	s_and_saveexec_b64 s[34:35], vcc
	s_cbranch_execz .LBB6_4445
; %bb.4444:                             ;   in Loop: Header=BB6_3875 Depth=3
	v_and_b32_e32 v7, 7, v25
	v_ffbh_u32_e32 v7, v7
	v_min_u32_e32 v7, 32, v7
	v_lshrrev_b32_e32 v23, 3, v22
	v_cmp_gt_u32_e32 vcc, 8, v22
	v_subrev_u32_e32 v22, 28, v7
	v_mov_b32_e32 v28, v25
	v_mov_b32_e32 v29, v21
	v_sub_u32_e32 v7, 29, v7
	v_cndmask_b32_e32 v22, 0, v22, vcc
	v_cndmask_b32_e32 v7, v23, v7, vcc
	v_lshlrev_b64 v[22:23], v22, v[28:29]
	v_lshlrev_b32_e32 v23, 24, v28
	v_lshlrev_b32_e32 v22, 20, v22
	v_bfrev_b32_e32 v28, 60
	v_and_b32_e32 v22, 0x700000, v22
	v_and_b32_e32 v23, 0x80000000, v23
	v_lshl_add_u32 v7, v7, 23, v28
	v_or3_b32 v7, v23, v7, v22
.LBB6_4445:                             ;   in Loop: Header=BB6_3875 Depth=3
	s_or_b64 exec, exec, s[34:35]
.LBB6_4446:                             ;   in Loop: Header=BB6_3875 Depth=3
	s_or_b64 exec, exec, s[30:31]
.LBB6_4447:                             ;   in Loop: Header=BB6_3875 Depth=3
	s_or_b64 exec, exec, s[28:29]
	v_mul_f32_e32 v6, v6, v7
	v_and_b32_e32 v22, 0x7f800000, v6
	v_mov_b32_e32 v23, v21
	v_cmp_ne_u64_e32 vcc, s[62:63], v[22:23]
                                        ; implicit-def: $vgpr7
                                        ; kill: killed $vgpr7
	s_and_saveexec_b64 s[28:29], vcc
	s_xor_b64 s[30:31], exec, s[28:29]
	s_cbranch_execz .LBB6_4461
; %bb.4448:                             ;   in Loop: Header=BB6_3875 Depth=3
	v_and_b32_e32 v22, 0x7fffffff, v6
	v_mov_b32_e32 v23, v21
	v_cmp_gt_u64_e32 vcc, s[78:79], v[22:23]
	v_and_b32_sdwa v28, v6, s80 dst_sel:DWORD dst_unused:UNUSED_PAD src0_sel:BYTE_3 src1_sel:DWORD
                                        ; implicit-def: $vgpr7
                                        ; kill: killed $vgpr7
	s_and_saveexec_b64 s[28:29], vcc
	s_xor_b64 s[34:35], exec, s[28:29]
	s_cbranch_execz .LBB6_4458
; %bb.4449:                             ;   in Loop: Header=BB6_3875 Depth=3
	v_mov_b32_e32 v7, 0
	v_cmp_ne_u32_e32 vcc, 0, v6
	buffer_store_dword v7, off, s[0:3], s33 offset:168 ; 4-byte Folded Spill
	s_and_saveexec_b64 s[36:37], vcc
	s_cbranch_execz .LBB6_4457
; %bb.4450:                             ;   in Loop: Header=BB6_3875 Depth=3
	v_bfe_u32 v29, v6, 23, 8
	v_and_b32_e32 v7, 0x7fffff, v6
	v_cmp_gt_u32_e64 s[28:29], s47, v29
	v_sub_u32_e32 v6, 0x79, v29
	v_cmp_eq_u32_e32 vcc, 0, v29
	v_cndmask_b32_e64 v6, 0, v6, s[28:29]
	v_mov_b32_e32 v23, 0x78
	v_or_b32_e32 v22, 0x800000, v7
	v_cndmask_b32_e32 v30, v6, v23, vcc
	v_cndmask_b32_e32 v6, v22, v7, vcc
	v_add_u32_e32 v22, 20, v30
	v_lshlrev_b64 v[22:23], v22, -1
	v_mov_b32_e32 v7, v21
	v_add_u32_e32 v36, 19, v30
	v_bfi_b32 v22, v22, 0, v6
	v_lshlrev_b64 v[36:37], v36, 1
	v_lshrrev_b64 v[6:7], v30, v[6:7]
	v_bfi_b32 v23, v23, 0, 0
	v_cmp_eq_u64_e64 s[28:29], v[22:23], v[36:37]
	v_mov_b32_e32 v23, v7
	v_mov_b32_e32 v22, v6
	s_and_saveexec_b64 s[38:39], s[28:29]
; %bb.4451:                             ;   in Loop: Header=BB6_3875 Depth=3
	v_bfe_u32 v7, v6, 20, 1
	v_add_co_u32_e64 v7, s[28:29], v6, v7
	v_add_co_u32_e64 v22, s[28:29], -1, v7
; %bb.4452:                             ;   in Loop: Header=BB6_3875 Depth=3
	s_or_b64 exec, exec, s[38:39]
	v_add_u32_e32 v7, 0xffffff81, v29
	v_mov_b32_e32 v23, 0xffffff82
	v_cndmask_b32_e32 v7, v7, v23, vcc
	v_lshrrev_b32_e32 v23, 23, v6
	v_add3_u32 v29, v30, v7, v23
	v_add_u32_e32 v23, 6, v29
	v_and_b32_e32 v7, 0xfffff, v22
	v_add_u32_e32 v6, v7, v6
	v_mov_b32_e32 v7, v21
	v_cmp_ne_u32_e32 vcc, 0, v23
                                        ; implicit-def: $vgpr22
	s_and_saveexec_b64 s[28:29], vcc
	s_xor_b64 s[28:29], exec, s[28:29]
; %bb.4453:                             ;   in Loop: Header=BB6_3875 Depth=3
	v_cmp_lt_u64_e32 vcc, s[88:89], v[6:7]
	v_add_u32_e32 v22, 7, v29
	v_cndmask_b32_e32 v22, v23, v22, vcc
	v_cndmask_b32_e64 v23, 0, 1, vcc
	v_lshrrev_b64 v[6:7], v23, v[6:7]
; %bb.4454:                             ;   in Loop: Header=BB6_3875 Depth=3
	s_andn2_saveexec_b64 s[28:29], s[28:29]
; %bb.4455:                             ;   in Loop: Header=BB6_3875 Depth=3
	v_bfe_u32 v22, v6, 23, 1
; %bb.4456:                             ;   in Loop: Header=BB6_3875 Depth=3
	s_or_b64 exec, exec, s[28:29]
	v_lshrrev_b64 v[6:7], 20, v[6:7]
	v_cmp_gt_i32_e32 vcc, 16, v22
	v_cndmask_b32_e32 v7, 0, v7, vcc
	v_cndmask_b32_e32 v6, 7, v6, vcc
	v_cmp_eq_u64_e64 s[28:29], 0, v[6:7]
	v_min_i32_e32 v7, 15, v22
	v_lshlrev_b32_e32 v7, 3, v7
	v_cmp_eq_u32_e32 vcc, 0, v22
	v_and_b32_e32 v7, 0xf8, v7
	v_and_or_b32 v6, v6, 7, v7
	s_and_b64 s[28:29], vcc, s[28:29]
	v_cndmask_b32_e64 v6, v6, 0, s[28:29]
	v_or_b32_e32 v6, v6, v28
	buffer_store_dword v6, off, s[0:3], s33 offset:168 ; 4-byte Folded Spill
.LBB6_4457:                             ;   in Loop: Header=BB6_3875 Depth=3
	s_or_b64 exec, exec, s[36:37]
                                        ; implicit-def: $vgpr28
.LBB6_4458:                             ;   in Loop: Header=BB6_3875 Depth=3
	s_andn2_saveexec_b64 s[28:29], s[34:35]
	s_cbranch_execz .LBB6_4460
; %bb.4459:                             ;   in Loop: Header=BB6_3875 Depth=3
	v_or_b32_e32 v6, 0x7e, v28
	buffer_store_dword v6, off, s[0:3], s33 offset:168 ; 4-byte Folded Spill
.LBB6_4460:                             ;   in Loop: Header=BB6_3875 Depth=3
	s_or_b64 exec, exec, s[28:29]
                                        ; implicit-def: $vgpr6
.LBB6_4461:                             ;   in Loop: Header=BB6_3875 Depth=3
	s_andn2_saveexec_b64 s[28:29], s[30:31]
	s_cbranch_execz .LBB6_4463
; %bb.4462:                             ;   in Loop: Header=BB6_3875 Depth=3
	v_or_b32_sdwa v6, v6, s81 dst_sel:DWORD dst_unused:UNUSED_PAD src0_sel:BYTE_3 src1_sel:DWORD
	buffer_store_dword v6, off, s[0:3], s33 offset:168 ; 4-byte Folded Spill
.LBB6_4463:                             ;   in Loop: Header=BB6_3875 Depth=3
	s_or_b64 exec, exec, s[28:29]
	v_lshrrev_b16_e32 v6, 8, v20
	v_cmp_ne_u16_e32 vcc, 0, v6
	v_mov_b32_e32 v7, 0
	v_mov_b32_e32 v22, 0
	s_and_saveexec_b64 s[28:29], vcc
	s_cbranch_execz .LBB6_4469
; %bb.4464:                             ;   in Loop: Header=BB6_3875 Depth=3
	v_cmp_ne_u16_e32 vcc, s80, v6
	v_bfrev_b32_e32 v22, 1
	s_and_saveexec_b64 s[30:31], vcc
	s_cbranch_execz .LBB6_4468
; %bb.4465:                             ;   in Loop: Header=BB6_3875 Depth=3
	v_and_b32_e32 v23, 0x7f, v6
	v_cmp_ne_u32_e32 vcc, s81, v23
	v_mov_b32_e32 v22, 0x7f800001
	s_and_saveexec_b64 s[34:35], vcc
	s_cbranch_execz .LBB6_4467
; %bb.4466:                             ;   in Loop: Header=BB6_3875 Depth=3
	v_and_b32_e32 v28, 7, v6
	v_ffbh_u32_e32 v22, v28
	v_min_u32_e32 v30, 32, v22
	v_subrev_u32_e32 v22, 28, v30
	v_lshrrev_b32_e32 v29, 3, v23
	v_cmp_gt_u32_e32 vcc, 8, v23
	v_lshlrev_b64 v[22:23], v22, v[6:7]
	v_sub_u32_e32 v6, 29, v30
	v_and_b32_e32 v22, 7, v22
	v_cndmask_b32_e32 v6, v29, v6, vcc
	v_cndmask_b32_e32 v22, v28, v22, vcc
	v_lshlrev_b32_e32 v20, 16, v20
	v_bfrev_b32_e32 v23, 60
	v_lshlrev_b32_e32 v22, 20, v22
	v_and_b32_e32 v20, 0x80000000, v20
	v_lshl_add_u32 v6, v6, 23, v23
	v_or3_b32 v22, v20, v6, v22
.LBB6_4467:                             ;   in Loop: Header=BB6_3875 Depth=3
	s_or_b64 exec, exec, s[34:35]
.LBB6_4468:                             ;   in Loop: Header=BB6_3875 Depth=3
	s_or_b64 exec, exec, s[30:31]
.LBB6_4469:                             ;   in Loop: Header=BB6_3875 Depth=3
	s_or_b64 exec, exec, s[28:29]
	v_lshrrev_b16_e32 v6, 8, v25
	v_cmp_ne_u16_e32 vcc, 0, v6
	s_and_saveexec_b64 s[28:29], vcc
	s_cbranch_execz .LBB6_4475
; %bb.4470:                             ;   in Loop: Header=BB6_3875 Depth=3
	v_cmp_ne_u16_e32 vcc, s80, v6
	v_bfrev_b32_e32 v7, 1
	s_and_saveexec_b64 s[30:31], vcc
	s_cbranch_execz .LBB6_4474
; %bb.4471:                             ;   in Loop: Header=BB6_3875 Depth=3
	v_and_b32_e32 v20, 0x7f, v6
	v_cmp_ne_u32_e32 vcc, s81, v20
	v_mov_b32_e32 v7, 0x7f800001
	s_and_saveexec_b64 s[34:35], vcc
	s_cbranch_execz .LBB6_4473
; %bb.4472:                             ;   in Loop: Header=BB6_3875 Depth=3
	v_and_b32_e32 v23, 7, v6
	v_ffbh_u32_e32 v7, v23
	v_lshrrev_b32_e32 v28, 3, v20
	v_cmp_gt_u32_e32 vcc, 8, v20
	v_min_u32_e32 v20, 32, v7
	v_subrev_u32_e32 v7, 28, v20
	v_lshlrev_b64 v[6:7], v7, v[6:7]
	v_sub_u32_e32 v7, 29, v20
	v_and_b32_e32 v6, 7, v6
	v_cndmask_b32_e32 v7, v28, v7, vcc
	v_cndmask_b32_e32 v6, v23, v6, vcc
	v_lshlrev_b32_e32 v20, 16, v25
	v_bfrev_b32_e32 v23, 60
	v_lshlrev_b32_e32 v6, 20, v6
	v_and_b32_e32 v20, 0x80000000, v20
	v_lshl_add_u32 v7, v7, 23, v23
	v_or3_b32 v7, v20, v7, v6
.LBB6_4473:                             ;   in Loop: Header=BB6_3875 Depth=3
	s_or_b64 exec, exec, s[34:35]
.LBB6_4474:                             ;   in Loop: Header=BB6_3875 Depth=3
	s_or_b64 exec, exec, s[30:31]
.LBB6_4475:                             ;   in Loop: Header=BB6_3875 Depth=3
	s_or_b64 exec, exec, s[28:29]
	v_mul_f32_e32 v6, v22, v7
	v_and_b32_e32 v20, 0x7f800000, v6
	v_cmp_ne_u64_e32 vcc, s[62:63], v[20:21]
                                        ; implicit-def: $vgpr7
                                        ; kill: killed $vgpr7
	s_and_saveexec_b64 s[28:29], vcc
	s_xor_b64 s[30:31], exec, s[28:29]
	s_cbranch_execz .LBB6_4489
; %bb.4476:                             ;   in Loop: Header=BB6_3875 Depth=3
	v_and_b32_e32 v20, 0x7fffffff, v6
	v_cmp_gt_u64_e32 vcc, s[78:79], v[20:21]
	v_and_b32_sdwa v28, v6, s80 dst_sel:DWORD dst_unused:UNUSED_PAD src0_sel:BYTE_3 src1_sel:DWORD
                                        ; implicit-def: $vgpr7
                                        ; kill: killed $vgpr7
	s_and_saveexec_b64 s[28:29], vcc
	s_xor_b64 s[34:35], exec, s[28:29]
	s_cbranch_execz .LBB6_4486
; %bb.4477:                             ;   in Loop: Header=BB6_3875 Depth=3
	v_mov_b32_e32 v7, 0
	v_cmp_ne_u32_e32 vcc, 0, v6
	buffer_store_dword v7, off, s[0:3], s33 offset:184 ; 4-byte Folded Spill
	s_and_saveexec_b64 s[36:37], vcc
	s_cbranch_execz .LBB6_4485
; %bb.4478:                             ;   in Loop: Header=BB6_3875 Depth=3
	v_bfe_u32 v30, v6, 23, 8
	v_and_b32_e32 v7, 0x7fffff, v6
	v_cmp_gt_u32_e64 s[28:29], s47, v30
	v_sub_u32_e32 v6, 0x79, v30
	v_cmp_eq_u32_e32 vcc, 0, v30
	v_cndmask_b32_e64 v6, 0, v6, s[28:29]
	v_mov_b32_e32 v22, 0x78
	v_cndmask_b32_e32 v36, v6, v22, vcc
	v_or_b32_e32 v20, 0x800000, v7
	v_add_u32_e32 v6, 20, v36
	v_cndmask_b32_e32 v20, v20, v7, vcc
	v_lshlrev_b64 v[6:7], v6, -1
	v_add_u32_e32 v22, 19, v36
	v_lshlrev_b64 v[22:23], v22, 1
	v_bfi_b32 v7, v7, 0, 0
	v_bfi_b32 v6, v6, 0, v20
	v_cmp_eq_u64_e64 s[28:29], v[6:7], v[22:23]
	v_lshrrev_b64 v[6:7], v36, v[20:21]
	v_mov_b32_e32 v23, v7
	v_mov_b32_e32 v22, v6
	s_and_saveexec_b64 s[38:39], s[28:29]
; %bb.4479:                             ;   in Loop: Header=BB6_3875 Depth=3
	v_bfe_u32 v7, v6, 20, 1
	v_add_co_u32_e64 v7, s[28:29], v6, v7
	v_add_co_u32_e64 v22, s[28:29], -1, v7
; %bb.4480:                             ;   in Loop: Header=BB6_3875 Depth=3
	s_or_b64 exec, exec, s[38:39]
	v_add_u32_e32 v7, 0xffffff81, v30
	v_mov_b32_e32 v20, 0xffffff82
	v_cndmask_b32_e32 v7, v7, v20, vcc
	v_lshrrev_b32_e32 v20, 23, v6
	v_add3_u32 v29, v36, v7, v20
	v_add_u32_e32 v23, 6, v29
	v_and_b32_e32 v7, 0xfffff, v22
	v_add_u32_e32 v20, v7, v6
	v_cmp_ne_u32_e32 vcc, 0, v23
                                        ; implicit-def: $vgpr6_vgpr7
                                        ; implicit-def: $vgpr22
	s_and_saveexec_b64 s[28:29], vcc
	s_xor_b64 s[28:29], exec, s[28:29]
; %bb.4481:                             ;   in Loop: Header=BB6_3875 Depth=3
	v_cmp_lt_u64_e32 vcc, s[88:89], v[20:21]
	v_add_u32_e32 v6, 7, v29
	v_cndmask_b32_e32 v22, v23, v6, vcc
	v_cndmask_b32_e64 v6, 0, 1, vcc
	v_lshrrev_b64 v[6:7], v6, v[20:21]
; %bb.4482:                             ;   in Loop: Header=BB6_3875 Depth=3
	s_andn2_saveexec_b64 s[28:29], s[28:29]
; %bb.4483:                             ;   in Loop: Header=BB6_3875 Depth=3
	v_mov_b32_e32 v6, v20
	v_bfe_u32 v22, v20, 23, 1
	v_mov_b32_e32 v7, v21
; %bb.4484:                             ;   in Loop: Header=BB6_3875 Depth=3
	s_or_b64 exec, exec, s[28:29]
	v_lshrrev_b64 v[6:7], 20, v[6:7]
	v_cmp_gt_i32_e32 vcc, 16, v22
	v_cndmask_b32_e32 v7, 0, v7, vcc
	v_cndmask_b32_e32 v6, 7, v6, vcc
	v_cmp_eq_u64_e64 s[28:29], 0, v[6:7]
	v_min_i32_e32 v7, 15, v22
	v_lshlrev_b32_e32 v7, 3, v7
	v_cmp_eq_u32_e32 vcc, 0, v22
	v_and_b32_e32 v7, 0xf8, v7
	v_and_or_b32 v6, v6, 7, v7
	s_and_b64 s[28:29], vcc, s[28:29]
	v_cndmask_b32_e64 v6, v6, 0, s[28:29]
	v_or_b32_e32 v6, v6, v28
	buffer_store_dword v6, off, s[0:3], s33 offset:184 ; 4-byte Folded Spill
.LBB6_4485:                             ;   in Loop: Header=BB6_3875 Depth=3
	s_or_b64 exec, exec, s[36:37]
                                        ; implicit-def: $vgpr28
.LBB6_4486:                             ;   in Loop: Header=BB6_3875 Depth=3
	s_andn2_saveexec_b64 s[28:29], s[34:35]
	s_cbranch_execz .LBB6_4488
; %bb.4487:                             ;   in Loop: Header=BB6_3875 Depth=3
	v_or_b32_e32 v6, 0x7e, v28
	buffer_store_dword v6, off, s[0:3], s33 offset:184 ; 4-byte Folded Spill
.LBB6_4488:                             ;   in Loop: Header=BB6_3875 Depth=3
	s_or_b64 exec, exec, s[28:29]
                                        ; implicit-def: $vgpr6
.LBB6_4489:                             ;   in Loop: Header=BB6_3875 Depth=3
	s_andn2_saveexec_b64 s[28:29], s[30:31]
	s_cbranch_execz .LBB6_4491
; %bb.4490:                             ;   in Loop: Header=BB6_3875 Depth=3
	v_or_b32_sdwa v6, v6, s81 dst_sel:DWORD dst_unused:UNUSED_PAD src0_sel:BYTE_3 src1_sel:DWORD
	buffer_store_dword v6, off, s[0:3], s33 offset:184 ; 4-byte Folded Spill
.LBB6_4491:                             ;   in Loop: Header=BB6_3875 Depth=3
	s_or_b64 exec, exec, s[28:29]
	v_lshrrev_b32_e32 v6, 16, v33
	v_cmp_ne_u16_sdwa vcc, v6, v21 src0_sel:BYTE_0 src1_sel:DWORD
	v_mov_b32_e32 v7, 0
	v_mov_b32_e32 v20, 0
	s_and_saveexec_b64 s[28:29], vcc
	s_cbranch_execz .LBB6_4497
; %bb.4492:                             ;   in Loop: Header=BB6_3875 Depth=3
	v_cmp_ne_u16_sdwa vcc, v6, s80 src0_sel:BYTE_0 src1_sel:DWORD
	v_bfrev_b32_e32 v20, 1
	s_and_saveexec_b64 s[30:31], vcc
	s_cbranch_execz .LBB6_4496
; %bb.4493:                             ;   in Loop: Header=BB6_3875 Depth=3
	v_bfe_u32 v22, v33, 16, 7
	v_cmp_ne_u32_e32 vcc, s81, v22
	v_mov_b32_e32 v20, 0x7f800001
	s_and_saveexec_b64 s[34:35], vcc
	s_cbranch_execz .LBB6_4495
; %bb.4494:                             ;   in Loop: Header=BB6_3875 Depth=3
	v_and_b32_e32 v20, 7, v6
	v_lshrrev_b32_e32 v28, 3, v22
	v_cmp_gt_u32_e32 vcc, 8, v22
	v_ffbh_u32_e32 v22, v20
	v_min_u32_e32 v29, 32, v22
	v_subrev_u32_e32 v22, 28, v29
	v_lshlrev_b64 v[22:23], v22, v[6:7]
	v_sub_u32_e32 v23, 29, v29
	v_and_b32_e32 v22, 7, v22
	v_cndmask_b32_e32 v23, v28, v23, vcc
	v_cndmask_b32_e32 v20, v20, v22, vcc
	v_lshlrev_b32_e32 v6, 24, v6
	v_bfrev_b32_e32 v22, 60
	v_lshlrev_b32_e32 v20, 20, v20
	v_and_b32_e32 v6, 0x80000000, v6
	v_lshl_add_u32 v22, v23, 23, v22
	v_or3_b32 v20, v6, v22, v20
.LBB6_4495:                             ;   in Loop: Header=BB6_3875 Depth=3
	s_or_b64 exec, exec, s[34:35]
.LBB6_4496:                             ;   in Loop: Header=BB6_3875 Depth=3
	s_or_b64 exec, exec, s[30:31]
.LBB6_4497:                             ;   in Loop: Header=BB6_3875 Depth=3
	s_or_b64 exec, exec, s[28:29]
	v_lshrrev_b32_e32 v6, 16, v25
	v_cmp_ne_u16_sdwa vcc, v6, v21 src0_sel:BYTE_0 src1_sel:DWORD
	s_and_saveexec_b64 s[28:29], vcc
	s_cbranch_execz .LBB6_4503
; %bb.4498:                             ;   in Loop: Header=BB6_3875 Depth=3
	v_cmp_ne_u16_sdwa vcc, v6, s80 src0_sel:BYTE_0 src1_sel:DWORD
	v_bfrev_b32_e32 v7, 1
	s_and_saveexec_b64 s[30:31], vcc
	s_cbranch_execz .LBB6_4502
; %bb.4499:                             ;   in Loop: Header=BB6_3875 Depth=3
	v_bfe_u32 v22, v25, 16, 7
	v_cmp_ne_u32_e32 vcc, s81, v22
	v_mov_b32_e32 v7, 0x7f800001
	s_and_saveexec_b64 s[34:35], vcc
	s_cbranch_execz .LBB6_4501
; %bb.4500:                             ;   in Loop: Header=BB6_3875 Depth=3
	v_and_b32_e32 v23, 7, v6
	v_ffbh_u32_e32 v7, v23
	v_lshrrev_b32_e32 v28, 3, v22
	v_cmp_gt_u32_e32 vcc, 8, v22
	v_min_u32_e32 v22, 32, v7
	v_subrev_u32_e32 v7, 28, v22
	v_lshlrev_b64 v[6:7], v7, v[6:7]
	v_sub_u32_e32 v7, 29, v22
	v_and_b32_e32 v6, 7, v6
	v_cndmask_b32_e32 v7, v28, v7, vcc
	v_cndmask_b32_e32 v6, v23, v6, vcc
	v_lshlrev_b32_e32 v22, 8, v25
	v_bfrev_b32_e32 v23, 60
	v_lshlrev_b32_e32 v6, 20, v6
	v_and_b32_e32 v22, 0x80000000, v22
	v_lshl_add_u32 v7, v7, 23, v23
	v_or3_b32 v7, v22, v7, v6
.LBB6_4501:                             ;   in Loop: Header=BB6_3875 Depth=3
	s_or_b64 exec, exec, s[34:35]
.LBB6_4502:                             ;   in Loop: Header=BB6_3875 Depth=3
	s_or_b64 exec, exec, s[30:31]
.LBB6_4503:                             ;   in Loop: Header=BB6_3875 Depth=3
	s_or_b64 exec, exec, s[28:29]
	v_mul_f32_e32 v6, v20, v7
	v_and_b32_e32 v20, 0x7f800000, v6
	v_cmp_ne_u64_e32 vcc, s[62:63], v[20:21]
                                        ; implicit-def: $vgpr7
                                        ; kill: killed $vgpr7
	s_and_saveexec_b64 s[28:29], vcc
	s_xor_b64 s[30:31], exec, s[28:29]
	s_cbranch_execz .LBB6_4517
; %bb.4504:                             ;   in Loop: Header=BB6_3875 Depth=3
	v_and_b32_e32 v20, 0x7fffffff, v6
	v_cmp_gt_u64_e32 vcc, s[78:79], v[20:21]
	v_and_b32_sdwa v28, v6, s80 dst_sel:DWORD dst_unused:UNUSED_PAD src0_sel:BYTE_3 src1_sel:DWORD
                                        ; implicit-def: $vgpr7
                                        ; kill: killed $vgpr7
	s_and_saveexec_b64 s[28:29], vcc
	s_xor_b64 s[34:35], exec, s[28:29]
	s_cbranch_execz .LBB6_4514
; %bb.4505:                             ;   in Loop: Header=BB6_3875 Depth=3
	v_mov_b32_e32 v7, 0
	v_cmp_ne_u32_e32 vcc, 0, v6
	buffer_store_dword v7, off, s[0:3], s33 offset:188 ; 4-byte Folded Spill
	s_and_saveexec_b64 s[36:37], vcc
	s_cbranch_execz .LBB6_4513
; %bb.4506:                             ;   in Loop: Header=BB6_3875 Depth=3
	v_bfe_u32 v30, v6, 23, 8
	v_and_b32_e32 v7, 0x7fffff, v6
	v_cmp_gt_u32_e64 s[28:29], s47, v30
	v_sub_u32_e32 v6, 0x79, v30
	v_cmp_eq_u32_e32 vcc, 0, v30
	v_cndmask_b32_e64 v6, 0, v6, s[28:29]
	v_mov_b32_e32 v22, 0x78
	v_cndmask_b32_e32 v36, v6, v22, vcc
	v_or_b32_e32 v20, 0x800000, v7
	v_add_u32_e32 v6, 20, v36
	v_cndmask_b32_e32 v20, v20, v7, vcc
	v_lshlrev_b64 v[6:7], v6, -1
	v_add_u32_e32 v22, 19, v36
	v_lshlrev_b64 v[22:23], v22, 1
	v_bfi_b32 v7, v7, 0, 0
	v_bfi_b32 v6, v6, 0, v20
	v_cmp_eq_u64_e64 s[28:29], v[6:7], v[22:23]
	v_lshrrev_b64 v[6:7], v36, v[20:21]
	v_mov_b32_e32 v23, v7
	v_mov_b32_e32 v22, v6
	s_and_saveexec_b64 s[38:39], s[28:29]
; %bb.4507:                             ;   in Loop: Header=BB6_3875 Depth=3
	v_bfe_u32 v7, v6, 20, 1
	v_add_co_u32_e64 v7, s[28:29], v6, v7
	v_add_co_u32_e64 v22, s[28:29], -1, v7
; %bb.4508:                             ;   in Loop: Header=BB6_3875 Depth=3
	s_or_b64 exec, exec, s[38:39]
	v_add_u32_e32 v7, 0xffffff81, v30
	v_mov_b32_e32 v20, 0xffffff82
	v_cndmask_b32_e32 v7, v7, v20, vcc
	v_lshrrev_b32_e32 v20, 23, v6
	v_add3_u32 v29, v36, v7, v20
	v_add_u32_e32 v23, 6, v29
	v_and_b32_e32 v7, 0xfffff, v22
	v_add_u32_e32 v20, v7, v6
	v_cmp_ne_u32_e32 vcc, 0, v23
                                        ; implicit-def: $vgpr6_vgpr7
                                        ; implicit-def: $vgpr22
	s_and_saveexec_b64 s[28:29], vcc
	s_xor_b64 s[28:29], exec, s[28:29]
; %bb.4509:                             ;   in Loop: Header=BB6_3875 Depth=3
	v_cmp_lt_u64_e32 vcc, s[88:89], v[20:21]
	v_add_u32_e32 v6, 7, v29
	v_cndmask_b32_e32 v22, v23, v6, vcc
	v_cndmask_b32_e64 v6, 0, 1, vcc
	v_lshrrev_b64 v[6:7], v6, v[20:21]
; %bb.4510:                             ;   in Loop: Header=BB6_3875 Depth=3
	s_andn2_saveexec_b64 s[28:29], s[28:29]
; %bb.4511:                             ;   in Loop: Header=BB6_3875 Depth=3
	v_mov_b32_e32 v6, v20
	v_bfe_u32 v22, v20, 23, 1
	v_mov_b32_e32 v7, v21
; %bb.4512:                             ;   in Loop: Header=BB6_3875 Depth=3
	s_or_b64 exec, exec, s[28:29]
	v_lshrrev_b64 v[6:7], 20, v[6:7]
	v_cmp_gt_i32_e32 vcc, 16, v22
	v_cndmask_b32_e32 v7, 0, v7, vcc
	v_cndmask_b32_e32 v6, 7, v6, vcc
	v_cmp_eq_u64_e64 s[28:29], 0, v[6:7]
	v_min_i32_e32 v7, 15, v22
	v_lshlrev_b32_e32 v7, 3, v7
	v_cmp_eq_u32_e32 vcc, 0, v22
	v_and_b32_e32 v7, 0xf8, v7
	v_and_or_b32 v6, v6, 7, v7
	s_and_b64 s[28:29], vcc, s[28:29]
	v_cndmask_b32_e64 v6, v6, 0, s[28:29]
	v_or_b32_e32 v6, v6, v28
	buffer_store_dword v6, off, s[0:3], s33 offset:188 ; 4-byte Folded Spill
.LBB6_4513:                             ;   in Loop: Header=BB6_3875 Depth=3
	s_or_b64 exec, exec, s[36:37]
                                        ; implicit-def: $vgpr28
.LBB6_4514:                             ;   in Loop: Header=BB6_3875 Depth=3
	s_andn2_saveexec_b64 s[28:29], s[34:35]
	s_cbranch_execz .LBB6_4516
; %bb.4515:                             ;   in Loop: Header=BB6_3875 Depth=3
	v_or_b32_e32 v6, 0x7e, v28
	buffer_store_dword v6, off, s[0:3], s33 offset:188 ; 4-byte Folded Spill
.LBB6_4516:                             ;   in Loop: Header=BB6_3875 Depth=3
	s_or_b64 exec, exec, s[28:29]
                                        ; implicit-def: $vgpr6
.LBB6_4517:                             ;   in Loop: Header=BB6_3875 Depth=3
	s_andn2_saveexec_b64 s[28:29], s[30:31]
	s_cbranch_execz .LBB6_4519
; %bb.4518:                             ;   in Loop: Header=BB6_3875 Depth=3
	v_or_b32_sdwa v6, v6, s81 dst_sel:DWORD dst_unused:UNUSED_PAD src0_sel:BYTE_3 src1_sel:DWORD
	buffer_store_dword v6, off, s[0:3], s33 offset:188 ; 4-byte Folded Spill
.LBB6_4519:                             ;   in Loop: Header=BB6_3875 Depth=3
	s_or_b64 exec, exec, s[28:29]
	v_cmp_lt_u64_e32 vcc, s[56:57], v[32:33]
	v_mov_b32_e32 v7, 0
	v_mov_b32_e32 v20, 0
	s_and_saveexec_b64 s[28:29], vcc
	s_cbranch_execz .LBB6_4525
; %bb.4520:                             ;   in Loop: Header=BB6_3875 Depth=3
	v_lshrrev_b32_e32 v6, 24, v33
	v_cmp_ne_u32_e32 vcc, s80, v6
	v_bfrev_b32_e32 v20, 1
	s_and_saveexec_b64 s[30:31], vcc
	s_cbranch_execz .LBB6_4524
; %bb.4521:                             ;   in Loop: Header=BB6_3875 Depth=3
	v_bfe_u32 v22, v33, 24, 7
	v_cmp_ne_u32_e32 vcc, s81, v22
	v_mov_b32_e32 v20, 0x7f800001
	s_and_saveexec_b64 s[34:35], vcc
	s_cbranch_execz .LBB6_4523
; %bb.4522:                             ;   in Loop: Header=BB6_3875 Depth=3
	v_and_b32_e32 v20, 7, v6
	v_lshrrev_b32_e32 v28, 3, v22
	v_cmp_gt_u32_e32 vcc, 8, v22
	v_ffbh_u32_e32 v22, v20
	v_min_u32_e32 v29, 32, v22
	v_subrev_u32_e32 v22, 28, v29
	v_lshlrev_b64 v[22:23], v22, v[6:7]
	v_sub_u32_e32 v23, 29, v29
	v_and_b32_e32 v22, 7, v22
	v_cndmask_b32_e32 v23, v28, v23, vcc
	v_cndmask_b32_e32 v20, v20, v22, vcc
	v_lshlrev_b32_e32 v6, 24, v6
	v_bfrev_b32_e32 v22, 60
	v_lshlrev_b32_e32 v20, 20, v20
	v_and_b32_e32 v6, 0x80000000, v6
	v_lshl_add_u32 v22, v23, 23, v22
	v_or3_b32 v20, v6, v22, v20
.LBB6_4523:                             ;   in Loop: Header=BB6_3875 Depth=3
	s_or_b64 exec, exec, s[34:35]
.LBB6_4524:                             ;   in Loop: Header=BB6_3875 Depth=3
	s_or_b64 exec, exec, s[30:31]
.LBB6_4525:                             ;   in Loop: Header=BB6_3875 Depth=3
	s_or_b64 exec, exec, s[28:29]
	v_cmp_lt_u64_e32 vcc, s[56:57], v[24:25]
	s_and_saveexec_b64 s[28:29], vcc
	s_cbranch_execz .LBB6_4531
; %bb.4526:                             ;   in Loop: Header=BB6_3875 Depth=3
	v_lshrrev_b32_e32 v6, 24, v25
	v_cmp_ne_u32_e32 vcc, s80, v6
	v_bfrev_b32_e32 v7, 1
	s_and_saveexec_b64 s[30:31], vcc
	s_cbranch_execz .LBB6_4530
; %bb.4527:                             ;   in Loop: Header=BB6_3875 Depth=3
	v_bfe_u32 v22, v25, 24, 7
	v_cmp_ne_u32_e32 vcc, s81, v22
	v_mov_b32_e32 v7, 0x7f800001
	s_and_saveexec_b64 s[34:35], vcc
	s_cbranch_execz .LBB6_4529
; %bb.4528:                             ;   in Loop: Header=BB6_3875 Depth=3
	v_and_b32_e32 v7, 7, v6
	v_lshrrev_b32_e32 v24, 3, v22
	v_cmp_gt_u32_e32 vcc, 8, v22
	v_ffbh_u32_e32 v22, v7
	v_min_u32_e32 v25, 32, v22
	v_subrev_u32_e32 v22, 28, v25
	v_lshlrev_b64 v[22:23], v22, v[6:7]
	v_sub_u32_e32 v23, 29, v25
	v_and_b32_e32 v22, 7, v22
	v_cndmask_b32_e32 v23, v24, v23, vcc
	v_cndmask_b32_e32 v7, v7, v22, vcc
	v_lshlrev_b32_e32 v6, 24, v6
	v_bfrev_b32_e32 v22, 60
	v_lshlrev_b32_e32 v7, 20, v7
	v_and_b32_e32 v6, 0x80000000, v6
	v_lshl_add_u32 v22, v23, 23, v22
	v_or3_b32 v7, v6, v22, v7
.LBB6_4529:                             ;   in Loop: Header=BB6_3875 Depth=3
	s_or_b64 exec, exec, s[34:35]
.LBB6_4530:                             ;   in Loop: Header=BB6_3875 Depth=3
	s_or_b64 exec, exec, s[30:31]
.LBB6_4531:                             ;   in Loop: Header=BB6_3875 Depth=3
	s_or_b64 exec, exec, s[28:29]
	v_mul_f32_e32 v6, v20, v7
	v_and_b32_e32 v20, 0x7f800000, v6
	v_cmp_ne_u64_e32 vcc, s[62:63], v[20:21]
                                        ; implicit-def: $vgpr7
                                        ; kill: killed $vgpr7
	s_and_saveexec_b64 s[28:29], vcc
	s_xor_b64 s[30:31], exec, s[28:29]
	s_cbranch_execz .LBB6_4545
; %bb.4532:                             ;   in Loop: Header=BB6_3875 Depth=3
	v_and_b32_e32 v20, 0x7fffffff, v6
	v_cmp_gt_u64_e32 vcc, s[78:79], v[20:21]
	v_and_b32_sdwa v25, v6, s80 dst_sel:DWORD dst_unused:UNUSED_PAD src0_sel:BYTE_3 src1_sel:DWORD
                                        ; implicit-def: $vgpr7
                                        ; kill: killed $vgpr7
	s_and_saveexec_b64 s[28:29], vcc
	s_xor_b64 s[34:35], exec, s[28:29]
	s_cbranch_execz .LBB6_4542
; %bb.4533:                             ;   in Loop: Header=BB6_3875 Depth=3
	v_mov_b32_e32 v7, 0
	v_cmp_ne_u32_e32 vcc, 0, v6
	buffer_store_dword v7, off, s[0:3], s33 offset:296 ; 4-byte Folded Spill
	s_and_saveexec_b64 s[36:37], vcc
	s_cbranch_execz .LBB6_4541
; %bb.4534:                             ;   in Loop: Header=BB6_3875 Depth=3
	v_bfe_u32 v24, v6, 23, 8
	v_and_b32_e32 v7, 0x7fffff, v6
	v_cmp_gt_u32_e64 s[28:29], s47, v24
	v_sub_u32_e32 v6, 0x79, v24
	v_cmp_eq_u32_e32 vcc, 0, v24
	v_cndmask_b32_e64 v6, 0, v6, s[28:29]
	v_mov_b32_e32 v22, 0x78
	v_cndmask_b32_e32 v28, v6, v22, vcc
	v_or_b32_e32 v20, 0x800000, v7
	v_add_u32_e32 v6, 20, v28
	v_cndmask_b32_e32 v20, v20, v7, vcc
	v_lshlrev_b64 v[6:7], v6, -1
	v_add_u32_e32 v22, 19, v28
	v_lshlrev_b64 v[22:23], v22, 1
	v_bfi_b32 v7, v7, 0, 0
	v_bfi_b32 v6, v6, 0, v20
	v_cmp_eq_u64_e64 s[28:29], v[6:7], v[22:23]
	v_lshrrev_b64 v[6:7], v28, v[20:21]
	v_mov_b32_e32 v23, v7
	v_mov_b32_e32 v22, v6
	s_and_saveexec_b64 s[38:39], s[28:29]
; %bb.4535:                             ;   in Loop: Header=BB6_3875 Depth=3
	v_bfe_u32 v7, v6, 20, 1
	v_add_co_u32_e64 v7, s[28:29], v6, v7
	v_add_co_u32_e64 v22, s[28:29], -1, v7
; %bb.4536:                             ;   in Loop: Header=BB6_3875 Depth=3
	s_or_b64 exec, exec, s[38:39]
	v_add_u32_e32 v7, 0xffffff81, v24
	v_mov_b32_e32 v20, 0xffffff82
	v_cndmask_b32_e32 v7, v7, v20, vcc
	v_lshrrev_b32_e32 v20, 23, v6
	v_add3_u32 v24, v28, v7, v20
	v_add_u32_e32 v23, 6, v24
	v_and_b32_e32 v7, 0xfffff, v22
	v_add_u32_e32 v20, v7, v6
	v_cmp_ne_u32_e32 vcc, 0, v23
                                        ; implicit-def: $vgpr6_vgpr7
                                        ; implicit-def: $vgpr22
	s_and_saveexec_b64 s[28:29], vcc
	s_xor_b64 s[28:29], exec, s[28:29]
; %bb.4537:                             ;   in Loop: Header=BB6_3875 Depth=3
	v_cmp_lt_u64_e32 vcc, s[88:89], v[20:21]
	v_add_u32_e32 v6, 7, v24
	v_cndmask_b32_e32 v22, v23, v6, vcc
	v_cndmask_b32_e64 v6, 0, 1, vcc
	v_lshrrev_b64 v[6:7], v6, v[20:21]
; %bb.4538:                             ;   in Loop: Header=BB6_3875 Depth=3
	s_andn2_saveexec_b64 s[28:29], s[28:29]
; %bb.4539:                             ;   in Loop: Header=BB6_3875 Depth=3
	v_mov_b32_e32 v6, v20
	v_bfe_u32 v22, v20, 23, 1
	v_mov_b32_e32 v7, v21
; %bb.4540:                             ;   in Loop: Header=BB6_3875 Depth=3
	s_or_b64 exec, exec, s[28:29]
	v_lshrrev_b64 v[6:7], 20, v[6:7]
	v_cmp_gt_i32_e32 vcc, 16, v22
	v_cndmask_b32_e32 v7, 0, v7, vcc
	v_cndmask_b32_e32 v6, 7, v6, vcc
	v_cmp_eq_u64_e64 s[28:29], 0, v[6:7]
	v_min_i32_e32 v7, 15, v22
	v_lshlrev_b32_e32 v7, 3, v7
	v_cmp_eq_u32_e32 vcc, 0, v22
	v_and_b32_e32 v7, 0xf8, v7
	v_and_or_b32 v6, v6, 7, v7
	s_and_b64 s[28:29], vcc, s[28:29]
	v_cndmask_b32_e64 v6, v6, 0, s[28:29]
	v_or_b32_e32 v6, v6, v25
	buffer_store_dword v6, off, s[0:3], s33 offset:296 ; 4-byte Folded Spill
.LBB6_4541:                             ;   in Loop: Header=BB6_3875 Depth=3
	s_or_b64 exec, exec, s[36:37]
                                        ; implicit-def: $vgpr25
.LBB6_4542:                             ;   in Loop: Header=BB6_3875 Depth=3
	s_andn2_saveexec_b64 s[28:29], s[34:35]
	s_cbranch_execz .LBB6_4544
; %bb.4543:                             ;   in Loop: Header=BB6_3875 Depth=3
	v_or_b32_e32 v6, 0x7e, v25
	buffer_store_dword v6, off, s[0:3], s33 offset:296 ; 4-byte Folded Spill
.LBB6_4544:                             ;   in Loop: Header=BB6_3875 Depth=3
	s_or_b64 exec, exec, s[28:29]
                                        ; implicit-def: $vgpr6
.LBB6_4545:                             ;   in Loop: Header=BB6_3875 Depth=3
	s_andn2_saveexec_b64 s[28:29], s[30:31]
	s_cbranch_execz .LBB6_4547
; %bb.4546:                             ;   in Loop: Header=BB6_3875 Depth=3
	v_or_b32_sdwa v6, v6, s81 dst_sel:DWORD dst_unused:UNUSED_PAD src0_sel:BYTE_3 src1_sel:DWORD
	buffer_store_dword v6, off, s[0:3], s33 offset:296 ; 4-byte Folded Spill
.LBB6_4547:                             ;   in Loop: Header=BB6_3875 Depth=3
	s_or_b64 exec, exec, s[28:29]
	v_cmp_ne_u16_sdwa vcc, v34, v21 src0_sel:BYTE_0 src1_sel:DWORD
	v_mov_b32_e32 v6, 0
	v_mov_b32_e32 v7, 0
	s_and_saveexec_b64 s[28:29], vcc
	s_cbranch_execz .LBB6_4553
; %bb.4548:                             ;   in Loop: Header=BB6_3875 Depth=3
	v_cmp_ne_u16_sdwa vcc, v34, s80 src0_sel:BYTE_0 src1_sel:DWORD
	v_bfrev_b32_e32 v7, 1
	s_and_saveexec_b64 s[30:31], vcc
	s_cbranch_execz .LBB6_4552
; %bb.4549:                             ;   in Loop: Header=BB6_3875 Depth=3
	v_and_b32_e32 v20, 0x7f, v34
	v_cmp_ne_u32_e32 vcc, s81, v20
	v_mov_b32_e32 v7, 0x7f800001
	s_and_saveexec_b64 s[34:35], vcc
	s_cbranch_execz .LBB6_4551
; %bb.4550:                             ;   in Loop: Header=BB6_3875 Depth=3
	v_and_b32_e32 v7, 7, v34
	v_ffbh_u32_e32 v7, v7
	v_min_u32_e32 v7, 32, v7
	v_lshrrev_b32_e32 v22, 3, v20
	v_cmp_gt_u32_e32 vcc, 8, v20
	v_subrev_u32_e32 v20, 28, v7
	v_sub_u32_e32 v7, 29, v7
	v_cndmask_b32_e32 v20, 0, v20, vcc
	v_cndmask_b32_e32 v7, v22, v7, vcc
	v_lshlrev_b64 v[22:23], v20, v[34:35]
	v_bfrev_b32_e32 v23, 60
	v_lshlrev_b32_e32 v20, 20, v22
	v_lshlrev_b32_e32 v22, 24, v34
	v_and_b32_e32 v20, 0x700000, v20
	v_and_b32_e32 v22, 0x80000000, v22
	v_lshl_add_u32 v7, v7, 23, v23
	v_or3_b32 v7, v22, v7, v20
.LBB6_4551:                             ;   in Loop: Header=BB6_3875 Depth=3
	s_or_b64 exec, exec, s[34:35]
.LBB6_4552:                             ;   in Loop: Header=BB6_3875 Depth=3
	s_or_b64 exec, exec, s[30:31]
.LBB6_4553:                             ;   in Loop: Header=BB6_3875 Depth=3
	s_or_b64 exec, exec, s[28:29]
	v_cmp_ne_u16_sdwa vcc, v26, v21 src0_sel:BYTE_0 src1_sel:DWORD
	s_and_saveexec_b64 s[28:29], vcc
	s_cbranch_execz .LBB6_4559
; %bb.4554:                             ;   in Loop: Header=BB6_3875 Depth=3
	v_cmp_ne_u16_sdwa vcc, v26, s80 src0_sel:BYTE_0 src1_sel:DWORD
	v_bfrev_b32_e32 v6, 1
	s_and_saveexec_b64 s[30:31], vcc
	s_cbranch_execz .LBB6_4558
; %bb.4555:                             ;   in Loop: Header=BB6_3875 Depth=3
	v_and_b32_e32 v20, 0x7f, v26
	v_cmp_ne_u32_e32 vcc, s81, v20
	v_mov_b32_e32 v6, 0x7f800001
	s_and_saveexec_b64 s[34:35], vcc
	s_cbranch_execz .LBB6_4557
; %bb.4556:                             ;   in Loop: Header=BB6_3875 Depth=3
	v_and_b32_e32 v6, 7, v26
	v_ffbh_u32_e32 v6, v6
	v_min_u32_e32 v6, 32, v6
	v_lshrrev_b32_e32 v22, 3, v20
	v_cmp_gt_u32_e32 vcc, 8, v20
	v_subrev_u32_e32 v20, 28, v6
	v_sub_u32_e32 v6, 29, v6
	v_cndmask_b32_e32 v20, 0, v20, vcc
	v_cndmask_b32_e32 v6, v22, v6, vcc
	v_lshlrev_b64 v[22:23], v20, v[26:27]
	v_bfrev_b32_e32 v23, 60
	v_lshlrev_b32_e32 v20, 20, v22
	v_lshlrev_b32_e32 v22, 24, v26
	v_and_b32_e32 v20, 0x700000, v20
	v_and_b32_e32 v22, 0x80000000, v22
	v_lshl_add_u32 v6, v6, 23, v23
	v_or3_b32 v6, v22, v6, v20
.LBB6_4557:                             ;   in Loop: Header=BB6_3875 Depth=3
	s_or_b64 exec, exec, s[34:35]
.LBB6_4558:                             ;   in Loop: Header=BB6_3875 Depth=3
	s_or_b64 exec, exec, s[30:31]
.LBB6_4559:                             ;   in Loop: Header=BB6_3875 Depth=3
	s_or_b64 exec, exec, s[28:29]
	v_mul_f32_e32 v6, v7, v6
	v_and_b32_e32 v20, 0x7f800000, v6
	v_cmp_ne_u64_e32 vcc, s[62:63], v[20:21]
                                        ; implicit-def: $vgpr7
                                        ; kill: killed $vgpr7
	s_and_saveexec_b64 s[28:29], vcc
	s_xor_b64 s[30:31], exec, s[28:29]
	s_cbranch_execz .LBB6_4573
; %bb.4560:                             ;   in Loop: Header=BB6_3875 Depth=3
	v_and_b32_e32 v20, 0x7fffffff, v6
	v_cmp_gt_u64_e32 vcc, s[78:79], v[20:21]
	v_and_b32_sdwa v28, v6, s80 dst_sel:DWORD dst_unused:UNUSED_PAD src0_sel:BYTE_3 src1_sel:DWORD
                                        ; implicit-def: $vgpr7
                                        ; kill: killed $vgpr7
	s_and_saveexec_b64 s[28:29], vcc
	s_xor_b64 s[34:35], exec, s[28:29]
	s_cbranch_execz .LBB6_4570
; %bb.4561:                             ;   in Loop: Header=BB6_3875 Depth=3
	v_mov_b32_e32 v7, 0
	v_cmp_ne_u32_e32 vcc, 0, v6
	buffer_store_dword v7, off, s[0:3], s33 offset:304 ; 4-byte Folded Spill
	s_and_saveexec_b64 s[36:37], vcc
	s_cbranch_execz .LBB6_4569
; %bb.4562:                             ;   in Loop: Header=BB6_3875 Depth=3
	v_bfe_u32 v25, v6, 23, 8
	v_and_b32_e32 v7, 0x7fffff, v6
	v_cmp_gt_u32_e64 s[28:29], s47, v25
	v_sub_u32_e32 v6, 0x79, v25
	v_cmp_eq_u32_e32 vcc, 0, v25
	v_cndmask_b32_e64 v6, 0, v6, s[28:29]
	v_mov_b32_e32 v22, 0x78
	v_cndmask_b32_e32 v30, v6, v22, vcc
	v_or_b32_e32 v20, 0x800000, v7
	v_add_u32_e32 v6, 20, v30
	v_cndmask_b32_e32 v20, v20, v7, vcc
	v_lshlrev_b64 v[6:7], v6, -1
	v_add_u32_e32 v22, 19, v30
	v_lshlrev_b64 v[22:23], v22, 1
	v_bfi_b32 v7, v7, 0, 0
	v_bfi_b32 v6, v6, 0, v20
	v_cmp_eq_u64_e64 s[28:29], v[6:7], v[22:23]
	v_lshrrev_b64 v[6:7], v30, v[20:21]
	v_mov_b32_e32 v23, v7
	v_mov_b32_e32 v22, v6
	s_and_saveexec_b64 s[38:39], s[28:29]
; %bb.4563:                             ;   in Loop: Header=BB6_3875 Depth=3
	v_bfe_u32 v7, v6, 20, 1
	v_add_co_u32_e64 v7, s[28:29], v6, v7
	v_add_co_u32_e64 v22, s[28:29], -1, v7
; %bb.4564:                             ;   in Loop: Header=BB6_3875 Depth=3
	s_or_b64 exec, exec, s[38:39]
	v_add_u32_e32 v7, 0xffffff81, v25
	v_mov_b32_e32 v20, 0xffffff82
	v_cndmask_b32_e32 v7, v7, v20, vcc
	v_lshrrev_b32_e32 v20, 23, v6
	v_add3_u32 v25, v30, v7, v20
	v_add_u32_e32 v23, 6, v25
	v_and_b32_e32 v7, 0xfffff, v22
	v_add_u32_e32 v20, v7, v6
	v_cmp_ne_u32_e32 vcc, 0, v23
                                        ; implicit-def: $vgpr6_vgpr7
                                        ; implicit-def: $vgpr22
	s_and_saveexec_b64 s[28:29], vcc
	s_xor_b64 s[28:29], exec, s[28:29]
; %bb.4565:                             ;   in Loop: Header=BB6_3875 Depth=3
	v_cmp_lt_u64_e32 vcc, s[88:89], v[20:21]
	v_add_u32_e32 v6, 7, v25
	v_cndmask_b32_e32 v22, v23, v6, vcc
	v_cndmask_b32_e64 v6, 0, 1, vcc
	v_lshrrev_b64 v[6:7], v6, v[20:21]
; %bb.4566:                             ;   in Loop: Header=BB6_3875 Depth=3
	s_andn2_saveexec_b64 s[28:29], s[28:29]
; %bb.4567:                             ;   in Loop: Header=BB6_3875 Depth=3
	v_mov_b32_e32 v6, v20
	v_bfe_u32 v22, v20, 23, 1
	v_mov_b32_e32 v7, v21
; %bb.4568:                             ;   in Loop: Header=BB6_3875 Depth=3
	s_or_b64 exec, exec, s[28:29]
	v_lshrrev_b64 v[6:7], 20, v[6:7]
	v_cmp_gt_i32_e32 vcc, 16, v22
	v_cndmask_b32_e32 v7, 0, v7, vcc
	v_cndmask_b32_e32 v6, 7, v6, vcc
	v_cmp_eq_u64_e64 s[28:29], 0, v[6:7]
	v_min_i32_e32 v7, 15, v22
	v_lshlrev_b32_e32 v7, 3, v7
	v_cmp_eq_u32_e32 vcc, 0, v22
	v_and_b32_e32 v7, 0xf8, v7
	v_and_or_b32 v6, v6, 7, v7
	s_and_b64 s[28:29], vcc, s[28:29]
	v_cndmask_b32_e64 v6, v6, 0, s[28:29]
	v_or_b32_e32 v6, v6, v28
	buffer_store_dword v6, off, s[0:3], s33 offset:304 ; 4-byte Folded Spill
.LBB6_4569:                             ;   in Loop: Header=BB6_3875 Depth=3
	s_or_b64 exec, exec, s[36:37]
                                        ; implicit-def: $vgpr28
.LBB6_4570:                             ;   in Loop: Header=BB6_3875 Depth=3
	s_andn2_saveexec_b64 s[28:29], s[34:35]
	s_cbranch_execz .LBB6_4572
; %bb.4571:                             ;   in Loop: Header=BB6_3875 Depth=3
	v_or_b32_e32 v6, 0x7e, v28
	buffer_store_dword v6, off, s[0:3], s33 offset:304 ; 4-byte Folded Spill
.LBB6_4572:                             ;   in Loop: Header=BB6_3875 Depth=3
	s_or_b64 exec, exec, s[28:29]
                                        ; implicit-def: $vgpr6
.LBB6_4573:                             ;   in Loop: Header=BB6_3875 Depth=3
	s_andn2_saveexec_b64 s[28:29], s[30:31]
	s_cbranch_execz .LBB6_4575
; %bb.4574:                             ;   in Loop: Header=BB6_3875 Depth=3
	v_or_b32_sdwa v6, v6, s81 dst_sel:DWORD dst_unused:UNUSED_PAD src0_sel:BYTE_3 src1_sel:DWORD
	buffer_store_dword v6, off, s[0:3], s33 offset:304 ; 4-byte Folded Spill
.LBB6_4575:                             ;   in Loop: Header=BB6_3875 Depth=3
	s_or_b64 exec, exec, s[28:29]
	v_lshrrev_b16_e32 v6, 8, v34
	v_cmp_ne_u16_e32 vcc, 0, v6
	v_mov_b32_e32 v7, 0
	v_mov_b32_e32 v20, 0
	s_and_saveexec_b64 s[28:29], vcc
	s_cbranch_execz .LBB6_4581
; %bb.4576:                             ;   in Loop: Header=BB6_3875 Depth=3
	v_cmp_ne_u16_e32 vcc, s80, v6
	v_bfrev_b32_e32 v20, 1
	s_and_saveexec_b64 s[30:31], vcc
	s_cbranch_execz .LBB6_4580
; %bb.4577:                             ;   in Loop: Header=BB6_3875 Depth=3
	v_and_b32_e32 v22, 0x7f, v6
	v_cmp_ne_u32_e32 vcc, s81, v22
	v_mov_b32_e32 v20, 0x7f800001
	s_and_saveexec_b64 s[34:35], vcc
	s_cbranch_execz .LBB6_4579
; %bb.4578:                             ;   in Loop: Header=BB6_3875 Depth=3
	v_and_b32_e32 v20, 7, v6
	v_lshrrev_b32_e32 v24, 3, v22
	v_cmp_gt_u32_e32 vcc, 8, v22
	v_ffbh_u32_e32 v22, v20
	v_min_u32_e32 v25, 32, v22
	v_subrev_u32_e32 v22, 28, v25
	v_lshlrev_b64 v[22:23], v22, v[6:7]
	v_sub_u32_e32 v6, 29, v25
	v_and_b32_e32 v22, 7, v22
	v_cndmask_b32_e32 v6, v24, v6, vcc
	v_cndmask_b32_e32 v20, v20, v22, vcc
	v_lshlrev_b32_e32 v22, 16, v34
	v_bfrev_b32_e32 v23, 60
	v_lshlrev_b32_e32 v20, 20, v20
	v_and_b32_e32 v22, 0x80000000, v22
	v_lshl_add_u32 v6, v6, 23, v23
	v_or3_b32 v20, v22, v6, v20
.LBB6_4579:                             ;   in Loop: Header=BB6_3875 Depth=3
	s_or_b64 exec, exec, s[34:35]
.LBB6_4580:                             ;   in Loop: Header=BB6_3875 Depth=3
	s_or_b64 exec, exec, s[30:31]
.LBB6_4581:                             ;   in Loop: Header=BB6_3875 Depth=3
	s_or_b64 exec, exec, s[28:29]
	v_lshrrev_b16_e32 v6, 8, v26
	v_cmp_ne_u16_e32 vcc, 0, v6
	s_and_saveexec_b64 s[28:29], vcc
	s_cbranch_execz .LBB6_4587
; %bb.4582:                             ;   in Loop: Header=BB6_3875 Depth=3
	v_cmp_ne_u16_e32 vcc, s80, v6
	v_bfrev_b32_e32 v7, 1
	s_and_saveexec_b64 s[30:31], vcc
	s_cbranch_execz .LBB6_4586
; %bb.4583:                             ;   in Loop: Header=BB6_3875 Depth=3
	v_and_b32_e32 v22, 0x7f, v6
	v_cmp_ne_u32_e32 vcc, s81, v22
	v_mov_b32_e32 v7, 0x7f800001
	s_and_saveexec_b64 s[34:35], vcc
	s_cbranch_execz .LBB6_4585
; %bb.4584:                             ;   in Loop: Header=BB6_3875 Depth=3
	v_and_b32_e32 v23, 7, v6
	v_ffbh_u32_e32 v7, v23
	v_lshrrev_b32_e32 v24, 3, v22
	v_cmp_gt_u32_e32 vcc, 8, v22
	v_min_u32_e32 v22, 32, v7
	v_subrev_u32_e32 v7, 28, v22
	v_lshlrev_b64 v[6:7], v7, v[6:7]
	v_sub_u32_e32 v7, 29, v22
	v_and_b32_e32 v6, 7, v6
	v_cndmask_b32_e32 v7, v24, v7, vcc
	v_cndmask_b32_e32 v6, v23, v6, vcc
	v_lshlrev_b32_e32 v22, 16, v26
	v_bfrev_b32_e32 v23, 60
	v_lshlrev_b32_e32 v6, 20, v6
	v_and_b32_e32 v22, 0x80000000, v22
	v_lshl_add_u32 v7, v7, 23, v23
	v_or3_b32 v7, v22, v7, v6
.LBB6_4585:                             ;   in Loop: Header=BB6_3875 Depth=3
	s_or_b64 exec, exec, s[34:35]
.LBB6_4586:                             ;   in Loop: Header=BB6_3875 Depth=3
	s_or_b64 exec, exec, s[30:31]
.LBB6_4587:                             ;   in Loop: Header=BB6_3875 Depth=3
	s_or_b64 exec, exec, s[28:29]
	v_mul_f32_e32 v6, v20, v7
	v_and_b32_e32 v20, 0x7f800000, v6
	v_cmp_ne_u64_e32 vcc, s[62:63], v[20:21]
                                        ; implicit-def: $vgpr7
                                        ; kill: killed $vgpr7
	s_and_saveexec_b64 s[28:29], vcc
	s_xor_b64 s[30:31], exec, s[28:29]
	s_cbranch_execz .LBB6_4601
; %bb.4588:                             ;   in Loop: Header=BB6_3875 Depth=3
	v_and_b32_e32 v20, 0x7fffffff, v6
	v_cmp_gt_u64_e32 vcc, s[78:79], v[20:21]
	v_and_b32_sdwa v28, v6, s80 dst_sel:DWORD dst_unused:UNUSED_PAD src0_sel:BYTE_3 src1_sel:DWORD
                                        ; implicit-def: $vgpr7
                                        ; kill: killed $vgpr7
	s_and_saveexec_b64 s[28:29], vcc
	s_xor_b64 s[34:35], exec, s[28:29]
	s_cbranch_execz .LBB6_4598
; %bb.4589:                             ;   in Loop: Header=BB6_3875 Depth=3
	v_mov_b32_e32 v7, 0
	v_cmp_ne_u32_e32 vcc, 0, v6
	buffer_store_dword v7, off, s[0:3], s33 offset:308 ; 4-byte Folded Spill
	s_and_saveexec_b64 s[36:37], vcc
	s_cbranch_execz .LBB6_4597
; %bb.4590:                             ;   in Loop: Header=BB6_3875 Depth=3
	v_bfe_u32 v30, v6, 23, 8
	v_and_b32_e32 v7, 0x7fffff, v6
	v_cmp_gt_u32_e64 s[28:29], s47, v30
	v_sub_u32_e32 v6, 0x79, v30
	v_cmp_eq_u32_e32 vcc, 0, v30
	v_cndmask_b32_e64 v6, 0, v6, s[28:29]
	v_mov_b32_e32 v22, 0x78
	v_cndmask_b32_e32 v32, v6, v22, vcc
	v_or_b32_e32 v20, 0x800000, v7
	v_add_u32_e32 v6, 20, v32
	v_cndmask_b32_e32 v20, v20, v7, vcc
	v_lshlrev_b64 v[6:7], v6, -1
	v_add_u32_e32 v22, 19, v32
	v_lshlrev_b64 v[22:23], v22, 1
	v_bfi_b32 v7, v7, 0, 0
	v_bfi_b32 v6, v6, 0, v20
	v_cmp_eq_u64_e64 s[28:29], v[6:7], v[22:23]
	v_lshrrev_b64 v[6:7], v32, v[20:21]
	v_mov_b32_e32 v23, v7
	v_mov_b32_e32 v22, v6
	s_and_saveexec_b64 s[38:39], s[28:29]
; %bb.4591:                             ;   in Loop: Header=BB6_3875 Depth=3
	v_bfe_u32 v7, v6, 20, 1
	v_add_co_u32_e64 v7, s[28:29], v6, v7
	v_add_co_u32_e64 v22, s[28:29], -1, v7
; %bb.4592:                             ;   in Loop: Header=BB6_3875 Depth=3
	s_or_b64 exec, exec, s[38:39]
	v_add_u32_e32 v7, 0xffffff81, v30
	v_mov_b32_e32 v20, 0xffffff82
	v_cndmask_b32_e32 v7, v7, v20, vcc
	v_lshrrev_b32_e32 v20, 23, v6
	v_add3_u32 v29, v32, v7, v20
	v_add_u32_e32 v23, 6, v29
	v_and_b32_e32 v7, 0xfffff, v22
	v_add_u32_e32 v20, v7, v6
	v_cmp_ne_u32_e32 vcc, 0, v23
                                        ; implicit-def: $vgpr6_vgpr7
                                        ; implicit-def: $vgpr22
	s_and_saveexec_b64 s[28:29], vcc
	s_xor_b64 s[28:29], exec, s[28:29]
; %bb.4593:                             ;   in Loop: Header=BB6_3875 Depth=3
	v_cmp_lt_u64_e32 vcc, s[88:89], v[20:21]
	v_add_u32_e32 v6, 7, v29
	v_cndmask_b32_e32 v22, v23, v6, vcc
	v_cndmask_b32_e64 v6, 0, 1, vcc
	v_lshrrev_b64 v[6:7], v6, v[20:21]
; %bb.4594:                             ;   in Loop: Header=BB6_3875 Depth=3
	s_andn2_saveexec_b64 s[28:29], s[28:29]
; %bb.4595:                             ;   in Loop: Header=BB6_3875 Depth=3
	v_mov_b32_e32 v6, v20
	v_bfe_u32 v22, v20, 23, 1
	v_mov_b32_e32 v7, v21
; %bb.4596:                             ;   in Loop: Header=BB6_3875 Depth=3
	s_or_b64 exec, exec, s[28:29]
	v_lshrrev_b64 v[6:7], 20, v[6:7]
	v_cmp_gt_i32_e32 vcc, 16, v22
	v_cndmask_b32_e32 v7, 0, v7, vcc
	v_cndmask_b32_e32 v6, 7, v6, vcc
	v_cmp_eq_u64_e64 s[28:29], 0, v[6:7]
	v_min_i32_e32 v7, 15, v22
	v_lshlrev_b32_e32 v7, 3, v7
	v_cmp_eq_u32_e32 vcc, 0, v22
	v_and_b32_e32 v7, 0xf8, v7
	v_and_or_b32 v6, v6, 7, v7
	s_and_b64 s[28:29], vcc, s[28:29]
	v_cndmask_b32_e64 v6, v6, 0, s[28:29]
	v_or_b32_e32 v6, v6, v28
	buffer_store_dword v6, off, s[0:3], s33 offset:308 ; 4-byte Folded Spill
.LBB6_4597:                             ;   in Loop: Header=BB6_3875 Depth=3
	s_or_b64 exec, exec, s[36:37]
                                        ; implicit-def: $vgpr28
.LBB6_4598:                             ;   in Loop: Header=BB6_3875 Depth=3
	s_andn2_saveexec_b64 s[28:29], s[34:35]
	s_cbranch_execz .LBB6_4600
; %bb.4599:                             ;   in Loop: Header=BB6_3875 Depth=3
	v_or_b32_e32 v6, 0x7e, v28
	buffer_store_dword v6, off, s[0:3], s33 offset:308 ; 4-byte Folded Spill
.LBB6_4600:                             ;   in Loop: Header=BB6_3875 Depth=3
	s_or_b64 exec, exec, s[28:29]
                                        ; implicit-def: $vgpr6
.LBB6_4601:                             ;   in Loop: Header=BB6_3875 Depth=3
	s_andn2_saveexec_b64 s[28:29], s[30:31]
	s_cbranch_execz .LBB6_4603
; %bb.4602:                             ;   in Loop: Header=BB6_3875 Depth=3
	v_or_b32_sdwa v6, v6, s81 dst_sel:DWORD dst_unused:UNUSED_PAD src0_sel:BYTE_3 src1_sel:DWORD
	buffer_store_dword v6, off, s[0:3], s33 offset:308 ; 4-byte Folded Spill
.LBB6_4603:                             ;   in Loop: Header=BB6_3875 Depth=3
	s_or_b64 exec, exec, s[28:29]
	v_lshrrev_b32_e32 v6, 16, v34
	v_cmp_ne_u16_sdwa vcc, v6, v21 src0_sel:BYTE_0 src1_sel:DWORD
	v_mov_b32_e32 v7, 0
	v_mov_b32_e32 v20, 0
	s_and_saveexec_b64 s[28:29], vcc
	s_cbranch_execz .LBB6_4609
; %bb.4604:                             ;   in Loop: Header=BB6_3875 Depth=3
	v_cmp_ne_u16_sdwa vcc, v6, s80 src0_sel:BYTE_0 src1_sel:DWORD
	v_bfrev_b32_e32 v20, 1
	s_and_saveexec_b64 s[30:31], vcc
	s_cbranch_execz .LBB6_4608
; %bb.4605:                             ;   in Loop: Header=BB6_3875 Depth=3
	v_bfe_u32 v22, v34, 16, 7
	v_cmp_ne_u32_e32 vcc, s81, v22
	v_mov_b32_e32 v20, 0x7f800001
	s_and_saveexec_b64 s[34:35], vcc
	s_cbranch_execz .LBB6_4607
; %bb.4606:                             ;   in Loop: Header=BB6_3875 Depth=3
	v_and_b32_e32 v20, 7, v6
	v_lshrrev_b32_e32 v24, 3, v22
	v_cmp_gt_u32_e32 vcc, 8, v22
	v_ffbh_u32_e32 v22, v20
	v_min_u32_e32 v25, 32, v22
	v_subrev_u32_e32 v22, 28, v25
	v_lshlrev_b64 v[22:23], v22, v[6:7]
	v_sub_u32_e32 v23, 29, v25
	v_and_b32_e32 v22, 7, v22
	v_cndmask_b32_e32 v23, v24, v23, vcc
	v_cndmask_b32_e32 v20, v20, v22, vcc
	v_lshlrev_b32_e32 v6, 24, v6
	v_bfrev_b32_e32 v22, 60
	v_lshlrev_b32_e32 v20, 20, v20
	v_and_b32_e32 v6, 0x80000000, v6
	v_lshl_add_u32 v22, v23, 23, v22
	v_or3_b32 v20, v6, v22, v20
.LBB6_4607:                             ;   in Loop: Header=BB6_3875 Depth=3
	s_or_b64 exec, exec, s[34:35]
.LBB6_4608:                             ;   in Loop: Header=BB6_3875 Depth=3
	s_or_b64 exec, exec, s[30:31]
.LBB6_4609:                             ;   in Loop: Header=BB6_3875 Depth=3
	s_or_b64 exec, exec, s[28:29]
	v_lshrrev_b32_e32 v6, 16, v26
	v_cmp_ne_u16_sdwa vcc, v6, v21 src0_sel:BYTE_0 src1_sel:DWORD
	s_and_saveexec_b64 s[28:29], vcc
	s_cbranch_execz .LBB6_4615
; %bb.4610:                             ;   in Loop: Header=BB6_3875 Depth=3
	v_cmp_ne_u16_sdwa vcc, v6, s80 src0_sel:BYTE_0 src1_sel:DWORD
	v_bfrev_b32_e32 v7, 1
	s_and_saveexec_b64 s[30:31], vcc
	s_cbranch_execz .LBB6_4614
; %bb.4611:                             ;   in Loop: Header=BB6_3875 Depth=3
	v_bfe_u32 v22, v26, 16, 7
	v_cmp_ne_u32_e32 vcc, s81, v22
	v_mov_b32_e32 v7, 0x7f800001
	s_and_saveexec_b64 s[34:35], vcc
	s_cbranch_execz .LBB6_4613
; %bb.4612:                             ;   in Loop: Header=BB6_3875 Depth=3
	v_and_b32_e32 v23, 7, v6
	v_ffbh_u32_e32 v7, v23
	v_lshrrev_b32_e32 v24, 3, v22
	v_cmp_gt_u32_e32 vcc, 8, v22
	v_min_u32_e32 v22, 32, v7
	v_subrev_u32_e32 v7, 28, v22
	v_lshlrev_b64 v[6:7], v7, v[6:7]
	v_sub_u32_e32 v7, 29, v22
	v_and_b32_e32 v6, 7, v6
	v_cndmask_b32_e32 v7, v24, v7, vcc
	v_cndmask_b32_e32 v6, v23, v6, vcc
	v_lshlrev_b32_e32 v22, 8, v26
	v_bfrev_b32_e32 v23, 60
	v_lshlrev_b32_e32 v6, 20, v6
	v_and_b32_e32 v22, 0x80000000, v22
	v_lshl_add_u32 v7, v7, 23, v23
	v_or3_b32 v7, v22, v7, v6
.LBB6_4613:                             ;   in Loop: Header=BB6_3875 Depth=3
	s_or_b64 exec, exec, s[34:35]
.LBB6_4614:                             ;   in Loop: Header=BB6_3875 Depth=3
	s_or_b64 exec, exec, s[30:31]
.LBB6_4615:                             ;   in Loop: Header=BB6_3875 Depth=3
	s_or_b64 exec, exec, s[28:29]
	v_mul_f32_e32 v6, v20, v7
	v_and_b32_e32 v20, 0x7f800000, v6
	v_cmp_ne_u64_e32 vcc, s[62:63], v[20:21]
                                        ; implicit-def: $vgpr33
	s_and_saveexec_b64 s[28:29], vcc
	s_xor_b64 s[30:31], exec, s[28:29]
	s_cbranch_execz .LBB6_4629
; %bb.4616:                             ;   in Loop: Header=BB6_3875 Depth=3
	v_and_b32_e32 v20, 0x7fffffff, v6
	v_cmp_gt_u64_e32 vcc, s[78:79], v[20:21]
	v_and_b32_sdwa v28, v6, s80 dst_sel:DWORD dst_unused:UNUSED_PAD src0_sel:BYTE_3 src1_sel:DWORD
                                        ; implicit-def: $vgpr33
	s_and_saveexec_b64 s[28:29], vcc
	s_xor_b64 s[34:35], exec, s[28:29]
	s_cbranch_execz .LBB6_4626
; %bb.4617:                             ;   in Loop: Header=BB6_3875 Depth=3
	v_mov_b32_e32 v33, 0
	v_cmp_ne_u32_e32 vcc, 0, v6
	s_and_saveexec_b64 s[36:37], vcc
	s_cbranch_execz .LBB6_4625
; %bb.4618:                             ;   in Loop: Header=BB6_3875 Depth=3
	v_bfe_u32 v30, v6, 23, 8
	v_and_b32_e32 v7, 0x7fffff, v6
	v_cmp_gt_u32_e64 s[28:29], s47, v30
	v_sub_u32_e32 v6, 0x79, v30
	v_cmp_eq_u32_e32 vcc, 0, v30
	v_cndmask_b32_e64 v6, 0, v6, s[28:29]
	v_mov_b32_e32 v22, 0x78
	v_cndmask_b32_e32 v33, v6, v22, vcc
	v_or_b32_e32 v20, 0x800000, v7
	v_add_u32_e32 v6, 20, v33
	v_cndmask_b32_e32 v20, v20, v7, vcc
	v_lshlrev_b64 v[6:7], v6, -1
	v_add_u32_e32 v22, 19, v33
	v_lshlrev_b64 v[22:23], v22, 1
	v_bfi_b32 v7, v7, 0, 0
	v_bfi_b32 v6, v6, 0, v20
	v_cmp_eq_u64_e64 s[28:29], v[6:7], v[22:23]
	v_lshrrev_b64 v[6:7], v33, v[20:21]
	v_mov_b32_e32 v23, v7
	v_mov_b32_e32 v22, v6
	s_and_saveexec_b64 s[38:39], s[28:29]
; %bb.4619:                             ;   in Loop: Header=BB6_3875 Depth=3
	v_bfe_u32 v7, v6, 20, 1
	v_add_co_u32_e64 v7, s[28:29], v6, v7
	v_add_co_u32_e64 v22, s[28:29], -1, v7
; %bb.4620:                             ;   in Loop: Header=BB6_3875 Depth=3
	s_or_b64 exec, exec, s[38:39]
	v_add_u32_e32 v7, 0xffffff81, v30
	v_mov_b32_e32 v20, 0xffffff82
	v_cndmask_b32_e32 v7, v7, v20, vcc
	v_lshrrev_b32_e32 v20, 23, v6
	v_add3_u32 v29, v33, v7, v20
	v_add_u32_e32 v23, 6, v29
	v_and_b32_e32 v7, 0xfffff, v22
	v_add_u32_e32 v20, v7, v6
	v_cmp_ne_u32_e32 vcc, 0, v23
                                        ; implicit-def: $vgpr6_vgpr7
                                        ; implicit-def: $vgpr22
	s_and_saveexec_b64 s[28:29], vcc
	s_xor_b64 s[28:29], exec, s[28:29]
; %bb.4621:                             ;   in Loop: Header=BB6_3875 Depth=3
	v_cmp_lt_u64_e32 vcc, s[88:89], v[20:21]
	v_add_u32_e32 v6, 7, v29
	v_cndmask_b32_e32 v22, v23, v6, vcc
	v_cndmask_b32_e64 v6, 0, 1, vcc
	v_lshrrev_b64 v[6:7], v6, v[20:21]
; %bb.4622:                             ;   in Loop: Header=BB6_3875 Depth=3
	s_andn2_saveexec_b64 s[28:29], s[28:29]
; %bb.4623:                             ;   in Loop: Header=BB6_3875 Depth=3
	v_mov_b32_e32 v6, v20
	v_bfe_u32 v22, v20, 23, 1
	v_mov_b32_e32 v7, v21
; %bb.4624:                             ;   in Loop: Header=BB6_3875 Depth=3
	s_or_b64 exec, exec, s[28:29]
	v_lshrrev_b64 v[6:7], 20, v[6:7]
	v_cmp_gt_i32_e32 vcc, 16, v22
	v_cndmask_b32_e32 v7, 0, v7, vcc
	v_cndmask_b32_e32 v6, 7, v6, vcc
	v_cmp_eq_u64_e64 s[28:29], 0, v[6:7]
	v_min_i32_e32 v7, 15, v22
	v_lshlrev_b32_e32 v7, 3, v7
	v_cmp_eq_u32_e32 vcc, 0, v22
	v_and_b32_e32 v7, 0xf8, v7
	v_and_or_b32 v6, v6, 7, v7
	s_and_b64 s[28:29], vcc, s[28:29]
	v_cndmask_b32_e64 v6, v6, 0, s[28:29]
	v_or_b32_e32 v33, v6, v28
.LBB6_4625:                             ;   in Loop: Header=BB6_3875 Depth=3
	s_or_b64 exec, exec, s[36:37]
                                        ; implicit-def: $vgpr28
.LBB6_4626:                             ;   in Loop: Header=BB6_3875 Depth=3
	s_andn2_saveexec_b64 s[28:29], s[34:35]
; %bb.4627:                             ;   in Loop: Header=BB6_3875 Depth=3
	v_or_b32_e32 v33, 0x7e, v28
; %bb.4628:                             ;   in Loop: Header=BB6_3875 Depth=3
	s_or_b64 exec, exec, s[28:29]
                                        ; implicit-def: $vgpr6
.LBB6_4629:                             ;   in Loop: Header=BB6_3875 Depth=3
	s_andn2_saveexec_b64 s[28:29], s[30:31]
; %bb.4630:                             ;   in Loop: Header=BB6_3875 Depth=3
	v_or_b32_sdwa v33, v6, s81 dst_sel:DWORD dst_unused:UNUSED_PAD src0_sel:BYTE_3 src1_sel:DWORD
; %bb.4631:                             ;   in Loop: Header=BB6_3875 Depth=3
	s_or_b64 exec, exec, s[28:29]
	v_cmp_lt_u32_e32 vcc, s57, v34
	v_mov_b32_e32 v7, 0
	v_mov_b32_e32 v20, 0
	s_and_saveexec_b64 s[28:29], vcc
	s_cbranch_execz .LBB6_4637
; %bb.4632:                             ;   in Loop: Header=BB6_3875 Depth=3
	v_lshrrev_b32_e32 v6, 24, v34
	v_cmp_ne_u32_e32 vcc, s80, v6
	v_bfrev_b32_e32 v20, 1
	s_and_saveexec_b64 s[30:31], vcc
	s_cbranch_execz .LBB6_4636
; %bb.4633:                             ;   in Loop: Header=BB6_3875 Depth=3
	v_bfe_u32 v22, v34, 24, 7
	v_cmp_ne_u32_e32 vcc, s81, v22
	v_mov_b32_e32 v20, 0x7f800001
	s_and_saveexec_b64 s[34:35], vcc
	s_cbranch_execz .LBB6_4635
; %bb.4634:                             ;   in Loop: Header=BB6_3875 Depth=3
	v_and_b32_e32 v20, 7, v6
	v_lshrrev_b32_e32 v24, 3, v22
	v_cmp_gt_u32_e32 vcc, 8, v22
	v_ffbh_u32_e32 v22, v20
	v_min_u32_e32 v25, 32, v22
	v_subrev_u32_e32 v22, 28, v25
	v_lshlrev_b64 v[22:23], v22, v[6:7]
	v_sub_u32_e32 v23, 29, v25
	v_and_b32_e32 v22, 7, v22
	v_cndmask_b32_e32 v23, v24, v23, vcc
	v_cndmask_b32_e32 v20, v20, v22, vcc
	v_lshlrev_b32_e32 v6, 24, v6
	v_bfrev_b32_e32 v22, 60
	v_lshlrev_b32_e32 v20, 20, v20
	v_and_b32_e32 v6, 0x80000000, v6
	v_lshl_add_u32 v22, v23, 23, v22
	v_or3_b32 v20, v6, v22, v20
.LBB6_4635:                             ;   in Loop: Header=BB6_3875 Depth=3
	s_or_b64 exec, exec, s[34:35]
.LBB6_4636:                             ;   in Loop: Header=BB6_3875 Depth=3
	s_or_b64 exec, exec, s[30:31]
.LBB6_4637:                             ;   in Loop: Header=BB6_3875 Depth=3
	s_or_b64 exec, exec, s[28:29]
	v_cmp_lt_u32_e32 vcc, s57, v26
	s_and_saveexec_b64 s[28:29], vcc
	s_cbranch_execz .LBB6_4643
; %bb.4638:                             ;   in Loop: Header=BB6_3875 Depth=3
	v_lshrrev_b32_e32 v6, 24, v26
	v_cmp_ne_u32_e32 vcc, s80, v6
	v_bfrev_b32_e32 v7, 1
	s_and_saveexec_b64 s[30:31], vcc
	s_cbranch_execz .LBB6_4642
; %bb.4639:                             ;   in Loop: Header=BB6_3875 Depth=3
	v_bfe_u32 v22, v26, 24, 7
	v_cmp_ne_u32_e32 vcc, s81, v22
	v_mov_b32_e32 v7, 0x7f800001
	s_and_saveexec_b64 s[34:35], vcc
	s_cbranch_execz .LBB6_4641
; %bb.4640:                             ;   in Loop: Header=BB6_3875 Depth=3
	v_and_b32_e32 v7, 7, v6
	v_lshrrev_b32_e32 v24, 3, v22
	v_cmp_gt_u32_e32 vcc, 8, v22
	v_ffbh_u32_e32 v22, v7
	v_min_u32_e32 v25, 32, v22
	v_subrev_u32_e32 v22, 28, v25
	v_lshlrev_b64 v[22:23], v22, v[6:7]
	v_sub_u32_e32 v23, 29, v25
	v_and_b32_e32 v22, 7, v22
	v_cndmask_b32_e32 v23, v24, v23, vcc
	v_cndmask_b32_e32 v7, v7, v22, vcc
	v_lshlrev_b32_e32 v6, 24, v6
	v_bfrev_b32_e32 v22, 60
	v_lshlrev_b32_e32 v7, 20, v7
	v_and_b32_e32 v6, 0x80000000, v6
	v_lshl_add_u32 v22, v23, 23, v22
	v_or3_b32 v7, v6, v22, v7
.LBB6_4641:                             ;   in Loop: Header=BB6_3875 Depth=3
	s_or_b64 exec, exec, s[34:35]
.LBB6_4642:                             ;   in Loop: Header=BB6_3875 Depth=3
	s_or_b64 exec, exec, s[30:31]
.LBB6_4643:                             ;   in Loop: Header=BB6_3875 Depth=3
	s_or_b64 exec, exec, s[28:29]
	v_mul_f32_e32 v6, v20, v7
	v_and_b32_e32 v20, 0x7f800000, v6
	v_cmp_ne_u64_e32 vcc, s[62:63], v[20:21]
                                        ; implicit-def: $vgpr54
	s_and_saveexec_b64 s[28:29], vcc
	s_xor_b64 s[30:31], exec, s[28:29]
	s_cbranch_execz .LBB6_4657
; %bb.4644:                             ;   in Loop: Header=BB6_3875 Depth=3
	v_and_b32_e32 v20, 0x7fffffff, v6
	v_cmp_gt_u64_e32 vcc, s[78:79], v[20:21]
	v_and_b32_sdwa v28, v6, s80 dst_sel:DWORD dst_unused:UNUSED_PAD src0_sel:BYTE_3 src1_sel:DWORD
                                        ; implicit-def: $vgpr54
	s_and_saveexec_b64 s[28:29], vcc
	s_xor_b64 s[34:35], exec, s[28:29]
	s_cbranch_execz .LBB6_4654
; %bb.4645:                             ;   in Loop: Header=BB6_3875 Depth=3
	v_mov_b32_e32 v54, 0
	v_cmp_ne_u32_e32 vcc, 0, v6
	s_and_saveexec_b64 s[36:37], vcc
	s_cbranch_execz .LBB6_4653
; %bb.4646:                             ;   in Loop: Header=BB6_3875 Depth=3
	v_bfe_u32 v30, v6, 23, 8
	v_and_b32_e32 v7, 0x7fffff, v6
	v_cmp_gt_u32_e64 s[28:29], s47, v30
	v_sub_u32_e32 v6, 0x79, v30
	v_cmp_eq_u32_e32 vcc, 0, v30
	v_cndmask_b32_e64 v6, 0, v6, s[28:29]
	v_mov_b32_e32 v22, 0x78
	v_cndmask_b32_e32 v36, v6, v22, vcc
	v_or_b32_e32 v20, 0x800000, v7
	v_add_u32_e32 v6, 20, v36
	v_cndmask_b32_e32 v20, v20, v7, vcc
	v_lshlrev_b64 v[6:7], v6, -1
	v_add_u32_e32 v22, 19, v36
	v_lshlrev_b64 v[22:23], v22, 1
	v_bfi_b32 v7, v7, 0, 0
	v_bfi_b32 v6, v6, 0, v20
	v_cmp_eq_u64_e64 s[28:29], v[6:7], v[22:23]
	v_lshrrev_b64 v[6:7], v36, v[20:21]
	v_mov_b32_e32 v23, v7
	v_mov_b32_e32 v22, v6
	s_and_saveexec_b64 s[38:39], s[28:29]
; %bb.4647:                             ;   in Loop: Header=BB6_3875 Depth=3
	v_bfe_u32 v7, v6, 20, 1
	v_add_co_u32_e64 v7, s[28:29], v6, v7
	v_add_co_u32_e64 v22, s[28:29], -1, v7
; %bb.4648:                             ;   in Loop: Header=BB6_3875 Depth=3
	s_or_b64 exec, exec, s[38:39]
	v_add_u32_e32 v7, 0xffffff81, v30
	v_mov_b32_e32 v20, 0xffffff82
	v_cndmask_b32_e32 v7, v7, v20, vcc
	v_lshrrev_b32_e32 v20, 23, v6
	v_add3_u32 v29, v36, v7, v20
	v_add_u32_e32 v23, 6, v29
	v_and_b32_e32 v7, 0xfffff, v22
	v_add_u32_e32 v20, v7, v6
	v_cmp_ne_u32_e32 vcc, 0, v23
                                        ; implicit-def: $vgpr6_vgpr7
                                        ; implicit-def: $vgpr22
	s_and_saveexec_b64 s[28:29], vcc
	s_xor_b64 s[28:29], exec, s[28:29]
; %bb.4649:                             ;   in Loop: Header=BB6_3875 Depth=3
	v_cmp_lt_u64_e32 vcc, s[88:89], v[20:21]
	v_add_u32_e32 v6, 7, v29
	v_cndmask_b32_e32 v22, v23, v6, vcc
	v_cndmask_b32_e64 v6, 0, 1, vcc
	v_lshrrev_b64 v[6:7], v6, v[20:21]
; %bb.4650:                             ;   in Loop: Header=BB6_3875 Depth=3
	s_andn2_saveexec_b64 s[28:29], s[28:29]
; %bb.4651:                             ;   in Loop: Header=BB6_3875 Depth=3
	v_mov_b32_e32 v6, v20
	v_bfe_u32 v22, v20, 23, 1
	v_mov_b32_e32 v7, v21
; %bb.4652:                             ;   in Loop: Header=BB6_3875 Depth=3
	s_or_b64 exec, exec, s[28:29]
	v_lshrrev_b64 v[6:7], 20, v[6:7]
	v_cmp_gt_i32_e32 vcc, 16, v22
	v_cndmask_b32_e32 v7, 0, v7, vcc
	v_cndmask_b32_e32 v6, 7, v6, vcc
	v_cmp_eq_u64_e64 s[28:29], 0, v[6:7]
	v_min_i32_e32 v7, 15, v22
	v_lshlrev_b32_e32 v7, 3, v7
	v_cmp_eq_u32_e32 vcc, 0, v22
	v_and_b32_e32 v7, 0xf8, v7
	v_and_or_b32 v6, v6, 7, v7
	s_and_b64 s[28:29], vcc, s[28:29]
	v_cndmask_b32_e64 v6, v6, 0, s[28:29]
	v_or_b32_e32 v54, v6, v28
.LBB6_4653:                             ;   in Loop: Header=BB6_3875 Depth=3
	s_or_b64 exec, exec, s[36:37]
                                        ; implicit-def: $vgpr28
.LBB6_4654:                             ;   in Loop: Header=BB6_3875 Depth=3
	s_andn2_saveexec_b64 s[28:29], s[34:35]
; %bb.4655:                             ;   in Loop: Header=BB6_3875 Depth=3
	v_or_b32_e32 v54, 0x7e, v28
; %bb.4656:                             ;   in Loop: Header=BB6_3875 Depth=3
	s_or_b64 exec, exec, s[28:29]
                                        ; implicit-def: $vgpr6
.LBB6_4657:                             ;   in Loop: Header=BB6_3875 Depth=3
	s_andn2_saveexec_b64 s[28:29], s[30:31]
; %bb.4658:                             ;   in Loop: Header=BB6_3875 Depth=3
	v_or_b32_sdwa v54, v6, s81 dst_sel:DWORD dst_unused:UNUSED_PAD src0_sel:BYTE_3 src1_sel:DWORD
; %bb.4659:                             ;   in Loop: Header=BB6_3875 Depth=3
	s_or_b64 exec, exec, s[28:29]
	v_mov_b32_e32 v20, v35
	v_cmp_ne_u16_sdwa vcc, v35, v21 src0_sel:BYTE_0 src1_sel:DWORD
	v_mov_b32_e32 v7, 0
	v_mov_b32_e32 v6, 0
	s_and_saveexec_b64 s[28:29], vcc
	s_cbranch_execz .LBB6_4665
; %bb.4660:                             ;   in Loop: Header=BB6_3875 Depth=3
	v_cmp_ne_u16_sdwa vcc, v35, s80 src0_sel:BYTE_0 src1_sel:DWORD
	v_bfrev_b32_e32 v6, 1
	s_and_saveexec_b64 s[30:31], vcc
	s_cbranch_execz .LBB6_4664
; %bb.4661:                             ;   in Loop: Header=BB6_3875 Depth=3
	v_and_b32_e32 v22, 0x7f, v35
	v_cmp_ne_u32_e32 vcc, s81, v22
	v_mov_b32_e32 v6, 0x7f800001
	s_and_saveexec_b64 s[34:35], vcc
	s_cbranch_execz .LBB6_4663
; %bb.4662:                             ;   in Loop: Header=BB6_3875 Depth=3
	v_and_b32_e32 v6, 7, v35
	v_ffbh_u32_e32 v6, v6
	v_min_u32_e32 v6, 32, v6
	v_lshrrev_b32_e32 v23, 3, v22
	v_cmp_gt_u32_e32 vcc, 8, v22
	v_subrev_u32_e32 v22, 28, v6
	v_sub_u32_e32 v6, 29, v6
	v_cndmask_b32_e32 v22, 0, v22, vcc
	v_cndmask_b32_e32 v6, v23, v6, vcc
	v_lshlrev_b64 v[22:23], v22, v[20:21]
	v_lshlrev_b32_e32 v23, 24, v20
	v_lshlrev_b32_e32 v22, 20, v22
	v_bfrev_b32_e32 v24, 60
	v_and_b32_e32 v22, 0x700000, v22
	v_and_b32_e32 v23, 0x80000000, v23
	v_lshl_add_u32 v6, v6, 23, v24
	v_or3_b32 v6, v23, v6, v22
.LBB6_4663:                             ;   in Loop: Header=BB6_3875 Depth=3
	s_or_b64 exec, exec, s[34:35]
.LBB6_4664:                             ;   in Loop: Header=BB6_3875 Depth=3
	s_or_b64 exec, exec, s[30:31]
.LBB6_4665:                             ;   in Loop: Header=BB6_3875 Depth=3
	s_or_b64 exec, exec, s[28:29]
	v_cmp_ne_u16_sdwa vcc, v27, v21 src0_sel:BYTE_0 src1_sel:DWORD
	s_and_saveexec_b64 s[28:29], vcc
	s_cbranch_execz .LBB6_4671
; %bb.4666:                             ;   in Loop: Header=BB6_3875 Depth=3
	v_cmp_ne_u16_sdwa vcc, v27, s80 src0_sel:BYTE_0 src1_sel:DWORD
	v_bfrev_b32_e32 v7, 1
	s_and_saveexec_b64 s[30:31], vcc
	s_cbranch_execz .LBB6_4670
; %bb.4667:                             ;   in Loop: Header=BB6_3875 Depth=3
	v_and_b32_e32 v22, 0x7f, v27
	v_cmp_ne_u32_e32 vcc, s81, v22
	v_mov_b32_e32 v7, 0x7f800001
	s_and_saveexec_b64 s[34:35], vcc
	s_cbranch_execz .LBB6_4669
; %bb.4668:                             ;   in Loop: Header=BB6_3875 Depth=3
	v_and_b32_e32 v7, 7, v27
	v_ffbh_u32_e32 v7, v7
	v_min_u32_e32 v7, 32, v7
	v_lshrrev_b32_e32 v23, 3, v22
	v_cmp_gt_u32_e32 vcc, 8, v22
	v_subrev_u32_e32 v22, 28, v7
	v_mov_b32_e32 v28, v27
	v_mov_b32_e32 v29, v21
	v_sub_u32_e32 v7, 29, v7
	v_cndmask_b32_e32 v22, 0, v22, vcc
	v_cndmask_b32_e32 v7, v23, v7, vcc
	v_lshlrev_b64 v[22:23], v22, v[28:29]
	v_lshlrev_b32_e32 v23, 24, v28
	v_lshlrev_b32_e32 v22, 20, v22
	v_bfrev_b32_e32 v24, 60
	v_and_b32_e32 v22, 0x700000, v22
	v_and_b32_e32 v23, 0x80000000, v23
	v_lshl_add_u32 v7, v7, 23, v24
	v_or3_b32 v7, v23, v7, v22
.LBB6_4669:                             ;   in Loop: Header=BB6_3875 Depth=3
	s_or_b64 exec, exec, s[34:35]
.LBB6_4670:                             ;   in Loop: Header=BB6_3875 Depth=3
	s_or_b64 exec, exec, s[30:31]
.LBB6_4671:                             ;   in Loop: Header=BB6_3875 Depth=3
	s_or_b64 exec, exec, s[28:29]
	v_mul_f32_e32 v6, v6, v7
	v_and_b32_e32 v22, 0x7f800000, v6
	v_mov_b32_e32 v23, v21
	v_cmp_ne_u64_e32 vcc, s[62:63], v[22:23]
                                        ; implicit-def: $vgpr48
	s_and_saveexec_b64 s[28:29], vcc
	s_xor_b64 s[30:31], exec, s[28:29]
	s_cbranch_execz .LBB6_4685
; %bb.4672:                             ;   in Loop: Header=BB6_3875 Depth=3
	v_and_b32_e32 v22, 0x7fffffff, v6
	v_mov_b32_e32 v23, v21
	v_cmp_gt_u64_e32 vcc, s[78:79], v[22:23]
	v_and_b32_sdwa v28, v6, s80 dst_sel:DWORD dst_unused:UNUSED_PAD src0_sel:BYTE_3 src1_sel:DWORD
                                        ; implicit-def: $vgpr48
	s_and_saveexec_b64 s[28:29], vcc
	s_xor_b64 s[34:35], exec, s[28:29]
	s_cbranch_execz .LBB6_4682
; %bb.4673:                             ;   in Loop: Header=BB6_3875 Depth=3
	v_mov_b32_e32 v48, 0
	v_cmp_ne_u32_e32 vcc, 0, v6
	s_and_saveexec_b64 s[36:37], vcc
	s_cbranch_execz .LBB6_4681
; %bb.4674:                             ;   in Loop: Header=BB6_3875 Depth=3
	v_bfe_u32 v30, v6, 23, 8
	v_and_b32_e32 v7, 0x7fffff, v6
	v_cmp_gt_u32_e64 s[28:29], s47, v30
	v_sub_u32_e32 v6, 0x79, v30
	v_cmp_eq_u32_e32 vcc, 0, v30
	v_cndmask_b32_e64 v6, 0, v6, s[28:29]
	v_mov_b32_e32 v23, 0x78
	v_or_b32_e32 v22, 0x800000, v7
	v_cndmask_b32_e32 v36, v6, v23, vcc
	v_cndmask_b32_e32 v6, v22, v7, vcc
	v_add_u32_e32 v22, 20, v36
	v_lshlrev_b64 v[22:23], v22, -1
	v_mov_b32_e32 v7, v21
	v_add_u32_e32 v24, 19, v36
	v_bfi_b32 v22, v22, 0, v6
	v_lshlrev_b64 v[37:38], v24, 1
	v_lshrrev_b64 v[6:7], v36, v[6:7]
	v_bfi_b32 v23, v23, 0, 0
	v_cmp_eq_u64_e64 s[28:29], v[22:23], v[37:38]
	v_mov_b32_e32 v23, v7
	v_mov_b32_e32 v22, v6
	s_and_saveexec_b64 s[38:39], s[28:29]
; %bb.4675:                             ;   in Loop: Header=BB6_3875 Depth=3
	v_bfe_u32 v7, v6, 20, 1
	v_add_co_u32_e64 v7, s[28:29], v6, v7
	v_add_co_u32_e64 v22, s[28:29], -1, v7
; %bb.4676:                             ;   in Loop: Header=BB6_3875 Depth=3
	s_or_b64 exec, exec, s[38:39]
	v_add_u32_e32 v7, 0xffffff81, v30
	v_mov_b32_e32 v23, 0xffffff82
	v_cndmask_b32_e32 v7, v7, v23, vcc
	v_lshrrev_b32_e32 v23, 23, v6
	v_add3_u32 v29, v36, v7, v23
	v_add_u32_e32 v23, 6, v29
	v_and_b32_e32 v7, 0xfffff, v22
	v_add_u32_e32 v6, v7, v6
	v_mov_b32_e32 v7, v21
	v_cmp_ne_u32_e32 vcc, 0, v23
                                        ; implicit-def: $vgpr22
	s_and_saveexec_b64 s[28:29], vcc
	s_xor_b64 s[28:29], exec, s[28:29]
; %bb.4677:                             ;   in Loop: Header=BB6_3875 Depth=3
	v_cmp_lt_u64_e32 vcc, s[88:89], v[6:7]
	v_add_u32_e32 v22, 7, v29
	v_cndmask_b32_e32 v22, v23, v22, vcc
	v_cndmask_b32_e64 v23, 0, 1, vcc
	v_lshrrev_b64 v[6:7], v23, v[6:7]
; %bb.4678:                             ;   in Loop: Header=BB6_3875 Depth=3
	s_andn2_saveexec_b64 s[28:29], s[28:29]
; %bb.4679:                             ;   in Loop: Header=BB6_3875 Depth=3
	v_bfe_u32 v22, v6, 23, 1
; %bb.4680:                             ;   in Loop: Header=BB6_3875 Depth=3
	s_or_b64 exec, exec, s[28:29]
	v_lshrrev_b64 v[6:7], 20, v[6:7]
	v_cmp_gt_i32_e32 vcc, 16, v22
	v_cndmask_b32_e32 v7, 0, v7, vcc
	v_cndmask_b32_e32 v6, 7, v6, vcc
	v_cmp_eq_u64_e64 s[28:29], 0, v[6:7]
	v_min_i32_e32 v7, 15, v22
	v_lshlrev_b32_e32 v7, 3, v7
	v_cmp_eq_u32_e32 vcc, 0, v22
	v_and_b32_e32 v7, 0xf8, v7
	v_and_or_b32 v6, v6, 7, v7
	s_and_b64 s[28:29], vcc, s[28:29]
	v_cndmask_b32_e64 v6, v6, 0, s[28:29]
	v_or_b32_e32 v48, v6, v28
.LBB6_4681:                             ;   in Loop: Header=BB6_3875 Depth=3
	s_or_b64 exec, exec, s[36:37]
                                        ; implicit-def: $vgpr28
.LBB6_4682:                             ;   in Loop: Header=BB6_3875 Depth=3
	s_andn2_saveexec_b64 s[28:29], s[34:35]
; %bb.4683:                             ;   in Loop: Header=BB6_3875 Depth=3
	v_or_b32_e32 v48, 0x7e, v28
; %bb.4684:                             ;   in Loop: Header=BB6_3875 Depth=3
	s_or_b64 exec, exec, s[28:29]
                                        ; implicit-def: $vgpr6
.LBB6_4685:                             ;   in Loop: Header=BB6_3875 Depth=3
	s_andn2_saveexec_b64 s[28:29], s[30:31]
; %bb.4686:                             ;   in Loop: Header=BB6_3875 Depth=3
	v_or_b32_sdwa v48, v6, s81 dst_sel:DWORD dst_unused:UNUSED_PAD src0_sel:BYTE_3 src1_sel:DWORD
; %bb.4687:                             ;   in Loop: Header=BB6_3875 Depth=3
	s_or_b64 exec, exec, s[28:29]
	v_lshrrev_b16_e32 v6, 8, v20
	v_cmp_ne_u16_e32 vcc, 0, v6
	v_mov_b32_e32 v7, 0
	v_mov_b32_e32 v22, 0
	s_and_saveexec_b64 s[28:29], vcc
	s_cbranch_execz .LBB6_4693
; %bb.4688:                             ;   in Loop: Header=BB6_3875 Depth=3
	v_cmp_ne_u16_e32 vcc, s80, v6
	v_bfrev_b32_e32 v22, 1
	s_and_saveexec_b64 s[30:31], vcc
	s_cbranch_execz .LBB6_4692
; %bb.4689:                             ;   in Loop: Header=BB6_3875 Depth=3
	v_and_b32_e32 v23, 0x7f, v6
	v_cmp_ne_u32_e32 vcc, s81, v23
	v_mov_b32_e32 v22, 0x7f800001
	s_and_saveexec_b64 s[34:35], vcc
	s_cbranch_execz .LBB6_4691
; %bb.4690:                             ;   in Loop: Header=BB6_3875 Depth=3
	v_and_b32_e32 v24, 7, v6
	v_ffbh_u32_e32 v22, v24
	v_min_u32_e32 v28, 32, v22
	v_subrev_u32_e32 v22, 28, v28
	v_lshrrev_b32_e32 v25, 3, v23
	v_cmp_gt_u32_e32 vcc, 8, v23
	v_lshlrev_b64 v[22:23], v22, v[6:7]
	v_sub_u32_e32 v6, 29, v28
	v_and_b32_e32 v22, 7, v22
	v_cndmask_b32_e32 v6, v25, v6, vcc
	v_cndmask_b32_e32 v22, v24, v22, vcc
	v_lshlrev_b32_e32 v20, 16, v20
	v_bfrev_b32_e32 v23, 60
	v_lshlrev_b32_e32 v22, 20, v22
	v_and_b32_e32 v20, 0x80000000, v20
	v_lshl_add_u32 v6, v6, 23, v23
	v_or3_b32 v22, v20, v6, v22
.LBB6_4691:                             ;   in Loop: Header=BB6_3875 Depth=3
	s_or_b64 exec, exec, s[34:35]
.LBB6_4692:                             ;   in Loop: Header=BB6_3875 Depth=3
	s_or_b64 exec, exec, s[30:31]
.LBB6_4693:                             ;   in Loop: Header=BB6_3875 Depth=3
	s_or_b64 exec, exec, s[28:29]
	v_lshrrev_b16_e32 v6, 8, v27
	v_cmp_ne_u16_e32 vcc, 0, v6
	s_and_saveexec_b64 s[28:29], vcc
	s_cbranch_execz .LBB6_4699
; %bb.4694:                             ;   in Loop: Header=BB6_3875 Depth=3
	v_cmp_ne_u16_e32 vcc, s80, v6
	v_bfrev_b32_e32 v7, 1
	s_and_saveexec_b64 s[30:31], vcc
	s_cbranch_execz .LBB6_4698
; %bb.4695:                             ;   in Loop: Header=BB6_3875 Depth=3
	v_and_b32_e32 v20, 0x7f, v6
	v_cmp_ne_u32_e32 vcc, s81, v20
	v_mov_b32_e32 v7, 0x7f800001
	s_and_saveexec_b64 s[34:35], vcc
	s_cbranch_execz .LBB6_4697
; %bb.4696:                             ;   in Loop: Header=BB6_3875 Depth=3
	v_and_b32_e32 v23, 7, v6
	v_ffbh_u32_e32 v7, v23
	v_lshrrev_b32_e32 v24, 3, v20
	v_cmp_gt_u32_e32 vcc, 8, v20
	v_min_u32_e32 v20, 32, v7
	v_subrev_u32_e32 v7, 28, v20
	v_lshlrev_b64 v[6:7], v7, v[6:7]
	v_sub_u32_e32 v7, 29, v20
	v_and_b32_e32 v6, 7, v6
	v_cndmask_b32_e32 v7, v24, v7, vcc
	v_cndmask_b32_e32 v6, v23, v6, vcc
	v_lshlrev_b32_e32 v20, 16, v27
	v_bfrev_b32_e32 v23, 60
	v_lshlrev_b32_e32 v6, 20, v6
	v_and_b32_e32 v20, 0x80000000, v20
	v_lshl_add_u32 v7, v7, 23, v23
	v_or3_b32 v7, v20, v7, v6
.LBB6_4697:                             ;   in Loop: Header=BB6_3875 Depth=3
	s_or_b64 exec, exec, s[34:35]
.LBB6_4698:                             ;   in Loop: Header=BB6_3875 Depth=3
	s_or_b64 exec, exec, s[30:31]
.LBB6_4699:                             ;   in Loop: Header=BB6_3875 Depth=3
	s_or_b64 exec, exec, s[28:29]
	v_mul_f32_e32 v6, v22, v7
	v_and_b32_e32 v20, 0x7f800000, v6
	v_cmp_ne_u64_e32 vcc, s[62:63], v[20:21]
                                        ; implicit-def: $vgpr49
	s_and_saveexec_b64 s[28:29], vcc
	s_xor_b64 s[30:31], exec, s[28:29]
	s_cbranch_execz .LBB6_4713
; %bb.4700:                             ;   in Loop: Header=BB6_3875 Depth=3
	v_and_b32_e32 v20, 0x7fffffff, v6
	v_cmp_gt_u64_e32 vcc, s[78:79], v[20:21]
	v_and_b32_sdwa v28, v6, s80 dst_sel:DWORD dst_unused:UNUSED_PAD src0_sel:BYTE_3 src1_sel:DWORD
                                        ; implicit-def: $vgpr49
	s_and_saveexec_b64 s[28:29], vcc
	s_xor_b64 s[34:35], exec, s[28:29]
	s_cbranch_execz .LBB6_4710
; %bb.4701:                             ;   in Loop: Header=BB6_3875 Depth=3
	v_mov_b32_e32 v49, 0
	v_cmp_ne_u32_e32 vcc, 0, v6
	s_and_saveexec_b64 s[36:37], vcc
	s_cbranch_execz .LBB6_4709
; %bb.4702:                             ;   in Loop: Header=BB6_3875 Depth=3
	v_bfe_u32 v30, v6, 23, 8
	v_and_b32_e32 v7, 0x7fffff, v6
	v_cmp_gt_u32_e64 s[28:29], s47, v30
	v_sub_u32_e32 v6, 0x79, v30
	v_cmp_eq_u32_e32 vcc, 0, v30
	v_cndmask_b32_e64 v6, 0, v6, s[28:29]
	v_mov_b32_e32 v22, 0x78
	v_cndmask_b32_e32 v36, v6, v22, vcc
	v_or_b32_e32 v20, 0x800000, v7
	v_add_u32_e32 v6, 20, v36
	v_cndmask_b32_e32 v20, v20, v7, vcc
	v_lshlrev_b64 v[6:7], v6, -1
	v_add_u32_e32 v22, 19, v36
	v_lshlrev_b64 v[22:23], v22, 1
	v_bfi_b32 v7, v7, 0, 0
	v_bfi_b32 v6, v6, 0, v20
	v_cmp_eq_u64_e64 s[28:29], v[6:7], v[22:23]
	v_lshrrev_b64 v[6:7], v36, v[20:21]
	v_mov_b32_e32 v23, v7
	v_mov_b32_e32 v22, v6
	s_and_saveexec_b64 s[38:39], s[28:29]
; %bb.4703:                             ;   in Loop: Header=BB6_3875 Depth=3
	v_bfe_u32 v7, v6, 20, 1
	v_add_co_u32_e64 v7, s[28:29], v6, v7
	v_add_co_u32_e64 v22, s[28:29], -1, v7
; %bb.4704:                             ;   in Loop: Header=BB6_3875 Depth=3
	s_or_b64 exec, exec, s[38:39]
	v_add_u32_e32 v7, 0xffffff81, v30
	v_mov_b32_e32 v20, 0xffffff82
	v_cndmask_b32_e32 v7, v7, v20, vcc
	v_lshrrev_b32_e32 v20, 23, v6
	v_add3_u32 v29, v36, v7, v20
	v_add_u32_e32 v23, 6, v29
	v_and_b32_e32 v7, 0xfffff, v22
	v_add_u32_e32 v20, v7, v6
	v_cmp_ne_u32_e32 vcc, 0, v23
                                        ; implicit-def: $vgpr6_vgpr7
                                        ; implicit-def: $vgpr22
	s_and_saveexec_b64 s[28:29], vcc
	s_xor_b64 s[28:29], exec, s[28:29]
; %bb.4705:                             ;   in Loop: Header=BB6_3875 Depth=3
	v_cmp_lt_u64_e32 vcc, s[88:89], v[20:21]
	v_add_u32_e32 v6, 7, v29
	v_cndmask_b32_e32 v22, v23, v6, vcc
	v_cndmask_b32_e64 v6, 0, 1, vcc
	v_lshrrev_b64 v[6:7], v6, v[20:21]
; %bb.4706:                             ;   in Loop: Header=BB6_3875 Depth=3
	s_andn2_saveexec_b64 s[28:29], s[28:29]
; %bb.4707:                             ;   in Loop: Header=BB6_3875 Depth=3
	v_mov_b32_e32 v6, v20
	v_bfe_u32 v22, v20, 23, 1
	v_mov_b32_e32 v7, v21
; %bb.4708:                             ;   in Loop: Header=BB6_3875 Depth=3
	s_or_b64 exec, exec, s[28:29]
	v_lshrrev_b64 v[6:7], 20, v[6:7]
	v_cmp_gt_i32_e32 vcc, 16, v22
	v_cndmask_b32_e32 v7, 0, v7, vcc
	v_cndmask_b32_e32 v6, 7, v6, vcc
	v_cmp_eq_u64_e64 s[28:29], 0, v[6:7]
	v_min_i32_e32 v7, 15, v22
	v_lshlrev_b32_e32 v7, 3, v7
	v_cmp_eq_u32_e32 vcc, 0, v22
	v_and_b32_e32 v7, 0xf8, v7
	v_and_or_b32 v6, v6, 7, v7
	s_and_b64 s[28:29], vcc, s[28:29]
	v_cndmask_b32_e64 v6, v6, 0, s[28:29]
	v_or_b32_e32 v49, v6, v28
.LBB6_4709:                             ;   in Loop: Header=BB6_3875 Depth=3
	s_or_b64 exec, exec, s[36:37]
                                        ; implicit-def: $vgpr28
.LBB6_4710:                             ;   in Loop: Header=BB6_3875 Depth=3
	s_andn2_saveexec_b64 s[28:29], s[34:35]
; %bb.4711:                             ;   in Loop: Header=BB6_3875 Depth=3
	v_or_b32_e32 v49, 0x7e, v28
; %bb.4712:                             ;   in Loop: Header=BB6_3875 Depth=3
	s_or_b64 exec, exec, s[28:29]
                                        ; implicit-def: $vgpr6
.LBB6_4713:                             ;   in Loop: Header=BB6_3875 Depth=3
	s_andn2_saveexec_b64 s[28:29], s[30:31]
; %bb.4714:                             ;   in Loop: Header=BB6_3875 Depth=3
	v_or_b32_sdwa v49, v6, s81 dst_sel:DWORD dst_unused:UNUSED_PAD src0_sel:BYTE_3 src1_sel:DWORD
; %bb.4715:                             ;   in Loop: Header=BB6_3875 Depth=3
	s_or_b64 exec, exec, s[28:29]
	v_lshrrev_b32_e32 v6, 16, v35
	v_cmp_ne_u16_sdwa vcc, v6, v21 src0_sel:BYTE_0 src1_sel:DWORD
	v_mov_b32_e32 v7, 0
	v_mov_b32_e32 v20, 0
	s_and_saveexec_b64 s[28:29], vcc
	s_cbranch_execz .LBB6_4721
; %bb.4716:                             ;   in Loop: Header=BB6_3875 Depth=3
	v_cmp_ne_u16_sdwa vcc, v6, s80 src0_sel:BYTE_0 src1_sel:DWORD
	v_bfrev_b32_e32 v20, 1
	s_and_saveexec_b64 s[30:31], vcc
	s_cbranch_execz .LBB6_4720
; %bb.4717:                             ;   in Loop: Header=BB6_3875 Depth=3
	v_bfe_u32 v22, v35, 16, 7
	v_cmp_ne_u32_e32 vcc, s81, v22
	v_mov_b32_e32 v20, 0x7f800001
	s_and_saveexec_b64 s[34:35], vcc
	s_cbranch_execz .LBB6_4719
; %bb.4718:                             ;   in Loop: Header=BB6_3875 Depth=3
	v_and_b32_e32 v20, 7, v6
	v_lshrrev_b32_e32 v24, 3, v22
	v_cmp_gt_u32_e32 vcc, 8, v22
	v_ffbh_u32_e32 v22, v20
	v_min_u32_e32 v25, 32, v22
	v_subrev_u32_e32 v22, 28, v25
	v_lshlrev_b64 v[22:23], v22, v[6:7]
	v_sub_u32_e32 v23, 29, v25
	v_and_b32_e32 v22, 7, v22
	v_cndmask_b32_e32 v23, v24, v23, vcc
	v_cndmask_b32_e32 v20, v20, v22, vcc
	v_lshlrev_b32_e32 v6, 24, v6
	v_bfrev_b32_e32 v22, 60
	v_lshlrev_b32_e32 v20, 20, v20
	v_and_b32_e32 v6, 0x80000000, v6
	v_lshl_add_u32 v22, v23, 23, v22
	v_or3_b32 v20, v6, v22, v20
.LBB6_4719:                             ;   in Loop: Header=BB6_3875 Depth=3
	s_or_b64 exec, exec, s[34:35]
.LBB6_4720:                             ;   in Loop: Header=BB6_3875 Depth=3
	s_or_b64 exec, exec, s[30:31]
.LBB6_4721:                             ;   in Loop: Header=BB6_3875 Depth=3
	s_or_b64 exec, exec, s[28:29]
	v_lshrrev_b32_e32 v6, 16, v27
	v_cmp_ne_u16_sdwa vcc, v6, v21 src0_sel:BYTE_0 src1_sel:DWORD
	s_and_saveexec_b64 s[28:29], vcc
	s_cbranch_execz .LBB6_4727
; %bb.4722:                             ;   in Loop: Header=BB6_3875 Depth=3
	v_cmp_ne_u16_sdwa vcc, v6, s80 src0_sel:BYTE_0 src1_sel:DWORD
	v_bfrev_b32_e32 v7, 1
	s_and_saveexec_b64 s[30:31], vcc
	s_cbranch_execz .LBB6_4726
; %bb.4723:                             ;   in Loop: Header=BB6_3875 Depth=3
	v_bfe_u32 v22, v27, 16, 7
	v_cmp_ne_u32_e32 vcc, s81, v22
	v_mov_b32_e32 v7, 0x7f800001
	s_and_saveexec_b64 s[34:35], vcc
	s_cbranch_execz .LBB6_4725
; %bb.4724:                             ;   in Loop: Header=BB6_3875 Depth=3
	v_and_b32_e32 v23, 7, v6
	v_ffbh_u32_e32 v7, v23
	v_lshrrev_b32_e32 v24, 3, v22
	v_cmp_gt_u32_e32 vcc, 8, v22
	v_min_u32_e32 v22, 32, v7
	v_subrev_u32_e32 v7, 28, v22
	v_lshlrev_b64 v[6:7], v7, v[6:7]
	v_sub_u32_e32 v7, 29, v22
	v_and_b32_e32 v6, 7, v6
	v_cndmask_b32_e32 v7, v24, v7, vcc
	v_cndmask_b32_e32 v6, v23, v6, vcc
	v_lshlrev_b32_e32 v22, 8, v27
	v_bfrev_b32_e32 v23, 60
	v_lshlrev_b32_e32 v6, 20, v6
	v_and_b32_e32 v22, 0x80000000, v22
	v_lshl_add_u32 v7, v7, 23, v23
	v_or3_b32 v7, v22, v7, v6
.LBB6_4725:                             ;   in Loop: Header=BB6_3875 Depth=3
	s_or_b64 exec, exec, s[34:35]
.LBB6_4726:                             ;   in Loop: Header=BB6_3875 Depth=3
	s_or_b64 exec, exec, s[30:31]
.LBB6_4727:                             ;   in Loop: Header=BB6_3875 Depth=3
	s_or_b64 exec, exec, s[28:29]
	v_mul_f32_e32 v6, v20, v7
	v_and_b32_e32 v20, 0x7f800000, v6
	v_cmp_ne_u64_e32 vcc, s[62:63], v[20:21]
                                        ; implicit-def: $vgpr55
	s_and_saveexec_b64 s[28:29], vcc
	s_xor_b64 s[30:31], exec, s[28:29]
	s_cbranch_execz .LBB6_4741
; %bb.4728:                             ;   in Loop: Header=BB6_3875 Depth=3
	v_and_b32_e32 v20, 0x7fffffff, v6
	v_cmp_gt_u64_e32 vcc, s[78:79], v[20:21]
	v_and_b32_sdwa v28, v6, s80 dst_sel:DWORD dst_unused:UNUSED_PAD src0_sel:BYTE_3 src1_sel:DWORD
                                        ; implicit-def: $vgpr55
	s_and_saveexec_b64 s[28:29], vcc
	s_xor_b64 s[34:35], exec, s[28:29]
	s_cbranch_execz .LBB6_4738
; %bb.4729:                             ;   in Loop: Header=BB6_3875 Depth=3
	v_mov_b32_e32 v55, 0
	v_cmp_ne_u32_e32 vcc, 0, v6
	s_and_saveexec_b64 s[36:37], vcc
	s_cbranch_execz .LBB6_4737
; %bb.4730:                             ;   in Loop: Header=BB6_3875 Depth=3
	v_bfe_u32 v30, v6, 23, 8
	v_and_b32_e32 v7, 0x7fffff, v6
	v_cmp_gt_u32_e64 s[28:29], s47, v30
	v_sub_u32_e32 v6, 0x79, v30
	v_cmp_eq_u32_e32 vcc, 0, v30
	v_cndmask_b32_e64 v6, 0, v6, s[28:29]
	v_mov_b32_e32 v22, 0x78
	v_cndmask_b32_e32 v36, v6, v22, vcc
	v_or_b32_e32 v20, 0x800000, v7
	v_add_u32_e32 v6, 20, v36
	v_cndmask_b32_e32 v20, v20, v7, vcc
	v_lshlrev_b64 v[6:7], v6, -1
	v_add_u32_e32 v22, 19, v36
	v_lshlrev_b64 v[22:23], v22, 1
	v_bfi_b32 v7, v7, 0, 0
	v_bfi_b32 v6, v6, 0, v20
	v_cmp_eq_u64_e64 s[28:29], v[6:7], v[22:23]
	v_lshrrev_b64 v[6:7], v36, v[20:21]
	v_mov_b32_e32 v23, v7
	v_mov_b32_e32 v22, v6
	s_and_saveexec_b64 s[38:39], s[28:29]
; %bb.4731:                             ;   in Loop: Header=BB6_3875 Depth=3
	v_bfe_u32 v7, v6, 20, 1
	v_add_co_u32_e64 v7, s[28:29], v6, v7
	v_add_co_u32_e64 v22, s[28:29], -1, v7
; %bb.4732:                             ;   in Loop: Header=BB6_3875 Depth=3
	s_or_b64 exec, exec, s[38:39]
	v_add_u32_e32 v7, 0xffffff81, v30
	v_mov_b32_e32 v20, 0xffffff82
	v_cndmask_b32_e32 v7, v7, v20, vcc
	v_lshrrev_b32_e32 v20, 23, v6
	v_add3_u32 v29, v36, v7, v20
	v_add_u32_e32 v23, 6, v29
	v_and_b32_e32 v7, 0xfffff, v22
	v_add_u32_e32 v20, v7, v6
	v_cmp_ne_u32_e32 vcc, 0, v23
                                        ; implicit-def: $vgpr6_vgpr7
                                        ; implicit-def: $vgpr22
	s_and_saveexec_b64 s[28:29], vcc
	s_xor_b64 s[28:29], exec, s[28:29]
; %bb.4733:                             ;   in Loop: Header=BB6_3875 Depth=3
	v_cmp_lt_u64_e32 vcc, s[88:89], v[20:21]
	v_add_u32_e32 v6, 7, v29
	v_cndmask_b32_e32 v22, v23, v6, vcc
	v_cndmask_b32_e64 v6, 0, 1, vcc
	v_lshrrev_b64 v[6:7], v6, v[20:21]
; %bb.4734:                             ;   in Loop: Header=BB6_3875 Depth=3
	s_andn2_saveexec_b64 s[28:29], s[28:29]
; %bb.4735:                             ;   in Loop: Header=BB6_3875 Depth=3
	v_mov_b32_e32 v6, v20
	v_bfe_u32 v22, v20, 23, 1
	v_mov_b32_e32 v7, v21
; %bb.4736:                             ;   in Loop: Header=BB6_3875 Depth=3
	s_or_b64 exec, exec, s[28:29]
	v_lshrrev_b64 v[6:7], 20, v[6:7]
	v_cmp_gt_i32_e32 vcc, 16, v22
	v_cndmask_b32_e32 v7, 0, v7, vcc
	v_cndmask_b32_e32 v6, 7, v6, vcc
	v_cmp_eq_u64_e64 s[28:29], 0, v[6:7]
	v_min_i32_e32 v7, 15, v22
	v_lshlrev_b32_e32 v7, 3, v7
	v_cmp_eq_u32_e32 vcc, 0, v22
	v_and_b32_e32 v7, 0xf8, v7
	v_and_or_b32 v6, v6, 7, v7
	s_and_b64 s[28:29], vcc, s[28:29]
	v_cndmask_b32_e64 v6, v6, 0, s[28:29]
	v_or_b32_e32 v55, v6, v28
.LBB6_4737:                             ;   in Loop: Header=BB6_3875 Depth=3
	s_or_b64 exec, exec, s[36:37]
                                        ; implicit-def: $vgpr28
.LBB6_4738:                             ;   in Loop: Header=BB6_3875 Depth=3
	s_andn2_saveexec_b64 s[28:29], s[34:35]
; %bb.4739:                             ;   in Loop: Header=BB6_3875 Depth=3
	v_or_b32_e32 v55, 0x7e, v28
; %bb.4740:                             ;   in Loop: Header=BB6_3875 Depth=3
	s_or_b64 exec, exec, s[28:29]
                                        ; implicit-def: $vgpr6
.LBB6_4741:                             ;   in Loop: Header=BB6_3875 Depth=3
	s_andn2_saveexec_b64 s[28:29], s[30:31]
; %bb.4742:                             ;   in Loop: Header=BB6_3875 Depth=3
	v_or_b32_sdwa v55, v6, s81 dst_sel:DWORD dst_unused:UNUSED_PAD src0_sel:BYTE_3 src1_sel:DWORD
; %bb.4743:                             ;   in Loop: Header=BB6_3875 Depth=3
	s_or_b64 exec, exec, s[28:29]
	v_cmp_lt_u64_e32 vcc, s[56:57], v[34:35]
	v_mov_b32_e32 v7, 0
	v_mov_b32_e32 v20, 0
	s_and_saveexec_b64 s[28:29], vcc
	s_cbranch_execz .LBB6_4749
; %bb.4744:                             ;   in Loop: Header=BB6_3875 Depth=3
	v_lshrrev_b32_e32 v6, 24, v35
	v_cmp_ne_u32_e32 vcc, s80, v6
	v_bfrev_b32_e32 v20, 1
	s_and_saveexec_b64 s[30:31], vcc
	s_cbranch_execz .LBB6_4748
; %bb.4745:                             ;   in Loop: Header=BB6_3875 Depth=3
	v_bfe_u32 v22, v35, 24, 7
	v_cmp_ne_u32_e32 vcc, s81, v22
	v_mov_b32_e32 v20, 0x7f800001
	s_and_saveexec_b64 s[34:35], vcc
	s_cbranch_execz .LBB6_4747
; %bb.4746:                             ;   in Loop: Header=BB6_3875 Depth=3
	v_and_b32_e32 v20, 7, v6
	v_lshrrev_b32_e32 v24, 3, v22
	v_cmp_gt_u32_e32 vcc, 8, v22
	v_ffbh_u32_e32 v22, v20
	v_min_u32_e32 v25, 32, v22
	v_subrev_u32_e32 v22, 28, v25
	v_lshlrev_b64 v[22:23], v22, v[6:7]
	v_sub_u32_e32 v23, 29, v25
	v_and_b32_e32 v22, 7, v22
	v_cndmask_b32_e32 v23, v24, v23, vcc
	v_cndmask_b32_e32 v20, v20, v22, vcc
	v_lshlrev_b32_e32 v6, 24, v6
	v_bfrev_b32_e32 v22, 60
	v_lshlrev_b32_e32 v20, 20, v20
	v_and_b32_e32 v6, 0x80000000, v6
	v_lshl_add_u32 v22, v23, 23, v22
	v_or3_b32 v20, v6, v22, v20
.LBB6_4747:                             ;   in Loop: Header=BB6_3875 Depth=3
	s_or_b64 exec, exec, s[34:35]
.LBB6_4748:                             ;   in Loop: Header=BB6_3875 Depth=3
	s_or_b64 exec, exec, s[30:31]
.LBB6_4749:                             ;   in Loop: Header=BB6_3875 Depth=3
	s_or_b64 exec, exec, s[28:29]
	v_cmp_lt_u64_e32 vcc, s[56:57], v[26:27]
	s_and_saveexec_b64 s[28:29], vcc
	s_cbranch_execz .LBB6_4755
; %bb.4750:                             ;   in Loop: Header=BB6_3875 Depth=3
	v_lshrrev_b32_e32 v6, 24, v27
	v_cmp_ne_u32_e32 vcc, s80, v6
	v_bfrev_b32_e32 v7, 1
	s_and_saveexec_b64 s[30:31], vcc
	s_cbranch_execz .LBB6_4754
; %bb.4751:                             ;   in Loop: Header=BB6_3875 Depth=3
	v_bfe_u32 v22, v27, 24, 7
	v_cmp_ne_u32_e32 vcc, s81, v22
	v_mov_b32_e32 v7, 0x7f800001
	s_and_saveexec_b64 s[34:35], vcc
	s_cbranch_execz .LBB6_4753
; %bb.4752:                             ;   in Loop: Header=BB6_3875 Depth=3
	v_and_b32_e32 v7, 7, v6
	v_lshrrev_b32_e32 v24, 3, v22
	v_cmp_gt_u32_e32 vcc, 8, v22
	v_ffbh_u32_e32 v22, v7
	v_min_u32_e32 v25, 32, v22
	v_subrev_u32_e32 v22, 28, v25
	v_lshlrev_b64 v[22:23], v22, v[6:7]
	v_sub_u32_e32 v23, 29, v25
	v_and_b32_e32 v22, 7, v22
	v_cndmask_b32_e32 v23, v24, v23, vcc
	v_cndmask_b32_e32 v7, v7, v22, vcc
	v_lshlrev_b32_e32 v6, 24, v6
	v_bfrev_b32_e32 v22, 60
	v_lshlrev_b32_e32 v7, 20, v7
	v_and_b32_e32 v6, 0x80000000, v6
	v_lshl_add_u32 v22, v23, 23, v22
	v_or3_b32 v7, v6, v22, v7
.LBB6_4753:                             ;   in Loop: Header=BB6_3875 Depth=3
	s_or_b64 exec, exec, s[34:35]
.LBB6_4754:                             ;   in Loop: Header=BB6_3875 Depth=3
	s_or_b64 exec, exec, s[30:31]
.LBB6_4755:                             ;   in Loop: Header=BB6_3875 Depth=3
	s_or_b64 exec, exec, s[28:29]
	v_mul_f32_e32 v6, v20, v7
	v_and_b32_e32 v20, 0x7f800000, v6
	v_cmp_ne_u64_e32 vcc, s[62:63], v[20:21]
                                        ; implicit-def: $vgpr26
	s_and_saveexec_b64 s[28:29], vcc
	s_xor_b64 s[30:31], exec, s[28:29]
	s_cbranch_execz .LBB6_4769
; %bb.4756:                             ;   in Loop: Header=BB6_3875 Depth=3
	v_and_b32_e32 v20, 0x7fffffff, v6
	v_cmp_gt_u64_e32 vcc, s[78:79], v[20:21]
	v_and_b32_sdwa v27, v6, s80 dst_sel:DWORD dst_unused:UNUSED_PAD src0_sel:BYTE_3 src1_sel:DWORD
                                        ; implicit-def: $vgpr26
	s_and_saveexec_b64 s[28:29], vcc
	s_xor_b64 s[34:35], exec, s[28:29]
	s_cbranch_execz .LBB6_4766
; %bb.4757:                             ;   in Loop: Header=BB6_3875 Depth=3
	v_mov_b32_e32 v26, 0
	v_cmp_ne_u32_e32 vcc, 0, v6
	s_and_saveexec_b64 s[36:37], vcc
	s_cbranch_execz .LBB6_4765
; %bb.4758:                             ;   in Loop: Header=BB6_3875 Depth=3
	v_bfe_u32 v26, v6, 23, 8
	v_and_b32_e32 v7, 0x7fffff, v6
	v_cmp_gt_u32_e64 s[28:29], s47, v26
	v_sub_u32_e32 v6, 0x79, v26
	v_cmp_eq_u32_e32 vcc, 0, v26
	v_cndmask_b32_e64 v6, 0, v6, s[28:29]
	v_mov_b32_e32 v22, 0x78
	v_cndmask_b32_e32 v28, v6, v22, vcc
	v_or_b32_e32 v20, 0x800000, v7
	v_add_u32_e32 v6, 20, v28
	v_cndmask_b32_e32 v20, v20, v7, vcc
	v_lshlrev_b64 v[6:7], v6, -1
	v_add_u32_e32 v22, 19, v28
	v_lshlrev_b64 v[22:23], v22, 1
	v_bfi_b32 v7, v7, 0, 0
	v_bfi_b32 v6, v6, 0, v20
	v_cmp_eq_u64_e64 s[28:29], v[6:7], v[22:23]
	v_lshrrev_b64 v[6:7], v28, v[20:21]
	v_mov_b32_e32 v23, v7
	v_mov_b32_e32 v22, v6
	s_and_saveexec_b64 s[38:39], s[28:29]
; %bb.4759:                             ;   in Loop: Header=BB6_3875 Depth=3
	v_bfe_u32 v7, v6, 20, 1
	v_add_co_u32_e64 v7, s[28:29], v6, v7
	v_add_co_u32_e64 v22, s[28:29], -1, v7
; %bb.4760:                             ;   in Loop: Header=BB6_3875 Depth=3
	s_or_b64 exec, exec, s[38:39]
	v_add_u32_e32 v7, 0xffffff81, v26
	v_mov_b32_e32 v20, 0xffffff82
	v_cndmask_b32_e32 v7, v7, v20, vcc
	v_lshrrev_b32_e32 v20, 23, v6
	v_add3_u32 v26, v28, v7, v20
	v_add_u32_e32 v23, 6, v26
	v_and_b32_e32 v7, 0xfffff, v22
	v_add_u32_e32 v20, v7, v6
	v_cmp_ne_u32_e32 vcc, 0, v23
                                        ; implicit-def: $vgpr6_vgpr7
                                        ; implicit-def: $vgpr22
	s_and_saveexec_b64 s[28:29], vcc
	s_xor_b64 s[28:29], exec, s[28:29]
; %bb.4761:                             ;   in Loop: Header=BB6_3875 Depth=3
	v_cmp_lt_u64_e32 vcc, s[88:89], v[20:21]
	v_add_u32_e32 v6, 7, v26
	v_cndmask_b32_e32 v22, v23, v6, vcc
	v_cndmask_b32_e64 v6, 0, 1, vcc
	v_lshrrev_b64 v[6:7], v6, v[20:21]
; %bb.4762:                             ;   in Loop: Header=BB6_3875 Depth=3
	s_andn2_saveexec_b64 s[28:29], s[28:29]
; %bb.4763:                             ;   in Loop: Header=BB6_3875 Depth=3
	v_mov_b32_e32 v6, v20
	v_bfe_u32 v22, v20, 23, 1
	v_mov_b32_e32 v7, v21
; %bb.4764:                             ;   in Loop: Header=BB6_3875 Depth=3
	s_or_b64 exec, exec, s[28:29]
	v_lshrrev_b64 v[6:7], 20, v[6:7]
	v_cmp_gt_i32_e32 vcc, 16, v22
	v_cndmask_b32_e32 v7, 0, v7, vcc
	v_cndmask_b32_e32 v6, 7, v6, vcc
	v_cmp_eq_u64_e64 s[28:29], 0, v[6:7]
	v_min_i32_e32 v7, 15, v22
	v_lshlrev_b32_e32 v7, 3, v7
	v_cmp_eq_u32_e32 vcc, 0, v22
	v_and_b32_e32 v7, 0xf8, v7
	v_and_or_b32 v6, v6, 7, v7
	s_and_b64 s[28:29], vcc, s[28:29]
	v_cndmask_b32_e64 v6, v6, 0, s[28:29]
	v_or_b32_e32 v26, v6, v27
.LBB6_4765:                             ;   in Loop: Header=BB6_3875 Depth=3
	s_or_b64 exec, exec, s[36:37]
                                        ; implicit-def: $vgpr27
.LBB6_4766:                             ;   in Loop: Header=BB6_3875 Depth=3
	s_andn2_saveexec_b64 s[28:29], s[34:35]
; %bb.4767:                             ;   in Loop: Header=BB6_3875 Depth=3
	v_or_b32_e32 v26, 0x7e, v27
; %bb.4768:                             ;   in Loop: Header=BB6_3875 Depth=3
	s_or_b64 exec, exec, s[28:29]
                                        ; implicit-def: $vgpr6
.LBB6_4769:                             ;   in Loop: Header=BB6_3875 Depth=3
	s_andn2_saveexec_b64 s[28:29], s[30:31]
; %bb.4770:                             ;   in Loop: Header=BB6_3875 Depth=3
	v_or_b32_sdwa v26, v6, s81 dst_sel:DWORD dst_unused:UNUSED_PAD src0_sel:BYTE_3 src1_sel:DWORD
; %bb.4771:                             ;   in Loop: Header=BB6_3875 Depth=3
	s_or_b64 exec, exec, s[28:29]
	v_cmp_ne_u16_sdwa vcc, v0, v21 src0_sel:BYTE_0 src1_sel:DWORD
	v_mov_b32_e32 v6, 0
	v_mov_b32_e32 v7, 0
	s_and_saveexec_b64 s[28:29], vcc
	s_cbranch_execz .LBB6_4777
; %bb.4772:                             ;   in Loop: Header=BB6_3875 Depth=3
	v_cmp_ne_u16_sdwa vcc, v0, s80 src0_sel:BYTE_0 src1_sel:DWORD
	v_bfrev_b32_e32 v7, 1
	s_and_saveexec_b64 s[30:31], vcc
	s_cbranch_execz .LBB6_4776
; %bb.4773:                             ;   in Loop: Header=BB6_3875 Depth=3
	v_and_b32_e32 v20, 0x7f, v0
	v_cmp_ne_u32_e32 vcc, s81, v20
	v_mov_b32_e32 v7, 0x7f800001
	s_and_saveexec_b64 s[34:35], vcc
	s_cbranch_execz .LBB6_4775
; %bb.4774:                             ;   in Loop: Header=BB6_3875 Depth=3
	v_and_b32_e32 v7, 7, v0
	v_ffbh_u32_e32 v7, v7
	v_min_u32_e32 v7, 32, v7
	v_lshrrev_b32_e32 v22, 3, v20
	v_cmp_gt_u32_e32 vcc, 8, v20
	v_subrev_u32_e32 v20, 28, v7
	v_sub_u32_e32 v7, 29, v7
	v_cndmask_b32_e32 v20, 0, v20, vcc
	v_cndmask_b32_e32 v7, v22, v7, vcc
	v_lshlrev_b64 v[22:23], v20, v[0:1]
	v_bfrev_b32_e32 v23, 60
	v_lshlrev_b32_e32 v20, 20, v22
	v_lshlrev_b32_e32 v22, 24, v0
	v_and_b32_e32 v20, 0x700000, v20
	v_and_b32_e32 v22, 0x80000000, v22
	v_lshl_add_u32 v7, v7, 23, v23
	v_or3_b32 v7, v22, v7, v20
.LBB6_4775:                             ;   in Loop: Header=BB6_3875 Depth=3
	s_or_b64 exec, exec, s[34:35]
.LBB6_4776:                             ;   in Loop: Header=BB6_3875 Depth=3
	s_or_b64 exec, exec, s[30:31]
.LBB6_4777:                             ;   in Loop: Header=BB6_3875 Depth=3
	s_or_b64 exec, exec, s[28:29]
	s_waitcnt vmcnt(1)
	v_cmp_ne_u16_sdwa vcc, v16, v21 src0_sel:BYTE_0 src1_sel:DWORD
	s_and_saveexec_b64 s[28:29], vcc
	s_cbranch_execz .LBB6_4783
; %bb.4778:                             ;   in Loop: Header=BB6_3875 Depth=3
	v_cmp_ne_u16_sdwa vcc, v16, s80 src0_sel:BYTE_0 src1_sel:DWORD
	v_bfrev_b32_e32 v6, 1
	s_and_saveexec_b64 s[30:31], vcc
	s_cbranch_execz .LBB6_4782
; %bb.4779:                             ;   in Loop: Header=BB6_3875 Depth=3
	v_and_b32_e32 v20, 0x7f, v16
	v_cmp_ne_u32_e32 vcc, s81, v20
	v_mov_b32_e32 v6, 0x7f800001
	s_and_saveexec_b64 s[34:35], vcc
	s_cbranch_execz .LBB6_4781
; %bb.4780:                             ;   in Loop: Header=BB6_3875 Depth=3
	v_and_b32_e32 v6, 7, v16
	v_ffbh_u32_e32 v6, v6
	v_min_u32_e32 v6, 32, v6
	v_lshrrev_b32_e32 v22, 3, v20
	v_cmp_gt_u32_e32 vcc, 8, v20
	v_subrev_u32_e32 v20, 28, v6
	v_sub_u32_e32 v6, 29, v6
	v_cndmask_b32_e32 v20, 0, v20, vcc
	v_cndmask_b32_e32 v6, v22, v6, vcc
	v_lshlrev_b64 v[22:23], v20, v[16:17]
	v_bfrev_b32_e32 v23, 60
	v_lshlrev_b32_e32 v20, 20, v22
	v_lshlrev_b32_e32 v22, 24, v16
	v_and_b32_e32 v20, 0x700000, v20
	v_and_b32_e32 v22, 0x80000000, v22
	v_lshl_add_u32 v6, v6, 23, v23
	v_or3_b32 v6, v22, v6, v20
.LBB6_4781:                             ;   in Loop: Header=BB6_3875 Depth=3
	s_or_b64 exec, exec, s[34:35]
.LBB6_4782:                             ;   in Loop: Header=BB6_3875 Depth=3
	s_or_b64 exec, exec, s[30:31]
.LBB6_4783:                             ;   in Loop: Header=BB6_3875 Depth=3
	s_or_b64 exec, exec, s[28:29]
	v_mul_f32_e32 v6, v7, v6
	v_and_b32_e32 v20, 0x7f800000, v6
	v_cmp_ne_u64_e32 vcc, s[62:63], v[20:21]
                                        ; implicit-def: $vgpr27
	s_and_saveexec_b64 s[28:29], vcc
	s_xor_b64 s[30:31], exec, s[28:29]
	s_cbranch_execz .LBB6_4797
; %bb.4784:                             ;   in Loop: Header=BB6_3875 Depth=3
	v_and_b32_e32 v20, 0x7fffffff, v6
	v_cmp_gt_u64_e32 vcc, s[78:79], v[20:21]
	v_and_b32_sdwa v28, v6, s80 dst_sel:DWORD dst_unused:UNUSED_PAD src0_sel:BYTE_3 src1_sel:DWORD
                                        ; implicit-def: $vgpr27
	s_and_saveexec_b64 s[28:29], vcc
	s_xor_b64 s[34:35], exec, s[28:29]
	s_cbranch_execz .LBB6_4794
; %bb.4785:                             ;   in Loop: Header=BB6_3875 Depth=3
	v_mov_b32_e32 v27, 0
	v_cmp_ne_u32_e32 vcc, 0, v6
	s_and_saveexec_b64 s[36:37], vcc
	s_cbranch_execz .LBB6_4793
; %bb.4786:                             ;   in Loop: Header=BB6_3875 Depth=3
	v_bfe_u32 v27, v6, 23, 8
	v_and_b32_e32 v7, 0x7fffff, v6
	v_cmp_gt_u32_e64 s[28:29], s47, v27
	v_sub_u32_e32 v6, 0x79, v27
	v_cmp_eq_u32_e32 vcc, 0, v27
	v_cndmask_b32_e64 v6, 0, v6, s[28:29]
	v_mov_b32_e32 v22, 0x78
	v_cndmask_b32_e32 v30, v6, v22, vcc
	v_or_b32_e32 v20, 0x800000, v7
	v_add_u32_e32 v6, 20, v30
	v_cndmask_b32_e32 v20, v20, v7, vcc
	v_lshlrev_b64 v[6:7], v6, -1
	v_add_u32_e32 v22, 19, v30
	v_lshlrev_b64 v[22:23], v22, 1
	v_bfi_b32 v7, v7, 0, 0
	v_bfi_b32 v6, v6, 0, v20
	v_cmp_eq_u64_e64 s[28:29], v[6:7], v[22:23]
	v_lshrrev_b64 v[6:7], v30, v[20:21]
	v_mov_b32_e32 v23, v7
	v_mov_b32_e32 v22, v6
	s_and_saveexec_b64 s[38:39], s[28:29]
; %bb.4787:                             ;   in Loop: Header=BB6_3875 Depth=3
	v_bfe_u32 v7, v6, 20, 1
	v_add_co_u32_e64 v7, s[28:29], v6, v7
	v_add_co_u32_e64 v22, s[28:29], -1, v7
; %bb.4788:                             ;   in Loop: Header=BB6_3875 Depth=3
	s_or_b64 exec, exec, s[38:39]
	v_add_u32_e32 v7, 0xffffff81, v27
	v_mov_b32_e32 v20, 0xffffff82
	v_cndmask_b32_e32 v7, v7, v20, vcc
	v_lshrrev_b32_e32 v20, 23, v6
	v_add3_u32 v27, v30, v7, v20
	v_add_u32_e32 v23, 6, v27
	v_and_b32_e32 v7, 0xfffff, v22
	v_add_u32_e32 v20, v7, v6
	v_cmp_ne_u32_e32 vcc, 0, v23
                                        ; implicit-def: $vgpr6_vgpr7
                                        ; implicit-def: $vgpr22
	s_and_saveexec_b64 s[28:29], vcc
	s_xor_b64 s[28:29], exec, s[28:29]
; %bb.4789:                             ;   in Loop: Header=BB6_3875 Depth=3
	v_cmp_lt_u64_e32 vcc, s[88:89], v[20:21]
	v_add_u32_e32 v6, 7, v27
	v_cndmask_b32_e32 v22, v23, v6, vcc
	v_cndmask_b32_e64 v6, 0, 1, vcc
	v_lshrrev_b64 v[6:7], v6, v[20:21]
; %bb.4790:                             ;   in Loop: Header=BB6_3875 Depth=3
	s_andn2_saveexec_b64 s[28:29], s[28:29]
; %bb.4791:                             ;   in Loop: Header=BB6_3875 Depth=3
	v_mov_b32_e32 v6, v20
	v_bfe_u32 v22, v20, 23, 1
	v_mov_b32_e32 v7, v21
; %bb.4792:                             ;   in Loop: Header=BB6_3875 Depth=3
	s_or_b64 exec, exec, s[28:29]
	v_lshrrev_b64 v[6:7], 20, v[6:7]
	v_cmp_gt_i32_e32 vcc, 16, v22
	v_cndmask_b32_e32 v7, 0, v7, vcc
	v_cndmask_b32_e32 v6, 7, v6, vcc
	v_cmp_eq_u64_e64 s[28:29], 0, v[6:7]
	v_min_i32_e32 v7, 15, v22
	v_lshlrev_b32_e32 v7, 3, v7
	v_cmp_eq_u32_e32 vcc, 0, v22
	v_and_b32_e32 v7, 0xf8, v7
	v_and_or_b32 v6, v6, 7, v7
	s_and_b64 s[28:29], vcc, s[28:29]
	v_cndmask_b32_e64 v6, v6, 0, s[28:29]
	v_or_b32_e32 v27, v6, v28
.LBB6_4793:                             ;   in Loop: Header=BB6_3875 Depth=3
	s_or_b64 exec, exec, s[36:37]
                                        ; implicit-def: $vgpr28
.LBB6_4794:                             ;   in Loop: Header=BB6_3875 Depth=3
	s_andn2_saveexec_b64 s[28:29], s[34:35]
; %bb.4795:                             ;   in Loop: Header=BB6_3875 Depth=3
	v_or_b32_e32 v27, 0x7e, v28
; %bb.4796:                             ;   in Loop: Header=BB6_3875 Depth=3
	s_or_b64 exec, exec, s[28:29]
                                        ; implicit-def: $vgpr6
.LBB6_4797:                             ;   in Loop: Header=BB6_3875 Depth=3
	s_andn2_saveexec_b64 s[28:29], s[30:31]
; %bb.4798:                             ;   in Loop: Header=BB6_3875 Depth=3
	v_or_b32_sdwa v27, v6, s81 dst_sel:DWORD dst_unused:UNUSED_PAD src0_sel:BYTE_3 src1_sel:DWORD
; %bb.4799:                             ;   in Loop: Header=BB6_3875 Depth=3
	s_or_b64 exec, exec, s[28:29]
	v_lshrrev_b16_e32 v6, 8, v0
	v_cmp_ne_u16_e32 vcc, 0, v6
	v_mov_b32_e32 v7, 0
	v_mov_b32_e32 v20, 0
	s_and_saveexec_b64 s[28:29], vcc
	s_cbranch_execz .LBB6_4805
; %bb.4800:                             ;   in Loop: Header=BB6_3875 Depth=3
	v_cmp_ne_u16_e32 vcc, s80, v6
	v_bfrev_b32_e32 v20, 1
	s_and_saveexec_b64 s[30:31], vcc
	s_cbranch_execz .LBB6_4804
; %bb.4801:                             ;   in Loop: Header=BB6_3875 Depth=3
	v_and_b32_e32 v22, 0x7f, v6
	v_cmp_ne_u32_e32 vcc, s81, v22
	v_mov_b32_e32 v20, 0x7f800001
	s_and_saveexec_b64 s[34:35], vcc
	s_cbranch_execz .LBB6_4803
; %bb.4802:                             ;   in Loop: Header=BB6_3875 Depth=3
	v_and_b32_e32 v20, 7, v6
	v_lshrrev_b32_e32 v24, 3, v22
	v_cmp_gt_u32_e32 vcc, 8, v22
	v_ffbh_u32_e32 v22, v20
	v_min_u32_e32 v25, 32, v22
	v_subrev_u32_e32 v22, 28, v25
	v_lshlrev_b64 v[22:23], v22, v[6:7]
	v_sub_u32_e32 v6, 29, v25
	v_and_b32_e32 v22, 7, v22
	v_cndmask_b32_e32 v6, v24, v6, vcc
	v_cndmask_b32_e32 v20, v20, v22, vcc
	v_lshlrev_b32_e32 v22, 16, v0
	v_bfrev_b32_e32 v23, 60
	v_lshlrev_b32_e32 v20, 20, v20
	v_and_b32_e32 v22, 0x80000000, v22
	v_lshl_add_u32 v6, v6, 23, v23
	v_or3_b32 v20, v22, v6, v20
.LBB6_4803:                             ;   in Loop: Header=BB6_3875 Depth=3
	s_or_b64 exec, exec, s[34:35]
.LBB6_4804:                             ;   in Loop: Header=BB6_3875 Depth=3
	s_or_b64 exec, exec, s[30:31]
.LBB6_4805:                             ;   in Loop: Header=BB6_3875 Depth=3
	s_or_b64 exec, exec, s[28:29]
	v_lshrrev_b16_e32 v6, 8, v16
	v_cmp_ne_u16_e32 vcc, 0, v6
	s_and_saveexec_b64 s[28:29], vcc
	s_cbranch_execz .LBB6_4811
; %bb.4806:                             ;   in Loop: Header=BB6_3875 Depth=3
	v_cmp_ne_u16_e32 vcc, s80, v6
	v_bfrev_b32_e32 v7, 1
	s_and_saveexec_b64 s[30:31], vcc
	s_cbranch_execz .LBB6_4810
; %bb.4807:                             ;   in Loop: Header=BB6_3875 Depth=3
	v_and_b32_e32 v22, 0x7f, v6
	v_cmp_ne_u32_e32 vcc, s81, v22
	v_mov_b32_e32 v7, 0x7f800001
	s_and_saveexec_b64 s[34:35], vcc
	s_cbranch_execz .LBB6_4809
; %bb.4808:                             ;   in Loop: Header=BB6_3875 Depth=3
	v_and_b32_e32 v23, 7, v6
	v_ffbh_u32_e32 v7, v23
	v_lshrrev_b32_e32 v24, 3, v22
	v_cmp_gt_u32_e32 vcc, 8, v22
	v_min_u32_e32 v22, 32, v7
	v_subrev_u32_e32 v7, 28, v22
	v_lshlrev_b64 v[6:7], v7, v[6:7]
	v_sub_u32_e32 v7, 29, v22
	v_and_b32_e32 v6, 7, v6
	v_cndmask_b32_e32 v7, v24, v7, vcc
	v_cndmask_b32_e32 v6, v23, v6, vcc
	v_lshlrev_b32_e32 v22, 16, v16
	v_bfrev_b32_e32 v23, 60
	v_lshlrev_b32_e32 v6, 20, v6
	v_and_b32_e32 v22, 0x80000000, v22
	v_lshl_add_u32 v7, v7, 23, v23
	v_or3_b32 v7, v22, v7, v6
.LBB6_4809:                             ;   in Loop: Header=BB6_3875 Depth=3
	s_or_b64 exec, exec, s[34:35]
.LBB6_4810:                             ;   in Loop: Header=BB6_3875 Depth=3
	s_or_b64 exec, exec, s[30:31]
.LBB6_4811:                             ;   in Loop: Header=BB6_3875 Depth=3
	s_or_b64 exec, exec, s[28:29]
	v_mul_f32_e32 v6, v20, v7
	v_and_b32_e32 v20, 0x7f800000, v6
	v_cmp_ne_u64_e32 vcc, s[62:63], v[20:21]
                                        ; implicit-def: $vgpr34
	s_and_saveexec_b64 s[28:29], vcc
	s_xor_b64 s[30:31], exec, s[28:29]
	s_cbranch_execz .LBB6_4825
; %bb.4812:                             ;   in Loop: Header=BB6_3875 Depth=3
	v_and_b32_e32 v20, 0x7fffffff, v6
	v_cmp_gt_u64_e32 vcc, s[78:79], v[20:21]
	v_and_b32_sdwa v28, v6, s80 dst_sel:DWORD dst_unused:UNUSED_PAD src0_sel:BYTE_3 src1_sel:DWORD
                                        ; implicit-def: $vgpr34
	s_and_saveexec_b64 s[28:29], vcc
	s_xor_b64 s[34:35], exec, s[28:29]
	s_cbranch_execz .LBB6_4822
; %bb.4813:                             ;   in Loop: Header=BB6_3875 Depth=3
	v_mov_b32_e32 v34, 0
	v_cmp_ne_u32_e32 vcc, 0, v6
	s_and_saveexec_b64 s[36:37], vcc
	s_cbranch_execz .LBB6_4821
; %bb.4814:                             ;   in Loop: Header=BB6_3875 Depth=3
	v_bfe_u32 v30, v6, 23, 8
	v_and_b32_e32 v7, 0x7fffff, v6
	v_cmp_gt_u32_e64 s[28:29], s47, v30
	v_sub_u32_e32 v6, 0x79, v30
	v_cmp_eq_u32_e32 vcc, 0, v30
	v_cndmask_b32_e64 v6, 0, v6, s[28:29]
	v_mov_b32_e32 v22, 0x78
	v_cndmask_b32_e32 v34, v6, v22, vcc
	v_or_b32_e32 v20, 0x800000, v7
	v_add_u32_e32 v6, 20, v34
	v_cndmask_b32_e32 v20, v20, v7, vcc
	v_lshlrev_b64 v[6:7], v6, -1
	v_add_u32_e32 v22, 19, v34
	v_lshlrev_b64 v[22:23], v22, 1
	v_bfi_b32 v7, v7, 0, 0
	v_bfi_b32 v6, v6, 0, v20
	v_cmp_eq_u64_e64 s[28:29], v[6:7], v[22:23]
	v_lshrrev_b64 v[6:7], v34, v[20:21]
	v_mov_b32_e32 v23, v7
	v_mov_b32_e32 v22, v6
	s_and_saveexec_b64 s[38:39], s[28:29]
; %bb.4815:                             ;   in Loop: Header=BB6_3875 Depth=3
	v_bfe_u32 v7, v6, 20, 1
	v_add_co_u32_e64 v7, s[28:29], v6, v7
	v_add_co_u32_e64 v22, s[28:29], -1, v7
; %bb.4816:                             ;   in Loop: Header=BB6_3875 Depth=3
	s_or_b64 exec, exec, s[38:39]
	v_add_u32_e32 v7, 0xffffff81, v30
	v_mov_b32_e32 v20, 0xffffff82
	v_cndmask_b32_e32 v7, v7, v20, vcc
	v_lshrrev_b32_e32 v20, 23, v6
	v_add3_u32 v29, v34, v7, v20
	v_add_u32_e32 v23, 6, v29
	v_and_b32_e32 v7, 0xfffff, v22
	v_add_u32_e32 v20, v7, v6
	v_cmp_ne_u32_e32 vcc, 0, v23
                                        ; implicit-def: $vgpr6_vgpr7
                                        ; implicit-def: $vgpr22
	s_and_saveexec_b64 s[28:29], vcc
	s_xor_b64 s[28:29], exec, s[28:29]
; %bb.4817:                             ;   in Loop: Header=BB6_3875 Depth=3
	v_cmp_lt_u64_e32 vcc, s[88:89], v[20:21]
	v_add_u32_e32 v6, 7, v29
	v_cndmask_b32_e32 v22, v23, v6, vcc
	v_cndmask_b32_e64 v6, 0, 1, vcc
	v_lshrrev_b64 v[6:7], v6, v[20:21]
; %bb.4818:                             ;   in Loop: Header=BB6_3875 Depth=3
	s_andn2_saveexec_b64 s[28:29], s[28:29]
; %bb.4819:                             ;   in Loop: Header=BB6_3875 Depth=3
	v_mov_b32_e32 v6, v20
	v_bfe_u32 v22, v20, 23, 1
	v_mov_b32_e32 v7, v21
; %bb.4820:                             ;   in Loop: Header=BB6_3875 Depth=3
	s_or_b64 exec, exec, s[28:29]
	v_lshrrev_b64 v[6:7], 20, v[6:7]
	v_cmp_gt_i32_e32 vcc, 16, v22
	v_cndmask_b32_e32 v7, 0, v7, vcc
	v_cndmask_b32_e32 v6, 7, v6, vcc
	v_cmp_eq_u64_e64 s[28:29], 0, v[6:7]
	v_min_i32_e32 v7, 15, v22
	v_lshlrev_b32_e32 v7, 3, v7
	v_cmp_eq_u32_e32 vcc, 0, v22
	v_and_b32_e32 v7, 0xf8, v7
	v_and_or_b32 v6, v6, 7, v7
	s_and_b64 s[28:29], vcc, s[28:29]
	v_cndmask_b32_e64 v6, v6, 0, s[28:29]
	v_or_b32_e32 v34, v6, v28
.LBB6_4821:                             ;   in Loop: Header=BB6_3875 Depth=3
	s_or_b64 exec, exec, s[36:37]
                                        ; implicit-def: $vgpr28
.LBB6_4822:                             ;   in Loop: Header=BB6_3875 Depth=3
	s_andn2_saveexec_b64 s[28:29], s[34:35]
; %bb.4823:                             ;   in Loop: Header=BB6_3875 Depth=3
	v_or_b32_e32 v34, 0x7e, v28
; %bb.4824:                             ;   in Loop: Header=BB6_3875 Depth=3
	s_or_b64 exec, exec, s[28:29]
                                        ; implicit-def: $vgpr6
.LBB6_4825:                             ;   in Loop: Header=BB6_3875 Depth=3
	s_andn2_saveexec_b64 s[28:29], s[30:31]
; %bb.4826:                             ;   in Loop: Header=BB6_3875 Depth=3
	v_or_b32_sdwa v34, v6, s81 dst_sel:DWORD dst_unused:UNUSED_PAD src0_sel:BYTE_3 src1_sel:DWORD
; %bb.4827:                             ;   in Loop: Header=BB6_3875 Depth=3
	s_or_b64 exec, exec, s[28:29]
	v_lshrrev_b32_e32 v6, 16, v0
	v_cmp_ne_u16_sdwa vcc, v6, v21 src0_sel:BYTE_0 src1_sel:DWORD
	v_mov_b32_e32 v7, 0
	v_mov_b32_e32 v20, 0
	s_and_saveexec_b64 s[28:29], vcc
	s_cbranch_execz .LBB6_4833
; %bb.4828:                             ;   in Loop: Header=BB6_3875 Depth=3
	v_cmp_ne_u16_sdwa vcc, v6, s80 src0_sel:BYTE_0 src1_sel:DWORD
	v_bfrev_b32_e32 v20, 1
	s_and_saveexec_b64 s[30:31], vcc
	s_cbranch_execz .LBB6_4832
; %bb.4829:                             ;   in Loop: Header=BB6_3875 Depth=3
	v_bfe_u32 v22, v0, 16, 7
	v_cmp_ne_u32_e32 vcc, s81, v22
	v_mov_b32_e32 v20, 0x7f800001
	s_and_saveexec_b64 s[34:35], vcc
	s_cbranch_execz .LBB6_4831
; %bb.4830:                             ;   in Loop: Header=BB6_3875 Depth=3
	v_and_b32_e32 v20, 7, v6
	v_lshrrev_b32_e32 v24, 3, v22
	v_cmp_gt_u32_e32 vcc, 8, v22
	v_ffbh_u32_e32 v22, v20
	v_min_u32_e32 v25, 32, v22
	v_subrev_u32_e32 v22, 28, v25
	v_lshlrev_b64 v[22:23], v22, v[6:7]
	v_sub_u32_e32 v23, 29, v25
	v_and_b32_e32 v22, 7, v22
	v_cndmask_b32_e32 v23, v24, v23, vcc
	v_cndmask_b32_e32 v20, v20, v22, vcc
	v_lshlrev_b32_e32 v6, 24, v6
	v_bfrev_b32_e32 v22, 60
	v_lshlrev_b32_e32 v20, 20, v20
	v_and_b32_e32 v6, 0x80000000, v6
	v_lshl_add_u32 v22, v23, 23, v22
	v_or3_b32 v20, v6, v22, v20
.LBB6_4831:                             ;   in Loop: Header=BB6_3875 Depth=3
	s_or_b64 exec, exec, s[34:35]
.LBB6_4832:                             ;   in Loop: Header=BB6_3875 Depth=3
	s_or_b64 exec, exec, s[30:31]
.LBB6_4833:                             ;   in Loop: Header=BB6_3875 Depth=3
	s_or_b64 exec, exec, s[28:29]
	v_lshrrev_b32_e32 v6, 16, v16
	v_cmp_ne_u16_sdwa vcc, v6, v21 src0_sel:BYTE_0 src1_sel:DWORD
	s_and_saveexec_b64 s[28:29], vcc
	s_cbranch_execz .LBB6_4839
; %bb.4834:                             ;   in Loop: Header=BB6_3875 Depth=3
	v_cmp_ne_u16_sdwa vcc, v6, s80 src0_sel:BYTE_0 src1_sel:DWORD
	v_bfrev_b32_e32 v7, 1
	s_and_saveexec_b64 s[30:31], vcc
	s_cbranch_execz .LBB6_4838
; %bb.4835:                             ;   in Loop: Header=BB6_3875 Depth=3
	v_bfe_u32 v22, v16, 16, 7
	v_cmp_ne_u32_e32 vcc, s81, v22
	v_mov_b32_e32 v7, 0x7f800001
	s_and_saveexec_b64 s[34:35], vcc
	s_cbranch_execz .LBB6_4837
; %bb.4836:                             ;   in Loop: Header=BB6_3875 Depth=3
	v_and_b32_e32 v23, 7, v6
	v_ffbh_u32_e32 v7, v23
	v_lshrrev_b32_e32 v24, 3, v22
	v_cmp_gt_u32_e32 vcc, 8, v22
	v_min_u32_e32 v22, 32, v7
	v_subrev_u32_e32 v7, 28, v22
	v_lshlrev_b64 v[6:7], v7, v[6:7]
	v_sub_u32_e32 v7, 29, v22
	v_and_b32_e32 v6, 7, v6
	v_cndmask_b32_e32 v7, v24, v7, vcc
	v_cndmask_b32_e32 v6, v23, v6, vcc
	v_lshlrev_b32_e32 v22, 8, v16
	v_bfrev_b32_e32 v23, 60
	v_lshlrev_b32_e32 v6, 20, v6
	v_and_b32_e32 v22, 0x80000000, v22
	v_lshl_add_u32 v7, v7, 23, v23
	v_or3_b32 v7, v22, v7, v6
.LBB6_4837:                             ;   in Loop: Header=BB6_3875 Depth=3
	s_or_b64 exec, exec, s[34:35]
.LBB6_4838:                             ;   in Loop: Header=BB6_3875 Depth=3
	s_or_b64 exec, exec, s[30:31]
.LBB6_4839:                             ;   in Loop: Header=BB6_3875 Depth=3
	s_or_b64 exec, exec, s[28:29]
	v_mul_f32_e32 v6, v20, v7
	v_and_b32_e32 v20, 0x7f800000, v6
	v_cmp_ne_u64_e32 vcc, s[62:63], v[20:21]
                                        ; implicit-def: $vgpr35
	s_and_saveexec_b64 s[28:29], vcc
	s_xor_b64 s[30:31], exec, s[28:29]
	s_cbranch_execz .LBB6_4853
; %bb.4840:                             ;   in Loop: Header=BB6_3875 Depth=3
	v_and_b32_e32 v20, 0x7fffffff, v6
	v_cmp_gt_u64_e32 vcc, s[78:79], v[20:21]
	v_and_b32_sdwa v28, v6, s80 dst_sel:DWORD dst_unused:UNUSED_PAD src0_sel:BYTE_3 src1_sel:DWORD
                                        ; implicit-def: $vgpr35
	s_and_saveexec_b64 s[28:29], vcc
	s_xor_b64 s[34:35], exec, s[28:29]
	s_cbranch_execz .LBB6_4850
; %bb.4841:                             ;   in Loop: Header=BB6_3875 Depth=3
	v_mov_b32_e32 v35, 0
	v_cmp_ne_u32_e32 vcc, 0, v6
	s_and_saveexec_b64 s[36:37], vcc
	s_cbranch_execz .LBB6_4849
; %bb.4842:                             ;   in Loop: Header=BB6_3875 Depth=3
	v_bfe_u32 v30, v6, 23, 8
	v_and_b32_e32 v7, 0x7fffff, v6
	v_cmp_gt_u32_e64 s[28:29], s47, v30
	v_sub_u32_e32 v6, 0x79, v30
	v_cmp_eq_u32_e32 vcc, 0, v30
	v_cndmask_b32_e64 v6, 0, v6, s[28:29]
	v_mov_b32_e32 v22, 0x78
	v_cndmask_b32_e32 v35, v6, v22, vcc
	v_or_b32_e32 v20, 0x800000, v7
	v_add_u32_e32 v6, 20, v35
	v_cndmask_b32_e32 v20, v20, v7, vcc
	v_lshlrev_b64 v[6:7], v6, -1
	v_add_u32_e32 v22, 19, v35
	v_lshlrev_b64 v[22:23], v22, 1
	v_bfi_b32 v7, v7, 0, 0
	v_bfi_b32 v6, v6, 0, v20
	v_cmp_eq_u64_e64 s[28:29], v[6:7], v[22:23]
	v_lshrrev_b64 v[6:7], v35, v[20:21]
	v_mov_b32_e32 v23, v7
	v_mov_b32_e32 v22, v6
	s_and_saveexec_b64 s[38:39], s[28:29]
; %bb.4843:                             ;   in Loop: Header=BB6_3875 Depth=3
	v_bfe_u32 v7, v6, 20, 1
	v_add_co_u32_e64 v7, s[28:29], v6, v7
	v_add_co_u32_e64 v22, s[28:29], -1, v7
; %bb.4844:                             ;   in Loop: Header=BB6_3875 Depth=3
	s_or_b64 exec, exec, s[38:39]
	v_add_u32_e32 v7, 0xffffff81, v30
	v_mov_b32_e32 v20, 0xffffff82
	v_cndmask_b32_e32 v7, v7, v20, vcc
	v_lshrrev_b32_e32 v20, 23, v6
	v_add3_u32 v29, v35, v7, v20
	v_add_u32_e32 v23, 6, v29
	v_and_b32_e32 v7, 0xfffff, v22
	v_add_u32_e32 v20, v7, v6
	v_cmp_ne_u32_e32 vcc, 0, v23
                                        ; implicit-def: $vgpr6_vgpr7
                                        ; implicit-def: $vgpr22
	s_and_saveexec_b64 s[28:29], vcc
	s_xor_b64 s[28:29], exec, s[28:29]
; %bb.4845:                             ;   in Loop: Header=BB6_3875 Depth=3
	v_cmp_lt_u64_e32 vcc, s[88:89], v[20:21]
	v_add_u32_e32 v6, 7, v29
	v_cndmask_b32_e32 v22, v23, v6, vcc
	v_cndmask_b32_e64 v6, 0, 1, vcc
	v_lshrrev_b64 v[6:7], v6, v[20:21]
; %bb.4846:                             ;   in Loop: Header=BB6_3875 Depth=3
	s_andn2_saveexec_b64 s[28:29], s[28:29]
; %bb.4847:                             ;   in Loop: Header=BB6_3875 Depth=3
	v_mov_b32_e32 v6, v20
	v_bfe_u32 v22, v20, 23, 1
	v_mov_b32_e32 v7, v21
; %bb.4848:                             ;   in Loop: Header=BB6_3875 Depth=3
	s_or_b64 exec, exec, s[28:29]
	v_lshrrev_b64 v[6:7], 20, v[6:7]
	v_cmp_gt_i32_e32 vcc, 16, v22
	v_cndmask_b32_e32 v7, 0, v7, vcc
	v_cndmask_b32_e32 v6, 7, v6, vcc
	v_cmp_eq_u64_e64 s[28:29], 0, v[6:7]
	v_min_i32_e32 v7, 15, v22
	v_lshlrev_b32_e32 v7, 3, v7
	v_cmp_eq_u32_e32 vcc, 0, v22
	v_and_b32_e32 v7, 0xf8, v7
	v_and_or_b32 v6, v6, 7, v7
	s_and_b64 s[28:29], vcc, s[28:29]
	v_cndmask_b32_e64 v6, v6, 0, s[28:29]
	v_or_b32_e32 v35, v6, v28
.LBB6_4849:                             ;   in Loop: Header=BB6_3875 Depth=3
	s_or_b64 exec, exec, s[36:37]
                                        ; implicit-def: $vgpr28
.LBB6_4850:                             ;   in Loop: Header=BB6_3875 Depth=3
	s_andn2_saveexec_b64 s[28:29], s[34:35]
; %bb.4851:                             ;   in Loop: Header=BB6_3875 Depth=3
	v_or_b32_e32 v35, 0x7e, v28
; %bb.4852:                             ;   in Loop: Header=BB6_3875 Depth=3
	s_or_b64 exec, exec, s[28:29]
                                        ; implicit-def: $vgpr6
.LBB6_4853:                             ;   in Loop: Header=BB6_3875 Depth=3
	s_andn2_saveexec_b64 s[28:29], s[30:31]
; %bb.4854:                             ;   in Loop: Header=BB6_3875 Depth=3
	v_or_b32_sdwa v35, v6, s81 dst_sel:DWORD dst_unused:UNUSED_PAD src0_sel:BYTE_3 src1_sel:DWORD
; %bb.4855:                             ;   in Loop: Header=BB6_3875 Depth=3
	s_or_b64 exec, exec, s[28:29]
	v_cmp_lt_u32_e32 vcc, s57, v0
	v_mov_b32_e32 v7, 0
	v_mov_b32_e32 v20, 0
	s_and_saveexec_b64 s[28:29], vcc
	s_cbranch_execz .LBB6_4861
; %bb.4856:                             ;   in Loop: Header=BB6_3875 Depth=3
	v_lshrrev_b32_e32 v6, 24, v0
	v_cmp_ne_u32_e32 vcc, s80, v6
	v_bfrev_b32_e32 v20, 1
	s_and_saveexec_b64 s[30:31], vcc
	s_cbranch_execz .LBB6_4860
; %bb.4857:                             ;   in Loop: Header=BB6_3875 Depth=3
	v_bfe_u32 v22, v0, 24, 7
	v_cmp_ne_u32_e32 vcc, s81, v22
	v_mov_b32_e32 v20, 0x7f800001
	s_and_saveexec_b64 s[34:35], vcc
	s_cbranch_execz .LBB6_4859
; %bb.4858:                             ;   in Loop: Header=BB6_3875 Depth=3
	v_and_b32_e32 v20, 7, v6
	v_lshrrev_b32_e32 v24, 3, v22
	v_cmp_gt_u32_e32 vcc, 8, v22
	v_ffbh_u32_e32 v22, v20
	v_min_u32_e32 v25, 32, v22
	v_subrev_u32_e32 v22, 28, v25
	v_lshlrev_b64 v[22:23], v22, v[6:7]
	v_sub_u32_e32 v23, 29, v25
	v_and_b32_e32 v22, 7, v22
	v_cndmask_b32_e32 v23, v24, v23, vcc
	v_cndmask_b32_e32 v20, v20, v22, vcc
	v_lshlrev_b32_e32 v6, 24, v6
	v_bfrev_b32_e32 v22, 60
	v_lshlrev_b32_e32 v20, 20, v20
	v_and_b32_e32 v6, 0x80000000, v6
	v_lshl_add_u32 v22, v23, 23, v22
	v_or3_b32 v20, v6, v22, v20
.LBB6_4859:                             ;   in Loop: Header=BB6_3875 Depth=3
	s_or_b64 exec, exec, s[34:35]
.LBB6_4860:                             ;   in Loop: Header=BB6_3875 Depth=3
	s_or_b64 exec, exec, s[30:31]
.LBB6_4861:                             ;   in Loop: Header=BB6_3875 Depth=3
	s_or_b64 exec, exec, s[28:29]
	v_cmp_lt_u32_e32 vcc, s57, v16
	s_and_saveexec_b64 s[28:29], vcc
	s_cbranch_execz .LBB6_4867
; %bb.4862:                             ;   in Loop: Header=BB6_3875 Depth=3
	v_lshrrev_b32_e32 v6, 24, v16
	v_cmp_ne_u32_e32 vcc, s80, v6
	v_bfrev_b32_e32 v7, 1
	s_and_saveexec_b64 s[30:31], vcc
	s_cbranch_execz .LBB6_4866
; %bb.4863:                             ;   in Loop: Header=BB6_3875 Depth=3
	v_bfe_u32 v22, v16, 24, 7
	v_cmp_ne_u32_e32 vcc, s81, v22
	v_mov_b32_e32 v7, 0x7f800001
	s_and_saveexec_b64 s[34:35], vcc
	s_cbranch_execz .LBB6_4865
; %bb.4864:                             ;   in Loop: Header=BB6_3875 Depth=3
	v_and_b32_e32 v7, 7, v6
	v_lshrrev_b32_e32 v24, 3, v22
	v_cmp_gt_u32_e32 vcc, 8, v22
	v_ffbh_u32_e32 v22, v7
	v_min_u32_e32 v25, 32, v22
	v_subrev_u32_e32 v22, 28, v25
	v_lshlrev_b64 v[22:23], v22, v[6:7]
	v_sub_u32_e32 v23, 29, v25
	v_and_b32_e32 v22, 7, v22
	v_cndmask_b32_e32 v23, v24, v23, vcc
	v_cndmask_b32_e32 v7, v7, v22, vcc
	v_lshlrev_b32_e32 v6, 24, v6
	v_bfrev_b32_e32 v22, 60
	v_lshlrev_b32_e32 v7, 20, v7
	v_and_b32_e32 v6, 0x80000000, v6
	v_lshl_add_u32 v22, v23, 23, v22
	v_or3_b32 v7, v6, v22, v7
.LBB6_4865:                             ;   in Loop: Header=BB6_3875 Depth=3
	s_or_b64 exec, exec, s[34:35]
.LBB6_4866:                             ;   in Loop: Header=BB6_3875 Depth=3
	s_or_b64 exec, exec, s[30:31]
.LBB6_4867:                             ;   in Loop: Header=BB6_3875 Depth=3
	s_or_b64 exec, exec, s[28:29]
	v_mul_f32_e32 v6, v20, v7
	v_and_b32_e32 v20, 0x7f800000, v6
	v_cmp_ne_u64_e32 vcc, s[62:63], v[20:21]
                                        ; implicit-def: $vgpr43
	s_and_saveexec_b64 s[28:29], vcc
	s_xor_b64 s[30:31], exec, s[28:29]
	s_cbranch_execz .LBB6_4881
; %bb.4868:                             ;   in Loop: Header=BB6_3875 Depth=3
	v_and_b32_e32 v20, 0x7fffffff, v6
	v_cmp_gt_u64_e32 vcc, s[78:79], v[20:21]
	v_and_b32_sdwa v28, v6, s80 dst_sel:DWORD dst_unused:UNUSED_PAD src0_sel:BYTE_3 src1_sel:DWORD
                                        ; implicit-def: $vgpr43
	s_and_saveexec_b64 s[28:29], vcc
	s_xor_b64 s[34:35], exec, s[28:29]
	s_cbranch_execz .LBB6_4878
; %bb.4869:                             ;   in Loop: Header=BB6_3875 Depth=3
	v_mov_b32_e32 v43, 0
	v_cmp_ne_u32_e32 vcc, 0, v6
	s_and_saveexec_b64 s[36:37], vcc
	s_cbranch_execz .LBB6_4877
; %bb.4870:                             ;   in Loop: Header=BB6_3875 Depth=3
	v_bfe_u32 v30, v6, 23, 8
	v_and_b32_e32 v7, 0x7fffff, v6
	v_cmp_gt_u32_e64 s[28:29], s47, v30
	v_sub_u32_e32 v6, 0x79, v30
	v_cmp_eq_u32_e32 vcc, 0, v30
	v_cndmask_b32_e64 v6, 0, v6, s[28:29]
	v_mov_b32_e32 v22, 0x78
	v_cndmask_b32_e32 v36, v6, v22, vcc
	v_or_b32_e32 v20, 0x800000, v7
	v_add_u32_e32 v6, 20, v36
	v_cndmask_b32_e32 v20, v20, v7, vcc
	v_lshlrev_b64 v[6:7], v6, -1
	v_add_u32_e32 v22, 19, v36
	v_lshlrev_b64 v[22:23], v22, 1
	v_bfi_b32 v7, v7, 0, 0
	v_bfi_b32 v6, v6, 0, v20
	v_cmp_eq_u64_e64 s[28:29], v[6:7], v[22:23]
	v_lshrrev_b64 v[6:7], v36, v[20:21]
	v_mov_b32_e32 v23, v7
	v_mov_b32_e32 v22, v6
	s_and_saveexec_b64 s[38:39], s[28:29]
; %bb.4871:                             ;   in Loop: Header=BB6_3875 Depth=3
	v_bfe_u32 v7, v6, 20, 1
	v_add_co_u32_e64 v7, s[28:29], v6, v7
	v_add_co_u32_e64 v22, s[28:29], -1, v7
; %bb.4872:                             ;   in Loop: Header=BB6_3875 Depth=3
	s_or_b64 exec, exec, s[38:39]
	v_add_u32_e32 v7, 0xffffff81, v30
	v_mov_b32_e32 v20, 0xffffff82
	v_cndmask_b32_e32 v7, v7, v20, vcc
	v_lshrrev_b32_e32 v20, 23, v6
	v_add3_u32 v29, v36, v7, v20
	v_add_u32_e32 v23, 6, v29
	v_and_b32_e32 v7, 0xfffff, v22
	v_add_u32_e32 v20, v7, v6
	v_cmp_ne_u32_e32 vcc, 0, v23
                                        ; implicit-def: $vgpr6_vgpr7
                                        ; implicit-def: $vgpr22
	s_and_saveexec_b64 s[28:29], vcc
	s_xor_b64 s[28:29], exec, s[28:29]
; %bb.4873:                             ;   in Loop: Header=BB6_3875 Depth=3
	v_cmp_lt_u64_e32 vcc, s[88:89], v[20:21]
	v_add_u32_e32 v6, 7, v29
	v_cndmask_b32_e32 v22, v23, v6, vcc
	v_cndmask_b32_e64 v6, 0, 1, vcc
	v_lshrrev_b64 v[6:7], v6, v[20:21]
; %bb.4874:                             ;   in Loop: Header=BB6_3875 Depth=3
	s_andn2_saveexec_b64 s[28:29], s[28:29]
; %bb.4875:                             ;   in Loop: Header=BB6_3875 Depth=3
	v_mov_b32_e32 v6, v20
	v_bfe_u32 v22, v20, 23, 1
	v_mov_b32_e32 v7, v21
; %bb.4876:                             ;   in Loop: Header=BB6_3875 Depth=3
	s_or_b64 exec, exec, s[28:29]
	v_lshrrev_b64 v[6:7], 20, v[6:7]
	v_cmp_gt_i32_e32 vcc, 16, v22
	v_cndmask_b32_e32 v7, 0, v7, vcc
	v_cndmask_b32_e32 v6, 7, v6, vcc
	v_cmp_eq_u64_e64 s[28:29], 0, v[6:7]
	v_min_i32_e32 v7, 15, v22
	v_lshlrev_b32_e32 v7, 3, v7
	v_cmp_eq_u32_e32 vcc, 0, v22
	v_and_b32_e32 v7, 0xf8, v7
	v_and_or_b32 v6, v6, 7, v7
	s_and_b64 s[28:29], vcc, s[28:29]
	v_cndmask_b32_e64 v6, v6, 0, s[28:29]
	v_or_b32_e32 v43, v6, v28
.LBB6_4877:                             ;   in Loop: Header=BB6_3875 Depth=3
	s_or_b64 exec, exec, s[36:37]
                                        ; implicit-def: $vgpr28
.LBB6_4878:                             ;   in Loop: Header=BB6_3875 Depth=3
	s_andn2_saveexec_b64 s[28:29], s[34:35]
; %bb.4879:                             ;   in Loop: Header=BB6_3875 Depth=3
	v_or_b32_e32 v43, 0x7e, v28
; %bb.4880:                             ;   in Loop: Header=BB6_3875 Depth=3
	s_or_b64 exec, exec, s[28:29]
                                        ; implicit-def: $vgpr6
.LBB6_4881:                             ;   in Loop: Header=BB6_3875 Depth=3
	s_andn2_saveexec_b64 s[28:29], s[30:31]
; %bb.4882:                             ;   in Loop: Header=BB6_3875 Depth=3
	v_or_b32_sdwa v43, v6, s81 dst_sel:DWORD dst_unused:UNUSED_PAD src0_sel:BYTE_3 src1_sel:DWORD
; %bb.4883:                             ;   in Loop: Header=BB6_3875 Depth=3
	s_or_b64 exec, exec, s[28:29]
	v_mov_b32_e32 v20, v1
	v_cmp_ne_u16_sdwa vcc, v1, v21 src0_sel:BYTE_0 src1_sel:DWORD
	v_mov_b32_e32 v7, 0
	v_mov_b32_e32 v6, 0
	s_and_saveexec_b64 s[28:29], vcc
	s_cbranch_execz .LBB6_4889
; %bb.4884:                             ;   in Loop: Header=BB6_3875 Depth=3
	v_cmp_ne_u16_sdwa vcc, v1, s80 src0_sel:BYTE_0 src1_sel:DWORD
	v_bfrev_b32_e32 v6, 1
	s_and_saveexec_b64 s[30:31], vcc
	s_cbranch_execz .LBB6_4888
; %bb.4885:                             ;   in Loop: Header=BB6_3875 Depth=3
	v_and_b32_e32 v22, 0x7f, v1
	v_cmp_ne_u32_e32 vcc, s81, v22
	v_mov_b32_e32 v6, 0x7f800001
	s_and_saveexec_b64 s[34:35], vcc
	s_cbranch_execz .LBB6_4887
; %bb.4886:                             ;   in Loop: Header=BB6_3875 Depth=3
	v_and_b32_e32 v6, 7, v1
	v_ffbh_u32_e32 v6, v6
	v_min_u32_e32 v6, 32, v6
	v_lshrrev_b32_e32 v23, 3, v22
	v_cmp_gt_u32_e32 vcc, 8, v22
	v_subrev_u32_e32 v22, 28, v6
	v_sub_u32_e32 v6, 29, v6
	v_cndmask_b32_e32 v22, 0, v22, vcc
	v_cndmask_b32_e32 v6, v23, v6, vcc
	v_lshlrev_b64 v[22:23], v22, v[20:21]
	v_lshlrev_b32_e32 v23, 24, v20
	v_lshlrev_b32_e32 v22, 20, v22
	v_bfrev_b32_e32 v24, 60
	v_and_b32_e32 v22, 0x700000, v22
	v_and_b32_e32 v23, 0x80000000, v23
	v_lshl_add_u32 v6, v6, 23, v24
	v_or3_b32 v6, v23, v6, v22
.LBB6_4887:                             ;   in Loop: Header=BB6_3875 Depth=3
	s_or_b64 exec, exec, s[34:35]
.LBB6_4888:                             ;   in Loop: Header=BB6_3875 Depth=3
	s_or_b64 exec, exec, s[30:31]
.LBB6_4889:                             ;   in Loop: Header=BB6_3875 Depth=3
	s_or_b64 exec, exec, s[28:29]
	v_cmp_ne_u16_sdwa vcc, v17, v21 src0_sel:BYTE_0 src1_sel:DWORD
	s_and_saveexec_b64 s[28:29], vcc
	s_cbranch_execz .LBB6_4895
; %bb.4890:                             ;   in Loop: Header=BB6_3875 Depth=3
	v_cmp_ne_u16_sdwa vcc, v17, s80 src0_sel:BYTE_0 src1_sel:DWORD
	v_bfrev_b32_e32 v7, 1
	s_and_saveexec_b64 s[30:31], vcc
	s_cbranch_execz .LBB6_4894
; %bb.4891:                             ;   in Loop: Header=BB6_3875 Depth=3
	v_and_b32_e32 v22, 0x7f, v17
	v_cmp_ne_u32_e32 vcc, s81, v22
	v_mov_b32_e32 v7, 0x7f800001
	s_and_saveexec_b64 s[34:35], vcc
	s_cbranch_execz .LBB6_4893
; %bb.4892:                             ;   in Loop: Header=BB6_3875 Depth=3
	v_and_b32_e32 v7, 7, v17
	v_ffbh_u32_e32 v7, v7
	v_min_u32_e32 v7, 32, v7
	v_lshrrev_b32_e32 v23, 3, v22
	v_cmp_gt_u32_e32 vcc, 8, v22
	v_subrev_u32_e32 v22, 28, v7
	v_mov_b32_e32 v28, v17
	v_mov_b32_e32 v29, v21
	v_sub_u32_e32 v7, 29, v7
	v_cndmask_b32_e32 v22, 0, v22, vcc
	v_cndmask_b32_e32 v7, v23, v7, vcc
	v_lshlrev_b64 v[22:23], v22, v[28:29]
	v_lshlrev_b32_e32 v23, 24, v28
	v_lshlrev_b32_e32 v22, 20, v22
	v_bfrev_b32_e32 v24, 60
	v_and_b32_e32 v22, 0x700000, v22
	v_and_b32_e32 v23, 0x80000000, v23
	v_lshl_add_u32 v7, v7, 23, v24
	v_or3_b32 v7, v23, v7, v22
.LBB6_4893:                             ;   in Loop: Header=BB6_3875 Depth=3
	s_or_b64 exec, exec, s[34:35]
.LBB6_4894:                             ;   in Loop: Header=BB6_3875 Depth=3
	s_or_b64 exec, exec, s[30:31]
.LBB6_4895:                             ;   in Loop: Header=BB6_3875 Depth=3
	s_or_b64 exec, exec, s[28:29]
	v_mul_f32_e32 v6, v6, v7
	v_and_b32_e32 v22, 0x7f800000, v6
	v_mov_b32_e32 v23, v21
	v_cmp_ne_u64_e32 vcc, s[62:63], v[22:23]
                                        ; implicit-def: $vgpr56
	s_and_saveexec_b64 s[28:29], vcc
	s_xor_b64 s[30:31], exec, s[28:29]
	s_cbranch_execz .LBB6_4909
; %bb.4896:                             ;   in Loop: Header=BB6_3875 Depth=3
	v_and_b32_e32 v22, 0x7fffffff, v6
	v_mov_b32_e32 v23, v21
	v_cmp_gt_u64_e32 vcc, s[78:79], v[22:23]
	v_and_b32_sdwa v28, v6, s80 dst_sel:DWORD dst_unused:UNUSED_PAD src0_sel:BYTE_3 src1_sel:DWORD
                                        ; implicit-def: $vgpr56
	s_and_saveexec_b64 s[28:29], vcc
	s_xor_b64 s[34:35], exec, s[28:29]
	s_cbranch_execz .LBB6_4906
; %bb.4897:                             ;   in Loop: Header=BB6_3875 Depth=3
	v_mov_b32_e32 v56, 0
	v_cmp_ne_u32_e32 vcc, 0, v6
	s_and_saveexec_b64 s[36:37], vcc
	s_cbranch_execz .LBB6_4905
; %bb.4898:                             ;   in Loop: Header=BB6_3875 Depth=3
	v_bfe_u32 v30, v6, 23, 8
	v_and_b32_e32 v7, 0x7fffff, v6
	v_cmp_gt_u32_e64 s[28:29], s47, v30
	v_sub_u32_e32 v6, 0x79, v30
	v_cmp_eq_u32_e32 vcc, 0, v30
	v_cndmask_b32_e64 v6, 0, v6, s[28:29]
	v_mov_b32_e32 v23, 0x78
	v_or_b32_e32 v22, 0x800000, v7
	v_cndmask_b32_e32 v36, v6, v23, vcc
	v_cndmask_b32_e32 v6, v22, v7, vcc
	v_add_u32_e32 v22, 20, v36
	v_lshlrev_b64 v[22:23], v22, -1
	v_mov_b32_e32 v7, v21
	v_add_u32_e32 v24, 19, v36
	v_bfi_b32 v22, v22, 0, v6
	v_lshlrev_b64 v[37:38], v24, 1
	v_lshrrev_b64 v[6:7], v36, v[6:7]
	v_bfi_b32 v23, v23, 0, 0
	v_cmp_eq_u64_e64 s[28:29], v[22:23], v[37:38]
	v_mov_b32_e32 v23, v7
	v_mov_b32_e32 v22, v6
	s_and_saveexec_b64 s[38:39], s[28:29]
; %bb.4899:                             ;   in Loop: Header=BB6_3875 Depth=3
	v_bfe_u32 v7, v6, 20, 1
	v_add_co_u32_e64 v7, s[28:29], v6, v7
	v_add_co_u32_e64 v22, s[28:29], -1, v7
; %bb.4900:                             ;   in Loop: Header=BB6_3875 Depth=3
	s_or_b64 exec, exec, s[38:39]
	v_add_u32_e32 v7, 0xffffff81, v30
	v_mov_b32_e32 v23, 0xffffff82
	v_cndmask_b32_e32 v7, v7, v23, vcc
	v_lshrrev_b32_e32 v23, 23, v6
	v_add3_u32 v29, v36, v7, v23
	v_add_u32_e32 v23, 6, v29
	v_and_b32_e32 v7, 0xfffff, v22
	v_add_u32_e32 v6, v7, v6
	v_mov_b32_e32 v7, v21
	v_cmp_ne_u32_e32 vcc, 0, v23
                                        ; implicit-def: $vgpr22
	s_and_saveexec_b64 s[28:29], vcc
	s_xor_b64 s[28:29], exec, s[28:29]
; %bb.4901:                             ;   in Loop: Header=BB6_3875 Depth=3
	v_cmp_lt_u64_e32 vcc, s[88:89], v[6:7]
	v_add_u32_e32 v22, 7, v29
	v_cndmask_b32_e32 v22, v23, v22, vcc
	v_cndmask_b32_e64 v23, 0, 1, vcc
	v_lshrrev_b64 v[6:7], v23, v[6:7]
; %bb.4902:                             ;   in Loop: Header=BB6_3875 Depth=3
	s_andn2_saveexec_b64 s[28:29], s[28:29]
; %bb.4903:                             ;   in Loop: Header=BB6_3875 Depth=3
	v_bfe_u32 v22, v6, 23, 1
; %bb.4904:                             ;   in Loop: Header=BB6_3875 Depth=3
	s_or_b64 exec, exec, s[28:29]
	v_lshrrev_b64 v[6:7], 20, v[6:7]
	v_cmp_gt_i32_e32 vcc, 16, v22
	v_cndmask_b32_e32 v7, 0, v7, vcc
	v_cndmask_b32_e32 v6, 7, v6, vcc
	v_cmp_eq_u64_e64 s[28:29], 0, v[6:7]
	v_min_i32_e32 v7, 15, v22
	v_lshlrev_b32_e32 v7, 3, v7
	v_cmp_eq_u32_e32 vcc, 0, v22
	v_and_b32_e32 v7, 0xf8, v7
	v_and_or_b32 v6, v6, 7, v7
	s_and_b64 s[28:29], vcc, s[28:29]
	v_cndmask_b32_e64 v6, v6, 0, s[28:29]
	v_or_b32_e32 v56, v6, v28
.LBB6_4905:                             ;   in Loop: Header=BB6_3875 Depth=3
	s_or_b64 exec, exec, s[36:37]
                                        ; implicit-def: $vgpr28
.LBB6_4906:                             ;   in Loop: Header=BB6_3875 Depth=3
	s_andn2_saveexec_b64 s[28:29], s[34:35]
; %bb.4907:                             ;   in Loop: Header=BB6_3875 Depth=3
	v_or_b32_e32 v56, 0x7e, v28
; %bb.4908:                             ;   in Loop: Header=BB6_3875 Depth=3
	s_or_b64 exec, exec, s[28:29]
                                        ; implicit-def: $vgpr6
.LBB6_4909:                             ;   in Loop: Header=BB6_3875 Depth=3
	s_andn2_saveexec_b64 s[28:29], s[30:31]
; %bb.4910:                             ;   in Loop: Header=BB6_3875 Depth=3
	v_or_b32_sdwa v56, v6, s81 dst_sel:DWORD dst_unused:UNUSED_PAD src0_sel:BYTE_3 src1_sel:DWORD
; %bb.4911:                             ;   in Loop: Header=BB6_3875 Depth=3
	s_or_b64 exec, exec, s[28:29]
	v_lshrrev_b16_e32 v6, 8, v20
	v_cmp_ne_u16_e32 vcc, 0, v6
	v_mov_b32_e32 v7, 0
	v_mov_b32_e32 v22, 0
	s_and_saveexec_b64 s[28:29], vcc
	s_cbranch_execz .LBB6_4917
; %bb.4912:                             ;   in Loop: Header=BB6_3875 Depth=3
	v_cmp_ne_u16_e32 vcc, s80, v6
	v_bfrev_b32_e32 v22, 1
	s_and_saveexec_b64 s[30:31], vcc
	s_cbranch_execz .LBB6_4916
; %bb.4913:                             ;   in Loop: Header=BB6_3875 Depth=3
	v_and_b32_e32 v23, 0x7f, v6
	v_cmp_ne_u32_e32 vcc, s81, v23
	v_mov_b32_e32 v22, 0x7f800001
	s_and_saveexec_b64 s[34:35], vcc
	s_cbranch_execz .LBB6_4915
; %bb.4914:                             ;   in Loop: Header=BB6_3875 Depth=3
	v_and_b32_e32 v24, 7, v6
	v_ffbh_u32_e32 v22, v24
	v_min_u32_e32 v28, 32, v22
	v_subrev_u32_e32 v22, 28, v28
	v_lshrrev_b32_e32 v25, 3, v23
	v_cmp_gt_u32_e32 vcc, 8, v23
	v_lshlrev_b64 v[22:23], v22, v[6:7]
	v_sub_u32_e32 v6, 29, v28
	v_and_b32_e32 v22, 7, v22
	v_cndmask_b32_e32 v6, v25, v6, vcc
	v_cndmask_b32_e32 v22, v24, v22, vcc
	v_lshlrev_b32_e32 v20, 16, v20
	v_bfrev_b32_e32 v23, 60
	v_lshlrev_b32_e32 v22, 20, v22
	v_and_b32_e32 v20, 0x80000000, v20
	v_lshl_add_u32 v6, v6, 23, v23
	v_or3_b32 v22, v20, v6, v22
.LBB6_4915:                             ;   in Loop: Header=BB6_3875 Depth=3
	s_or_b64 exec, exec, s[34:35]
.LBB6_4916:                             ;   in Loop: Header=BB6_3875 Depth=3
	s_or_b64 exec, exec, s[30:31]
.LBB6_4917:                             ;   in Loop: Header=BB6_3875 Depth=3
	s_or_b64 exec, exec, s[28:29]
	v_lshrrev_b16_e32 v6, 8, v17
	v_cmp_ne_u16_e32 vcc, 0, v6
	s_and_saveexec_b64 s[28:29], vcc
	s_cbranch_execz .LBB6_4923
; %bb.4918:                             ;   in Loop: Header=BB6_3875 Depth=3
	v_cmp_ne_u16_e32 vcc, s80, v6
	v_bfrev_b32_e32 v7, 1
	s_and_saveexec_b64 s[30:31], vcc
	s_cbranch_execz .LBB6_4922
; %bb.4919:                             ;   in Loop: Header=BB6_3875 Depth=3
	v_and_b32_e32 v20, 0x7f, v6
	v_cmp_ne_u32_e32 vcc, s81, v20
	v_mov_b32_e32 v7, 0x7f800001
	s_and_saveexec_b64 s[34:35], vcc
	s_cbranch_execz .LBB6_4921
; %bb.4920:                             ;   in Loop: Header=BB6_3875 Depth=3
	v_and_b32_e32 v23, 7, v6
	v_ffbh_u32_e32 v7, v23
	v_lshrrev_b32_e32 v24, 3, v20
	v_cmp_gt_u32_e32 vcc, 8, v20
	v_min_u32_e32 v20, 32, v7
	v_subrev_u32_e32 v7, 28, v20
	v_lshlrev_b64 v[6:7], v7, v[6:7]
	v_sub_u32_e32 v7, 29, v20
	v_and_b32_e32 v6, 7, v6
	v_cndmask_b32_e32 v7, v24, v7, vcc
	v_cndmask_b32_e32 v6, v23, v6, vcc
	v_lshlrev_b32_e32 v20, 16, v17
	v_bfrev_b32_e32 v23, 60
	v_lshlrev_b32_e32 v6, 20, v6
	v_and_b32_e32 v20, 0x80000000, v20
	v_lshl_add_u32 v7, v7, 23, v23
	v_or3_b32 v7, v20, v7, v6
.LBB6_4921:                             ;   in Loop: Header=BB6_3875 Depth=3
	s_or_b64 exec, exec, s[34:35]
.LBB6_4922:                             ;   in Loop: Header=BB6_3875 Depth=3
	s_or_b64 exec, exec, s[30:31]
.LBB6_4923:                             ;   in Loop: Header=BB6_3875 Depth=3
	s_or_b64 exec, exec, s[28:29]
	v_mul_f32_e32 v6, v22, v7
	v_and_b32_e32 v20, 0x7f800000, v6
	v_cmp_ne_u64_e32 vcc, s[62:63], v[20:21]
                                        ; implicit-def: $vgpr40
	s_and_saveexec_b64 s[28:29], vcc
	s_xor_b64 s[30:31], exec, s[28:29]
	s_cbranch_execz .LBB6_4937
; %bb.4924:                             ;   in Loop: Header=BB6_3875 Depth=3
	v_and_b32_e32 v20, 0x7fffffff, v6
	v_cmp_gt_u64_e32 vcc, s[78:79], v[20:21]
	v_and_b32_sdwa v28, v6, s80 dst_sel:DWORD dst_unused:UNUSED_PAD src0_sel:BYTE_3 src1_sel:DWORD
                                        ; implicit-def: $vgpr40
	s_and_saveexec_b64 s[28:29], vcc
	s_xor_b64 s[34:35], exec, s[28:29]
	s_cbranch_execz .LBB6_4934
; %bb.4925:                             ;   in Loop: Header=BB6_3875 Depth=3
	v_mov_b32_e32 v40, 0
	v_cmp_ne_u32_e32 vcc, 0, v6
	s_and_saveexec_b64 s[36:37], vcc
	s_cbranch_execz .LBB6_4933
; %bb.4926:                             ;   in Loop: Header=BB6_3875 Depth=3
	v_bfe_u32 v30, v6, 23, 8
	v_and_b32_e32 v7, 0x7fffff, v6
	v_cmp_gt_u32_e64 s[28:29], s47, v30
	v_sub_u32_e32 v6, 0x79, v30
	v_cmp_eq_u32_e32 vcc, 0, v30
	v_cndmask_b32_e64 v6, 0, v6, s[28:29]
	v_mov_b32_e32 v22, 0x78
	v_cndmask_b32_e32 v36, v6, v22, vcc
	v_or_b32_e32 v20, 0x800000, v7
	v_add_u32_e32 v6, 20, v36
	v_cndmask_b32_e32 v20, v20, v7, vcc
	v_lshlrev_b64 v[6:7], v6, -1
	v_add_u32_e32 v22, 19, v36
	v_lshlrev_b64 v[22:23], v22, 1
	v_bfi_b32 v7, v7, 0, 0
	v_bfi_b32 v6, v6, 0, v20
	v_cmp_eq_u64_e64 s[28:29], v[6:7], v[22:23]
	v_lshrrev_b64 v[6:7], v36, v[20:21]
	v_mov_b32_e32 v23, v7
	v_mov_b32_e32 v22, v6
	s_and_saveexec_b64 s[38:39], s[28:29]
; %bb.4927:                             ;   in Loop: Header=BB6_3875 Depth=3
	v_bfe_u32 v7, v6, 20, 1
	v_add_co_u32_e64 v7, s[28:29], v6, v7
	v_add_co_u32_e64 v22, s[28:29], -1, v7
; %bb.4928:                             ;   in Loop: Header=BB6_3875 Depth=3
	s_or_b64 exec, exec, s[38:39]
	v_add_u32_e32 v7, 0xffffff81, v30
	v_mov_b32_e32 v20, 0xffffff82
	v_cndmask_b32_e32 v7, v7, v20, vcc
	v_lshrrev_b32_e32 v20, 23, v6
	v_add3_u32 v29, v36, v7, v20
	v_add_u32_e32 v23, 6, v29
	v_and_b32_e32 v7, 0xfffff, v22
	v_add_u32_e32 v20, v7, v6
	v_cmp_ne_u32_e32 vcc, 0, v23
                                        ; implicit-def: $vgpr6_vgpr7
                                        ; implicit-def: $vgpr22
	s_and_saveexec_b64 s[28:29], vcc
	s_xor_b64 s[28:29], exec, s[28:29]
; %bb.4929:                             ;   in Loop: Header=BB6_3875 Depth=3
	v_cmp_lt_u64_e32 vcc, s[88:89], v[20:21]
	v_add_u32_e32 v6, 7, v29
	v_cndmask_b32_e32 v22, v23, v6, vcc
	v_cndmask_b32_e64 v6, 0, 1, vcc
	v_lshrrev_b64 v[6:7], v6, v[20:21]
; %bb.4930:                             ;   in Loop: Header=BB6_3875 Depth=3
	s_andn2_saveexec_b64 s[28:29], s[28:29]
; %bb.4931:                             ;   in Loop: Header=BB6_3875 Depth=3
	v_mov_b32_e32 v6, v20
	v_bfe_u32 v22, v20, 23, 1
	v_mov_b32_e32 v7, v21
; %bb.4932:                             ;   in Loop: Header=BB6_3875 Depth=3
	s_or_b64 exec, exec, s[28:29]
	v_lshrrev_b64 v[6:7], 20, v[6:7]
	v_cmp_gt_i32_e32 vcc, 16, v22
	v_cndmask_b32_e32 v7, 0, v7, vcc
	v_cndmask_b32_e32 v6, 7, v6, vcc
	v_cmp_eq_u64_e64 s[28:29], 0, v[6:7]
	v_min_i32_e32 v7, 15, v22
	v_lshlrev_b32_e32 v7, 3, v7
	v_cmp_eq_u32_e32 vcc, 0, v22
	v_and_b32_e32 v7, 0xf8, v7
	v_and_or_b32 v6, v6, 7, v7
	s_and_b64 s[28:29], vcc, s[28:29]
	v_cndmask_b32_e64 v6, v6, 0, s[28:29]
	v_or_b32_e32 v40, v6, v28
.LBB6_4933:                             ;   in Loop: Header=BB6_3875 Depth=3
	s_or_b64 exec, exec, s[36:37]
                                        ; implicit-def: $vgpr28
.LBB6_4934:                             ;   in Loop: Header=BB6_3875 Depth=3
	s_andn2_saveexec_b64 s[28:29], s[34:35]
; %bb.4935:                             ;   in Loop: Header=BB6_3875 Depth=3
	v_or_b32_e32 v40, 0x7e, v28
; %bb.4936:                             ;   in Loop: Header=BB6_3875 Depth=3
	s_or_b64 exec, exec, s[28:29]
                                        ; implicit-def: $vgpr6
.LBB6_4937:                             ;   in Loop: Header=BB6_3875 Depth=3
	s_andn2_saveexec_b64 s[28:29], s[30:31]
; %bb.4938:                             ;   in Loop: Header=BB6_3875 Depth=3
	v_or_b32_sdwa v40, v6, s81 dst_sel:DWORD dst_unused:UNUSED_PAD src0_sel:BYTE_3 src1_sel:DWORD
; %bb.4939:                             ;   in Loop: Header=BB6_3875 Depth=3
	s_or_b64 exec, exec, s[28:29]
	v_lshrrev_b32_e32 v6, 16, v1
	v_cmp_ne_u16_sdwa vcc, v6, v21 src0_sel:BYTE_0 src1_sel:DWORD
	v_mov_b32_e32 v7, 0
	v_mov_b32_e32 v20, 0
	s_and_saveexec_b64 s[28:29], vcc
	s_cbranch_execz .LBB6_4945
; %bb.4940:                             ;   in Loop: Header=BB6_3875 Depth=3
	v_cmp_ne_u16_sdwa vcc, v6, s80 src0_sel:BYTE_0 src1_sel:DWORD
	v_bfrev_b32_e32 v20, 1
	s_and_saveexec_b64 s[30:31], vcc
	s_cbranch_execz .LBB6_4944
; %bb.4941:                             ;   in Loop: Header=BB6_3875 Depth=3
	v_bfe_u32 v22, v1, 16, 7
	v_cmp_ne_u32_e32 vcc, s81, v22
	v_mov_b32_e32 v20, 0x7f800001
	s_and_saveexec_b64 s[34:35], vcc
	s_cbranch_execz .LBB6_4943
; %bb.4942:                             ;   in Loop: Header=BB6_3875 Depth=3
	v_and_b32_e32 v20, 7, v6
	v_lshrrev_b32_e32 v24, 3, v22
	v_cmp_gt_u32_e32 vcc, 8, v22
	v_ffbh_u32_e32 v22, v20
	v_min_u32_e32 v25, 32, v22
	v_subrev_u32_e32 v22, 28, v25
	v_lshlrev_b64 v[22:23], v22, v[6:7]
	v_sub_u32_e32 v23, 29, v25
	v_and_b32_e32 v22, 7, v22
	v_cndmask_b32_e32 v23, v24, v23, vcc
	v_cndmask_b32_e32 v20, v20, v22, vcc
	v_lshlrev_b32_e32 v6, 24, v6
	v_bfrev_b32_e32 v22, 60
	v_lshlrev_b32_e32 v20, 20, v20
	v_and_b32_e32 v6, 0x80000000, v6
	v_lshl_add_u32 v22, v23, 23, v22
	v_or3_b32 v20, v6, v22, v20
.LBB6_4943:                             ;   in Loop: Header=BB6_3875 Depth=3
	s_or_b64 exec, exec, s[34:35]
.LBB6_4944:                             ;   in Loop: Header=BB6_3875 Depth=3
	s_or_b64 exec, exec, s[30:31]
.LBB6_4945:                             ;   in Loop: Header=BB6_3875 Depth=3
	s_or_b64 exec, exec, s[28:29]
	v_lshrrev_b32_e32 v6, 16, v17
	v_cmp_ne_u16_sdwa vcc, v6, v21 src0_sel:BYTE_0 src1_sel:DWORD
	s_and_saveexec_b64 s[28:29], vcc
	s_cbranch_execz .LBB6_4951
; %bb.4946:                             ;   in Loop: Header=BB6_3875 Depth=3
	v_cmp_ne_u16_sdwa vcc, v6, s80 src0_sel:BYTE_0 src1_sel:DWORD
	v_bfrev_b32_e32 v7, 1
	s_and_saveexec_b64 s[30:31], vcc
	s_cbranch_execz .LBB6_4950
; %bb.4947:                             ;   in Loop: Header=BB6_3875 Depth=3
	v_bfe_u32 v22, v17, 16, 7
	v_cmp_ne_u32_e32 vcc, s81, v22
	v_mov_b32_e32 v7, 0x7f800001
	s_and_saveexec_b64 s[34:35], vcc
	s_cbranch_execz .LBB6_4949
; %bb.4948:                             ;   in Loop: Header=BB6_3875 Depth=3
	v_and_b32_e32 v23, 7, v6
	v_ffbh_u32_e32 v7, v23
	v_lshrrev_b32_e32 v24, 3, v22
	v_cmp_gt_u32_e32 vcc, 8, v22
	v_min_u32_e32 v22, 32, v7
	v_subrev_u32_e32 v7, 28, v22
	v_lshlrev_b64 v[6:7], v7, v[6:7]
	v_sub_u32_e32 v7, 29, v22
	v_and_b32_e32 v6, 7, v6
	v_cndmask_b32_e32 v7, v24, v7, vcc
	v_cndmask_b32_e32 v6, v23, v6, vcc
	v_lshlrev_b32_e32 v22, 8, v17
	v_bfrev_b32_e32 v23, 60
	v_lshlrev_b32_e32 v6, 20, v6
	v_and_b32_e32 v22, 0x80000000, v22
	v_lshl_add_u32 v7, v7, 23, v23
	v_or3_b32 v7, v22, v7, v6
.LBB6_4949:                             ;   in Loop: Header=BB6_3875 Depth=3
	s_or_b64 exec, exec, s[34:35]
.LBB6_4950:                             ;   in Loop: Header=BB6_3875 Depth=3
	s_or_b64 exec, exec, s[30:31]
.LBB6_4951:                             ;   in Loop: Header=BB6_3875 Depth=3
	s_or_b64 exec, exec, s[28:29]
	v_mul_f32_e32 v6, v20, v7
	v_and_b32_e32 v20, 0x7f800000, v6
	v_cmp_ne_u64_e32 vcc, s[62:63], v[20:21]
                                        ; implicit-def: $vgpr22
	s_and_saveexec_b64 s[28:29], vcc
	s_xor_b64 s[30:31], exec, s[28:29]
	s_cbranch_execz .LBB6_4965
; %bb.4952:                             ;   in Loop: Header=BB6_3875 Depth=3
	v_and_b32_e32 v20, 0x7fffffff, v6
	v_cmp_gt_u64_e32 vcc, s[78:79], v[20:21]
	v_and_b32_sdwa v28, v6, s80 dst_sel:DWORD dst_unused:UNUSED_PAD src0_sel:BYTE_3 src1_sel:DWORD
                                        ; implicit-def: $vgpr22
	s_and_saveexec_b64 s[28:29], vcc
	s_xor_b64 s[34:35], exec, s[28:29]
	s_cbranch_execz .LBB6_4962
; %bb.4953:                             ;   in Loop: Header=BB6_3875 Depth=3
	v_mov_b32_e32 v22, 0
	v_cmp_ne_u32_e32 vcc, 0, v6
	s_and_saveexec_b64 s[36:37], vcc
	s_cbranch_execz .LBB6_4961
; %bb.4954:                             ;   in Loop: Header=BB6_3875 Depth=3
	v_bfe_u32 v30, v6, 23, 8
	v_and_b32_e32 v7, 0x7fffff, v6
	v_cmp_gt_u32_e64 s[28:29], s47, v30
	v_sub_u32_e32 v6, 0x79, v30
	v_cmp_eq_u32_e32 vcc, 0, v30
	v_cndmask_b32_e64 v6, 0, v6, s[28:29]
	v_mov_b32_e32 v22, 0x78
	v_cndmask_b32_e32 v36, v6, v22, vcc
	v_or_b32_e32 v20, 0x800000, v7
	v_add_u32_e32 v6, 20, v36
	v_cndmask_b32_e32 v20, v20, v7, vcc
	v_lshlrev_b64 v[6:7], v6, -1
	v_add_u32_e32 v22, 19, v36
	v_lshlrev_b64 v[22:23], v22, 1
	v_bfi_b32 v7, v7, 0, 0
	v_bfi_b32 v6, v6, 0, v20
	v_cmp_eq_u64_e64 s[28:29], v[6:7], v[22:23]
	v_lshrrev_b64 v[6:7], v36, v[20:21]
	v_mov_b32_e32 v23, v7
	v_mov_b32_e32 v22, v6
	s_and_saveexec_b64 s[38:39], s[28:29]
; %bb.4955:                             ;   in Loop: Header=BB6_3875 Depth=3
	v_bfe_u32 v7, v6, 20, 1
	v_add_co_u32_e64 v7, s[28:29], v6, v7
	v_add_co_u32_e64 v22, s[28:29], -1, v7
; %bb.4956:                             ;   in Loop: Header=BB6_3875 Depth=3
	s_or_b64 exec, exec, s[38:39]
	v_add_u32_e32 v7, 0xffffff81, v30
	v_mov_b32_e32 v20, 0xffffff82
	v_cndmask_b32_e32 v7, v7, v20, vcc
	v_lshrrev_b32_e32 v20, 23, v6
	v_add3_u32 v29, v36, v7, v20
	v_add_u32_e32 v23, 6, v29
	v_and_b32_e32 v7, 0xfffff, v22
	v_add_u32_e32 v20, v7, v6
	v_cmp_ne_u32_e32 vcc, 0, v23
                                        ; implicit-def: $vgpr6_vgpr7
                                        ; implicit-def: $vgpr22
	s_and_saveexec_b64 s[28:29], vcc
	s_xor_b64 s[28:29], exec, s[28:29]
; %bb.4957:                             ;   in Loop: Header=BB6_3875 Depth=3
	v_cmp_lt_u64_e32 vcc, s[88:89], v[20:21]
	v_add_u32_e32 v6, 7, v29
	v_cndmask_b32_e32 v22, v23, v6, vcc
	v_cndmask_b32_e64 v6, 0, 1, vcc
	v_lshrrev_b64 v[6:7], v6, v[20:21]
; %bb.4958:                             ;   in Loop: Header=BB6_3875 Depth=3
	s_andn2_saveexec_b64 s[28:29], s[28:29]
; %bb.4959:                             ;   in Loop: Header=BB6_3875 Depth=3
	v_mov_b32_e32 v6, v20
	v_bfe_u32 v22, v20, 23, 1
	v_mov_b32_e32 v7, v21
; %bb.4960:                             ;   in Loop: Header=BB6_3875 Depth=3
	s_or_b64 exec, exec, s[28:29]
	v_lshrrev_b64 v[6:7], 20, v[6:7]
	v_cmp_gt_i32_e32 vcc, 16, v22
	v_cndmask_b32_e32 v7, 0, v7, vcc
	v_cndmask_b32_e32 v6, 7, v6, vcc
	v_cmp_eq_u64_e64 s[28:29], 0, v[6:7]
	v_min_i32_e32 v7, 15, v22
	v_lshlrev_b32_e32 v7, 3, v7
	v_cmp_eq_u32_e32 vcc, 0, v22
	v_and_b32_e32 v7, 0xf8, v7
	v_and_or_b32 v6, v6, 7, v7
	s_and_b64 s[28:29], vcc, s[28:29]
	v_cndmask_b32_e64 v6, v6, 0, s[28:29]
	v_or_b32_e32 v22, v6, v28
.LBB6_4961:                             ;   in Loop: Header=BB6_3875 Depth=3
	s_or_b64 exec, exec, s[36:37]
                                        ; implicit-def: $vgpr28
.LBB6_4962:                             ;   in Loop: Header=BB6_3875 Depth=3
	s_andn2_saveexec_b64 s[28:29], s[34:35]
; %bb.4963:                             ;   in Loop: Header=BB6_3875 Depth=3
	v_or_b32_e32 v22, 0x7e, v28
; %bb.4964:                             ;   in Loop: Header=BB6_3875 Depth=3
	s_or_b64 exec, exec, s[28:29]
                                        ; implicit-def: $vgpr6
.LBB6_4965:                             ;   in Loop: Header=BB6_3875 Depth=3
	s_andn2_saveexec_b64 s[28:29], s[30:31]
; %bb.4966:                             ;   in Loop: Header=BB6_3875 Depth=3
	v_or_b32_sdwa v22, v6, s81 dst_sel:DWORD dst_unused:UNUSED_PAD src0_sel:BYTE_3 src1_sel:DWORD
; %bb.4967:                             ;   in Loop: Header=BB6_3875 Depth=3
	s_or_b64 exec, exec, s[28:29]
	v_cmp_lt_u64_e32 vcc, s[56:57], v[0:1]
	v_mov_b32_e32 v6, 0
	v_mov_b32_e32 v7, 0
	s_and_saveexec_b64 s[28:29], vcc
	s_cbranch_execz .LBB6_4973
; %bb.4968:                             ;   in Loop: Header=BB6_3875 Depth=3
	v_lshrrev_b32_e32 v0, 24, v1
	v_cmp_ne_u32_e32 vcc, s80, v0
	v_bfrev_b32_e32 v7, 1
	s_and_saveexec_b64 s[30:31], vcc
	s_cbranch_execz .LBB6_4972
; %bb.4969:                             ;   in Loop: Header=BB6_3875 Depth=3
	v_bfe_u32 v1, v1, 24, 7
	v_cmp_ne_u32_e32 vcc, s81, v1
	v_mov_b32_e32 v7, 0x7f800001
	s_and_saveexec_b64 s[34:35], vcc
	s_cbranch_execz .LBB6_4971
; %bb.4970:                             ;   in Loop: Header=BB6_3875 Depth=3
	v_and_b32_e32 v7, 7, v0
	v_lshrrev_b32_e32 v20, 3, v1
	v_cmp_gt_u32_e32 vcc, 8, v1
	v_ffbh_u32_e32 v1, v7
	v_min_u32_e32 v1, 32, v1
	v_subrev_u32_e32 v23, 28, v1
	v_lshlrev_b64 v[28:29], v23, v[0:1]
	v_sub_u32_e32 v1, 29, v1
	v_and_b32_e32 v23, 7, v28
	v_cndmask_b32_e32 v1, v20, v1, vcc
	v_cndmask_b32_e32 v7, v7, v23, vcc
	v_lshlrev_b32_e32 v0, 24, v0
	v_bfrev_b32_e32 v20, 60
	v_lshlrev_b32_e32 v7, 20, v7
	v_and_b32_e32 v0, 0x80000000, v0
	v_lshl_add_u32 v1, v1, 23, v20
	v_or3_b32 v7, v0, v1, v7
.LBB6_4971:                             ;   in Loop: Header=BB6_3875 Depth=3
	s_or_b64 exec, exec, s[34:35]
.LBB6_4972:                             ;   in Loop: Header=BB6_3875 Depth=3
	s_or_b64 exec, exec, s[30:31]
.LBB6_4973:                             ;   in Loop: Header=BB6_3875 Depth=3
	s_or_b64 exec, exec, s[28:29]
	v_cmp_lt_u64_e32 vcc, s[56:57], v[16:17]
	s_and_saveexec_b64 s[28:29], vcc
	s_cbranch_execz .LBB6_4979
; %bb.4974:                             ;   in Loop: Header=BB6_3875 Depth=3
	v_lshrrev_b32_e32 v0, 24, v17
	v_cmp_ne_u32_e32 vcc, s80, v0
	v_bfrev_b32_e32 v6, 1
	s_and_saveexec_b64 s[30:31], vcc
	s_cbranch_execz .LBB6_4978
; %bb.4975:                             ;   in Loop: Header=BB6_3875 Depth=3
	v_bfe_u32 v1, v17, 24, 7
	v_cmp_ne_u32_e32 vcc, s81, v1
	v_mov_b32_e32 v6, 0x7f800001
	s_and_saveexec_b64 s[34:35], vcc
	s_cbranch_execz .LBB6_4977
; %bb.4976:                             ;   in Loop: Header=BB6_3875 Depth=3
	v_and_b32_e32 v6, 7, v0
	v_lshrrev_b32_e32 v20, 3, v1
	v_cmp_gt_u32_e32 vcc, 8, v1
	v_ffbh_u32_e32 v1, v6
	v_min_u32_e32 v1, 32, v1
	v_subrev_u32_e32 v16, 28, v1
	v_lshlrev_b64 v[16:17], v16, v[0:1]
	v_sub_u32_e32 v1, 29, v1
	v_and_b32_e32 v16, 7, v16
	v_cndmask_b32_e32 v1, v20, v1, vcc
	v_cndmask_b32_e32 v6, v6, v16, vcc
	v_lshlrev_b32_e32 v0, 24, v0
	v_bfrev_b32_e32 v16, 60
	v_lshlrev_b32_e32 v6, 20, v6
	v_and_b32_e32 v0, 0x80000000, v0
	v_lshl_add_u32 v1, v1, 23, v16
	v_or3_b32 v6, v0, v1, v6
.LBB6_4977:                             ;   in Loop: Header=BB6_3875 Depth=3
	s_or_b64 exec, exec, s[34:35]
.LBB6_4978:                             ;   in Loop: Header=BB6_3875 Depth=3
	s_or_b64 exec, exec, s[30:31]
.LBB6_4979:                             ;   in Loop: Header=BB6_3875 Depth=3
	s_or_b64 exec, exec, s[28:29]
	v_mul_f32_e32 v0, v7, v6
	v_and_b32_e32 v20, 0x7f800000, v0
	v_cmp_ne_u64_e32 vcc, s[62:63], v[20:21]
                                        ; implicit-def: $vgpr16
	s_and_saveexec_b64 s[28:29], vcc
	s_xor_b64 s[30:31], exec, s[28:29]
	s_cbranch_execz .LBB6_4993
; %bb.4980:                             ;   in Loop: Header=BB6_3875 Depth=3
	v_and_b32_e32 v20, 0x7fffffff, v0
	v_cmp_gt_u64_e32 vcc, s[78:79], v[20:21]
	v_and_b32_sdwa v17, v0, s80 dst_sel:DWORD dst_unused:UNUSED_PAD src0_sel:BYTE_3 src1_sel:DWORD
                                        ; implicit-def: $vgpr16
	s_and_saveexec_b64 s[28:29], vcc
	s_xor_b64 s[34:35], exec, s[28:29]
	s_cbranch_execz .LBB6_4990
; %bb.4981:                             ;   in Loop: Header=BB6_3875 Depth=3
	v_mov_b32_e32 v16, 0
	v_cmp_ne_u32_e32 vcc, 0, v0
	s_and_saveexec_b64 s[36:37], vcc
	s_cbranch_execz .LBB6_4989
; %bb.4982:                             ;   in Loop: Header=BB6_3875 Depth=3
	v_bfe_u32 v16, v0, 23, 8
	v_and_b32_e32 v1, 0x7fffff, v0
	v_cmp_gt_u32_e64 s[28:29], s47, v16
	v_sub_u32_e32 v0, 0x79, v16
	v_cmp_eq_u32_e32 vcc, 0, v16
	v_cndmask_b32_e64 v0, 0, v0, s[28:29]
	v_mov_b32_e32 v7, 0x78
	v_cndmask_b32_e32 v23, v0, v7, vcc
	v_or_b32_e32 v6, 0x800000, v1
	v_add_u32_e32 v0, 20, v23
	v_cndmask_b32_e32 v20, v6, v1, vcc
	v_lshlrev_b64 v[0:1], v0, -1
	v_add_u32_e32 v6, 19, v23
	v_lshlrev_b64 v[6:7], v6, 1
	v_bfi_b32 v1, v1, 0, 0
	v_bfi_b32 v0, v0, 0, v20
	v_cmp_eq_u64_e64 s[28:29], v[0:1], v[6:7]
	v_lshrrev_b64 v[0:1], v23, v[20:21]
	v_mov_b32_e32 v7, v1
	v_mov_b32_e32 v6, v0
	s_and_saveexec_b64 s[38:39], s[28:29]
; %bb.4983:                             ;   in Loop: Header=BB6_3875 Depth=3
	v_bfe_u32 v1, v0, 20, 1
	v_add_co_u32_e64 v1, s[28:29], v0, v1
	v_add_co_u32_e64 v6, s[28:29], -1, v1
; %bb.4984:                             ;   in Loop: Header=BB6_3875 Depth=3
	s_or_b64 exec, exec, s[38:39]
	v_add_u32_e32 v1, 0xffffff81, v16
	v_mov_b32_e32 v7, 0xffffff82
	v_cndmask_b32_e32 v1, v1, v7, vcc
	v_lshrrev_b32_e32 v7, 23, v0
	v_add3_u32 v16, v23, v1, v7
	v_add_u32_e32 v7, 6, v16
	v_and_b32_e32 v1, 0xfffff, v6
	v_add_u32_e32 v20, v1, v0
	v_cmp_ne_u32_e32 vcc, 0, v7
                                        ; implicit-def: $vgpr0_vgpr1
                                        ; implicit-def: $vgpr6
	s_and_saveexec_b64 s[28:29], vcc
	s_xor_b64 s[28:29], exec, s[28:29]
; %bb.4985:                             ;   in Loop: Header=BB6_3875 Depth=3
	v_cmp_lt_u64_e32 vcc, s[88:89], v[20:21]
	v_add_u32_e32 v0, 7, v16
	v_cndmask_b32_e32 v6, v7, v0, vcc
	v_cndmask_b32_e64 v0, 0, 1, vcc
	v_lshrrev_b64 v[0:1], v0, v[20:21]
; %bb.4986:                             ;   in Loop: Header=BB6_3875 Depth=3
	s_andn2_saveexec_b64 s[28:29], s[28:29]
; %bb.4987:                             ;   in Loop: Header=BB6_3875 Depth=3
	v_mov_b32_e32 v0, v20
	v_bfe_u32 v6, v20, 23, 1
	v_mov_b32_e32 v1, v21
; %bb.4988:                             ;   in Loop: Header=BB6_3875 Depth=3
	s_or_b64 exec, exec, s[28:29]
	v_lshrrev_b64 v[0:1], 20, v[0:1]
	v_cmp_gt_i32_e32 vcc, 16, v6
	v_cndmask_b32_e32 v1, 0, v1, vcc
	v_cndmask_b32_e32 v0, 7, v0, vcc
	v_cmp_eq_u64_e64 s[28:29], 0, v[0:1]
	v_min_i32_e32 v1, 15, v6
	v_lshlrev_b32_e32 v1, 3, v1
	v_cmp_eq_u32_e32 vcc, 0, v6
	v_and_b32_e32 v1, 0xf8, v1
	v_and_or_b32 v0, v0, 7, v1
	s_and_b64 s[28:29], vcc, s[28:29]
	v_cndmask_b32_e64 v0, v0, 0, s[28:29]
	v_or_b32_e32 v16, v0, v17
.LBB6_4989:                             ;   in Loop: Header=BB6_3875 Depth=3
	s_or_b64 exec, exec, s[36:37]
                                        ; implicit-def: $vgpr17
.LBB6_4990:                             ;   in Loop: Header=BB6_3875 Depth=3
	s_andn2_saveexec_b64 s[28:29], s[34:35]
; %bb.4991:                             ;   in Loop: Header=BB6_3875 Depth=3
	v_or_b32_e32 v16, 0x7e, v17
; %bb.4992:                             ;   in Loop: Header=BB6_3875 Depth=3
	s_or_b64 exec, exec, s[28:29]
                                        ; implicit-def: $vgpr0
.LBB6_4993:                             ;   in Loop: Header=BB6_3875 Depth=3
	s_andn2_saveexec_b64 s[28:29], s[30:31]
; %bb.4994:                             ;   in Loop: Header=BB6_3875 Depth=3
	v_or_b32_sdwa v16, v0, s81 dst_sel:DWORD dst_unused:UNUSED_PAD src0_sel:BYTE_3 src1_sel:DWORD
; %bb.4995:                             ;   in Loop: Header=BB6_3875 Depth=3
	s_or_b64 exec, exec, s[28:29]
	v_cmp_ne_u16_sdwa vcc, v2, v21 src0_sel:BYTE_0 src1_sel:DWORD
	v_mov_b32_e32 v0, 0
	v_mov_b32_e32 v1, 0
	s_and_saveexec_b64 s[28:29], vcc
	s_cbranch_execz .LBB6_5001
; %bb.4996:                             ;   in Loop: Header=BB6_3875 Depth=3
	v_cmp_ne_u16_sdwa vcc, v2, s80 src0_sel:BYTE_0 src1_sel:DWORD
	v_bfrev_b32_e32 v1, 1
	s_and_saveexec_b64 s[30:31], vcc
	s_cbranch_execz .LBB6_5000
; %bb.4997:                             ;   in Loop: Header=BB6_3875 Depth=3
	v_and_b32_e32 v6, 0x7f, v2
	v_cmp_ne_u32_e32 vcc, s81, v6
	v_mov_b32_e32 v1, 0x7f800001
	s_and_saveexec_b64 s[34:35], vcc
	s_cbranch_execz .LBB6_4999
; %bb.4998:                             ;   in Loop: Header=BB6_3875 Depth=3
	v_and_b32_e32 v1, 7, v2
	v_ffbh_u32_e32 v1, v1
	v_min_u32_e32 v1, 32, v1
	v_lshrrev_b32_e32 v7, 3, v6
	v_cmp_gt_u32_e32 vcc, 8, v6
	v_subrev_u32_e32 v6, 28, v1
	v_sub_u32_e32 v1, 29, v1
	v_cndmask_b32_e32 v6, 0, v6, vcc
	v_cndmask_b32_e32 v1, v7, v1, vcc
	v_lshlrev_b64 v[6:7], v6, v[2:3]
	v_lshlrev_b32_e32 v7, 24, v2
	v_lshlrev_b32_e32 v6, 20, v6
	v_bfrev_b32_e32 v17, 60
	v_and_b32_e32 v6, 0x700000, v6
	v_and_b32_e32 v7, 0x80000000, v7
	v_lshl_add_u32 v1, v1, 23, v17
	v_or3_b32 v1, v7, v1, v6
.LBB6_4999:                             ;   in Loop: Header=BB6_3875 Depth=3
	s_or_b64 exec, exec, s[34:35]
.LBB6_5000:                             ;   in Loop: Header=BB6_3875 Depth=3
	s_or_b64 exec, exec, s[30:31]
.LBB6_5001:                             ;   in Loop: Header=BB6_3875 Depth=3
	s_or_b64 exec, exec, s[28:29]
	v_cmp_ne_u16_sdwa vcc, v18, v21 src0_sel:BYTE_0 src1_sel:DWORD
	s_and_saveexec_b64 s[28:29], vcc
	s_cbranch_execz .LBB6_5007
; %bb.5002:                             ;   in Loop: Header=BB6_3875 Depth=3
	v_cmp_ne_u16_sdwa vcc, v18, s80 src0_sel:BYTE_0 src1_sel:DWORD
	v_bfrev_b32_e32 v0, 1
	s_and_saveexec_b64 s[30:31], vcc
	s_cbranch_execz .LBB6_5006
; %bb.5003:                             ;   in Loop: Header=BB6_3875 Depth=3
	v_and_b32_e32 v6, 0x7f, v18
	v_cmp_ne_u32_e32 vcc, s81, v6
	v_mov_b32_e32 v0, 0x7f800001
	s_and_saveexec_b64 s[34:35], vcc
	s_cbranch_execz .LBB6_5005
; %bb.5004:                             ;   in Loop: Header=BB6_3875 Depth=3
	v_and_b32_e32 v0, 7, v18
	v_ffbh_u32_e32 v0, v0
	v_min_u32_e32 v0, 32, v0
	v_lshrrev_b32_e32 v7, 3, v6
	v_cmp_gt_u32_e32 vcc, 8, v6
	v_subrev_u32_e32 v6, 28, v0
	v_sub_u32_e32 v0, 29, v0
	v_cndmask_b32_e32 v6, 0, v6, vcc
	v_cndmask_b32_e32 v0, v7, v0, vcc
	v_lshlrev_b64 v[6:7], v6, v[18:19]
	v_lshlrev_b32_e32 v7, 24, v18
	v_lshlrev_b32_e32 v6, 20, v6
	v_bfrev_b32_e32 v17, 60
	v_and_b32_e32 v6, 0x700000, v6
	v_and_b32_e32 v7, 0x80000000, v7
	v_lshl_add_u32 v0, v0, 23, v17
	v_or3_b32 v0, v7, v0, v6
.LBB6_5005:                             ;   in Loop: Header=BB6_3875 Depth=3
	s_or_b64 exec, exec, s[34:35]
.LBB6_5006:                             ;   in Loop: Header=BB6_3875 Depth=3
	s_or_b64 exec, exec, s[30:31]
.LBB6_5007:                             ;   in Loop: Header=BB6_3875 Depth=3
	s_or_b64 exec, exec, s[28:29]
	v_mul_f32_e32 v0, v1, v0
	v_and_b32_e32 v20, 0x7f800000, v0
	v_cmp_ne_u64_e32 vcc, s[62:63], v[20:21]
                                        ; implicit-def: $vgpr17
	s_and_saveexec_b64 s[28:29], vcc
	s_xor_b64 s[30:31], exec, s[28:29]
	s_cbranch_execz .LBB6_5021
; %bb.5008:                             ;   in Loop: Header=BB6_3875 Depth=3
	v_and_b32_e32 v20, 0x7fffffff, v0
	v_cmp_gt_u64_e32 vcc, s[78:79], v[20:21]
	v_and_b32_sdwa v23, v0, s80 dst_sel:DWORD dst_unused:UNUSED_PAD src0_sel:BYTE_3 src1_sel:DWORD
                                        ; implicit-def: $vgpr17
	s_and_saveexec_b64 s[28:29], vcc
	s_xor_b64 s[34:35], exec, s[28:29]
	s_cbranch_execz .LBB6_5018
; %bb.5009:                             ;   in Loop: Header=BB6_3875 Depth=3
	v_mov_b32_e32 v17, 0
	v_cmp_ne_u32_e32 vcc, 0, v0
	s_and_saveexec_b64 s[36:37], vcc
	s_cbranch_execz .LBB6_5017
; %bb.5010:                             ;   in Loop: Header=BB6_3875 Depth=3
	v_bfe_u32 v17, v0, 23, 8
	v_and_b32_e32 v1, 0x7fffff, v0
	v_cmp_gt_u32_e64 s[28:29], s47, v17
	v_sub_u32_e32 v0, 0x79, v17
	v_cmp_eq_u32_e32 vcc, 0, v17
	v_cndmask_b32_e64 v0, 0, v0, s[28:29]
	v_mov_b32_e32 v7, 0x78
	v_cndmask_b32_e32 v28, v0, v7, vcc
	v_or_b32_e32 v6, 0x800000, v1
	v_add_u32_e32 v0, 20, v28
	v_cndmask_b32_e32 v20, v6, v1, vcc
	v_lshlrev_b64 v[0:1], v0, -1
	v_add_u32_e32 v6, 19, v28
	v_lshlrev_b64 v[6:7], v6, 1
	v_bfi_b32 v1, v1, 0, 0
	v_bfi_b32 v0, v0, 0, v20
	v_cmp_eq_u64_e64 s[28:29], v[0:1], v[6:7]
	v_lshrrev_b64 v[0:1], v28, v[20:21]
	v_mov_b32_e32 v7, v1
	v_mov_b32_e32 v6, v0
	s_and_saveexec_b64 s[38:39], s[28:29]
; %bb.5011:                             ;   in Loop: Header=BB6_3875 Depth=3
	v_bfe_u32 v1, v0, 20, 1
	v_add_co_u32_e64 v1, s[28:29], v0, v1
	v_add_co_u32_e64 v6, s[28:29], -1, v1
; %bb.5012:                             ;   in Loop: Header=BB6_3875 Depth=3
	s_or_b64 exec, exec, s[38:39]
	v_add_u32_e32 v1, 0xffffff81, v17
	v_mov_b32_e32 v7, 0xffffff82
	v_cndmask_b32_e32 v1, v1, v7, vcc
	v_lshrrev_b32_e32 v7, 23, v0
	v_add3_u32 v17, v28, v1, v7
	v_add_u32_e32 v7, 6, v17
	v_and_b32_e32 v1, 0xfffff, v6
	v_add_u32_e32 v20, v1, v0
	v_cmp_ne_u32_e32 vcc, 0, v7
                                        ; implicit-def: $vgpr0_vgpr1
                                        ; implicit-def: $vgpr6
	s_and_saveexec_b64 s[28:29], vcc
	s_xor_b64 s[28:29], exec, s[28:29]
; %bb.5013:                             ;   in Loop: Header=BB6_3875 Depth=3
	v_cmp_lt_u64_e32 vcc, s[88:89], v[20:21]
	v_add_u32_e32 v0, 7, v17
	v_cndmask_b32_e32 v6, v7, v0, vcc
	v_cndmask_b32_e64 v0, 0, 1, vcc
	v_lshrrev_b64 v[0:1], v0, v[20:21]
; %bb.5014:                             ;   in Loop: Header=BB6_3875 Depth=3
	s_andn2_saveexec_b64 s[28:29], s[28:29]
; %bb.5015:                             ;   in Loop: Header=BB6_3875 Depth=3
	v_mov_b32_e32 v0, v20
	v_bfe_u32 v6, v20, 23, 1
	v_mov_b32_e32 v1, v21
; %bb.5016:                             ;   in Loop: Header=BB6_3875 Depth=3
	s_or_b64 exec, exec, s[28:29]
	v_lshrrev_b64 v[0:1], 20, v[0:1]
	v_cmp_gt_i32_e32 vcc, 16, v6
	v_cndmask_b32_e32 v1, 0, v1, vcc
	v_cndmask_b32_e32 v0, 7, v0, vcc
	v_cmp_eq_u64_e64 s[28:29], 0, v[0:1]
	v_min_i32_e32 v1, 15, v6
	v_lshlrev_b32_e32 v1, 3, v1
	v_cmp_eq_u32_e32 vcc, 0, v6
	v_and_b32_e32 v1, 0xf8, v1
	v_and_or_b32 v0, v0, 7, v1
	s_and_b64 s[28:29], vcc, s[28:29]
	v_cndmask_b32_e64 v0, v0, 0, s[28:29]
	v_or_b32_e32 v17, v0, v23
.LBB6_5017:                             ;   in Loop: Header=BB6_3875 Depth=3
	s_or_b64 exec, exec, s[36:37]
                                        ; implicit-def: $vgpr23
.LBB6_5018:                             ;   in Loop: Header=BB6_3875 Depth=3
	s_andn2_saveexec_b64 s[28:29], s[34:35]
; %bb.5019:                             ;   in Loop: Header=BB6_3875 Depth=3
	v_or_b32_e32 v17, 0x7e, v23
; %bb.5020:                             ;   in Loop: Header=BB6_3875 Depth=3
	s_or_b64 exec, exec, s[28:29]
                                        ; implicit-def: $vgpr0
.LBB6_5021:                             ;   in Loop: Header=BB6_3875 Depth=3
	s_andn2_saveexec_b64 s[28:29], s[30:31]
; %bb.5022:                             ;   in Loop: Header=BB6_3875 Depth=3
	v_or_b32_sdwa v17, v0, s81 dst_sel:DWORD dst_unused:UNUSED_PAD src0_sel:BYTE_3 src1_sel:DWORD
; %bb.5023:                             ;   in Loop: Header=BB6_3875 Depth=3
	s_or_b64 exec, exec, s[28:29]
	v_lshrrev_b16_e32 v0, 8, v2
	v_cmp_ne_u16_e32 vcc, 0, v0
	v_mov_b32_e32 v1, 0
	v_mov_b32_e32 v6, 0
	s_and_saveexec_b64 s[28:29], vcc
	s_cbranch_execz .LBB6_5029
; %bb.5024:                             ;   in Loop: Header=BB6_3875 Depth=3
	v_cmp_ne_u16_e32 vcc, s80, v0
	v_bfrev_b32_e32 v6, 1
	s_and_saveexec_b64 s[30:31], vcc
	s_cbranch_execz .LBB6_5028
; %bb.5025:                             ;   in Loop: Header=BB6_3875 Depth=3
	v_and_b32_e32 v7, 0x7f, v0
	v_cmp_ne_u32_e32 vcc, s81, v7
	v_mov_b32_e32 v6, 0x7f800001
	s_and_saveexec_b64 s[34:35], vcc
	s_cbranch_execz .LBB6_5027
; %bb.5026:                             ;   in Loop: Header=BB6_3875 Depth=3
	v_and_b32_e32 v20, 7, v0
	v_ffbh_u32_e32 v6, v20
	v_min_u32_e32 v24, 32, v6
	v_subrev_u32_e32 v6, 28, v24
	v_lshrrev_b32_e32 v23, 3, v7
	v_cmp_gt_u32_e32 vcc, 8, v7
	v_lshlrev_b64 v[6:7], v6, v[0:1]
	v_sub_u32_e32 v0, 29, v24
	v_and_b32_e32 v6, 7, v6
	v_cndmask_b32_e32 v0, v23, v0, vcc
	v_cndmask_b32_e32 v6, v20, v6, vcc
	v_lshlrev_b32_e32 v7, 16, v2
	v_bfrev_b32_e32 v20, 60
	v_lshlrev_b32_e32 v6, 20, v6
	v_and_b32_e32 v7, 0x80000000, v7
	v_lshl_add_u32 v0, v0, 23, v20
	v_or3_b32 v6, v7, v0, v6
.LBB6_5027:                             ;   in Loop: Header=BB6_3875 Depth=3
	s_or_b64 exec, exec, s[34:35]
.LBB6_5028:                             ;   in Loop: Header=BB6_3875 Depth=3
	s_or_b64 exec, exec, s[30:31]
.LBB6_5029:                             ;   in Loop: Header=BB6_3875 Depth=3
	s_or_b64 exec, exec, s[28:29]
	v_lshrrev_b16_e32 v0, 8, v18
	v_cmp_ne_u16_e32 vcc, 0, v0
	s_and_saveexec_b64 s[28:29], vcc
	s_cbranch_execz .LBB6_5035
; %bb.5030:                             ;   in Loop: Header=BB6_3875 Depth=3
	v_cmp_ne_u16_e32 vcc, s80, v0
	v_bfrev_b32_e32 v1, 1
	s_and_saveexec_b64 s[30:31], vcc
	s_cbranch_execz .LBB6_5034
; %bb.5031:                             ;   in Loop: Header=BB6_3875 Depth=3
	v_and_b32_e32 v7, 0x7f, v0
	v_cmp_ne_u32_e32 vcc, s81, v7
	v_mov_b32_e32 v1, 0x7f800001
	s_and_saveexec_b64 s[34:35], vcc
	s_cbranch_execz .LBB6_5033
; %bb.5032:                             ;   in Loop: Header=BB6_3875 Depth=3
	v_and_b32_e32 v20, 7, v0
	v_ffbh_u32_e32 v1, v20
	v_lshrrev_b32_e32 v23, 3, v7
	v_cmp_gt_u32_e32 vcc, 8, v7
	v_min_u32_e32 v7, 32, v1
	v_subrev_u32_e32 v1, 28, v7
	v_lshlrev_b64 v[0:1], v1, v[0:1]
	v_sub_u32_e32 v1, 29, v7
	v_and_b32_e32 v0, 7, v0
	v_cndmask_b32_e32 v1, v23, v1, vcc
	v_cndmask_b32_e32 v0, v20, v0, vcc
	v_lshlrev_b32_e32 v7, 16, v18
	v_bfrev_b32_e32 v20, 60
	v_lshlrev_b32_e32 v0, 20, v0
	v_and_b32_e32 v7, 0x80000000, v7
	v_lshl_add_u32 v1, v1, 23, v20
	v_or3_b32 v1, v7, v1, v0
.LBB6_5033:                             ;   in Loop: Header=BB6_3875 Depth=3
	s_or_b64 exec, exec, s[34:35]
.LBB6_5034:                             ;   in Loop: Header=BB6_3875 Depth=3
	s_or_b64 exec, exec, s[30:31]
.LBB6_5035:                             ;   in Loop: Header=BB6_3875 Depth=3
	s_or_b64 exec, exec, s[28:29]
	v_mul_f32_e32 v0, v6, v1
	v_and_b32_e32 v20, 0x7f800000, v0
	v_cmp_ne_u64_e32 vcc, s[62:63], v[20:21]
                                        ; implicit-def: $vgpr23
	s_and_saveexec_b64 s[28:29], vcc
	s_xor_b64 s[30:31], exec, s[28:29]
	s_cbranch_execz .LBB6_5049
; %bb.5036:                             ;   in Loop: Header=BB6_3875 Depth=3
	v_and_b32_e32 v20, 0x7fffffff, v0
	v_cmp_gt_u64_e32 vcc, s[78:79], v[20:21]
	v_and_b32_sdwa v28, v0, s80 dst_sel:DWORD dst_unused:UNUSED_PAD src0_sel:BYTE_3 src1_sel:DWORD
                                        ; implicit-def: $vgpr23
	s_and_saveexec_b64 s[28:29], vcc
	s_xor_b64 s[34:35], exec, s[28:29]
	s_cbranch_execz .LBB6_5046
; %bb.5037:                             ;   in Loop: Header=BB6_3875 Depth=3
	v_mov_b32_e32 v23, 0
	v_cmp_ne_u32_e32 vcc, 0, v0
	s_and_saveexec_b64 s[36:37], vcc
	s_cbranch_execz .LBB6_5045
; %bb.5038:                             ;   in Loop: Header=BB6_3875 Depth=3
	v_bfe_u32 v23, v0, 23, 8
	v_and_b32_e32 v1, 0x7fffff, v0
	v_cmp_gt_u32_e64 s[28:29], s47, v23
	v_sub_u32_e32 v0, 0x79, v23
	v_cmp_eq_u32_e32 vcc, 0, v23
	v_cndmask_b32_e64 v0, 0, v0, s[28:29]
	v_mov_b32_e32 v7, 0x78
	v_cndmask_b32_e32 v30, v0, v7, vcc
	v_or_b32_e32 v6, 0x800000, v1
	v_add_u32_e32 v0, 20, v30
	v_cndmask_b32_e32 v20, v6, v1, vcc
	v_lshlrev_b64 v[0:1], v0, -1
	v_add_u32_e32 v6, 19, v30
	v_lshlrev_b64 v[6:7], v6, 1
	v_bfi_b32 v1, v1, 0, 0
	v_bfi_b32 v0, v0, 0, v20
	v_cmp_eq_u64_e64 s[28:29], v[0:1], v[6:7]
	v_lshrrev_b64 v[0:1], v30, v[20:21]
	v_mov_b32_e32 v7, v1
	v_mov_b32_e32 v6, v0
	s_and_saveexec_b64 s[38:39], s[28:29]
; %bb.5039:                             ;   in Loop: Header=BB6_3875 Depth=3
	v_bfe_u32 v1, v0, 20, 1
	v_add_co_u32_e64 v1, s[28:29], v0, v1
	v_add_co_u32_e64 v6, s[28:29], -1, v1
; %bb.5040:                             ;   in Loop: Header=BB6_3875 Depth=3
	s_or_b64 exec, exec, s[38:39]
	v_add_u32_e32 v1, 0xffffff81, v23
	v_mov_b32_e32 v7, 0xffffff82
	v_cndmask_b32_e32 v1, v1, v7, vcc
	v_lshrrev_b32_e32 v7, 23, v0
	v_add3_u32 v23, v30, v1, v7
	v_add_u32_e32 v7, 6, v23
	v_and_b32_e32 v1, 0xfffff, v6
	v_add_u32_e32 v20, v1, v0
	v_cmp_ne_u32_e32 vcc, 0, v7
                                        ; implicit-def: $vgpr0_vgpr1
                                        ; implicit-def: $vgpr6
	s_and_saveexec_b64 s[28:29], vcc
	s_xor_b64 s[28:29], exec, s[28:29]
; %bb.5041:                             ;   in Loop: Header=BB6_3875 Depth=3
	v_cmp_lt_u64_e32 vcc, s[88:89], v[20:21]
	v_add_u32_e32 v0, 7, v23
	v_cndmask_b32_e32 v6, v7, v0, vcc
	v_cndmask_b32_e64 v0, 0, 1, vcc
	v_lshrrev_b64 v[0:1], v0, v[20:21]
; %bb.5042:                             ;   in Loop: Header=BB6_3875 Depth=3
	s_andn2_saveexec_b64 s[28:29], s[28:29]
; %bb.5043:                             ;   in Loop: Header=BB6_3875 Depth=3
	v_mov_b32_e32 v0, v20
	v_bfe_u32 v6, v20, 23, 1
	v_mov_b32_e32 v1, v21
; %bb.5044:                             ;   in Loop: Header=BB6_3875 Depth=3
	s_or_b64 exec, exec, s[28:29]
	v_lshrrev_b64 v[0:1], 20, v[0:1]
	v_cmp_gt_i32_e32 vcc, 16, v6
	v_cndmask_b32_e32 v1, 0, v1, vcc
	v_cndmask_b32_e32 v0, 7, v0, vcc
	v_cmp_eq_u64_e64 s[28:29], 0, v[0:1]
	v_min_i32_e32 v1, 15, v6
	v_lshlrev_b32_e32 v1, 3, v1
	v_cmp_eq_u32_e32 vcc, 0, v6
	v_and_b32_e32 v1, 0xf8, v1
	v_and_or_b32 v0, v0, 7, v1
	s_and_b64 s[28:29], vcc, s[28:29]
	v_cndmask_b32_e64 v0, v0, 0, s[28:29]
	v_or_b32_e32 v23, v0, v28
.LBB6_5045:                             ;   in Loop: Header=BB6_3875 Depth=3
	s_or_b64 exec, exec, s[36:37]
                                        ; implicit-def: $vgpr28
.LBB6_5046:                             ;   in Loop: Header=BB6_3875 Depth=3
	s_andn2_saveexec_b64 s[28:29], s[34:35]
; %bb.5047:                             ;   in Loop: Header=BB6_3875 Depth=3
	v_or_b32_e32 v23, 0x7e, v28
; %bb.5048:                             ;   in Loop: Header=BB6_3875 Depth=3
	s_or_b64 exec, exec, s[28:29]
                                        ; implicit-def: $vgpr0
.LBB6_5049:                             ;   in Loop: Header=BB6_3875 Depth=3
	s_andn2_saveexec_b64 s[28:29], s[30:31]
; %bb.5050:                             ;   in Loop: Header=BB6_3875 Depth=3
	v_or_b32_sdwa v23, v0, s81 dst_sel:DWORD dst_unused:UNUSED_PAD src0_sel:BYTE_3 src1_sel:DWORD
; %bb.5051:                             ;   in Loop: Header=BB6_3875 Depth=3
	s_or_b64 exec, exec, s[28:29]
	v_lshrrev_b32_e32 v0, 16, v2
	v_cmp_ne_u16_sdwa vcc, v0, v21 src0_sel:BYTE_0 src1_sel:DWORD
	v_mov_b32_e32 v1, 0
	v_mov_b32_e32 v6, 0
	s_and_saveexec_b64 s[28:29], vcc
	s_cbranch_execz .LBB6_5057
; %bb.5052:                             ;   in Loop: Header=BB6_3875 Depth=3
	v_cmp_ne_u16_sdwa vcc, v0, s80 src0_sel:BYTE_0 src1_sel:DWORD
	v_bfrev_b32_e32 v6, 1
	s_and_saveexec_b64 s[30:31], vcc
	s_cbranch_execz .LBB6_5056
; %bb.5053:                             ;   in Loop: Header=BB6_3875 Depth=3
	v_bfe_u32 v7, v2, 16, 7
	v_cmp_ne_u32_e32 vcc, s81, v7
	v_mov_b32_e32 v6, 0x7f800001
	s_and_saveexec_b64 s[34:35], vcc
	s_cbranch_execz .LBB6_5055
; %bb.5054:                             ;   in Loop: Header=BB6_3875 Depth=3
	v_and_b32_e32 v20, 7, v0
	v_ffbh_u32_e32 v6, v20
	v_min_u32_e32 v25, 32, v6
	v_subrev_u32_e32 v6, 28, v25
	v_lshrrev_b32_e32 v24, 3, v7
	v_cmp_gt_u32_e32 vcc, 8, v7
	v_lshlrev_b64 v[6:7], v6, v[0:1]
	v_sub_u32_e32 v7, 29, v25
	v_and_b32_e32 v6, 7, v6
	v_cndmask_b32_e32 v7, v24, v7, vcc
	v_cndmask_b32_e32 v6, v20, v6, vcc
	v_lshlrev_b32_e32 v0, 24, v0
	v_bfrev_b32_e32 v20, 60
	v_lshlrev_b32_e32 v6, 20, v6
	v_and_b32_e32 v0, 0x80000000, v0
	v_lshl_add_u32 v7, v7, 23, v20
	v_or3_b32 v6, v0, v7, v6
.LBB6_5055:                             ;   in Loop: Header=BB6_3875 Depth=3
	s_or_b64 exec, exec, s[34:35]
.LBB6_5056:                             ;   in Loop: Header=BB6_3875 Depth=3
	s_or_b64 exec, exec, s[30:31]
.LBB6_5057:                             ;   in Loop: Header=BB6_3875 Depth=3
	s_or_b64 exec, exec, s[28:29]
	v_lshrrev_b32_e32 v0, 16, v18
	v_cmp_ne_u16_sdwa vcc, v0, v21 src0_sel:BYTE_0 src1_sel:DWORD
	s_and_saveexec_b64 s[28:29], vcc
	s_cbranch_execz .LBB6_5063
; %bb.5058:                             ;   in Loop: Header=BB6_3875 Depth=3
	v_cmp_ne_u16_sdwa vcc, v0, s80 src0_sel:BYTE_0 src1_sel:DWORD
	v_bfrev_b32_e32 v1, 1
	s_and_saveexec_b64 s[30:31], vcc
	s_cbranch_execz .LBB6_5062
; %bb.5059:                             ;   in Loop: Header=BB6_3875 Depth=3
	v_bfe_u32 v7, v18, 16, 7
	v_cmp_ne_u32_e32 vcc, s81, v7
	v_mov_b32_e32 v1, 0x7f800001
	s_and_saveexec_b64 s[34:35], vcc
	s_cbranch_execz .LBB6_5061
; %bb.5060:                             ;   in Loop: Header=BB6_3875 Depth=3
	v_and_b32_e32 v20, 7, v0
	v_ffbh_u32_e32 v1, v20
	v_lshrrev_b32_e32 v24, 3, v7
	v_cmp_gt_u32_e32 vcc, 8, v7
	v_min_u32_e32 v7, 32, v1
	v_subrev_u32_e32 v1, 28, v7
	v_lshlrev_b64 v[0:1], v1, v[0:1]
	v_sub_u32_e32 v1, 29, v7
	v_and_b32_e32 v0, 7, v0
	v_cndmask_b32_e32 v1, v24, v1, vcc
	v_cndmask_b32_e32 v0, v20, v0, vcc
	v_lshlrev_b32_e32 v7, 8, v18
	v_bfrev_b32_e32 v20, 60
	v_lshlrev_b32_e32 v0, 20, v0
	v_and_b32_e32 v7, 0x80000000, v7
	v_lshl_add_u32 v1, v1, 23, v20
	v_or3_b32 v1, v7, v1, v0
.LBB6_5061:                             ;   in Loop: Header=BB6_3875 Depth=3
	s_or_b64 exec, exec, s[34:35]
.LBB6_5062:                             ;   in Loop: Header=BB6_3875 Depth=3
	s_or_b64 exec, exec, s[30:31]
.LBB6_5063:                             ;   in Loop: Header=BB6_3875 Depth=3
	s_or_b64 exec, exec, s[28:29]
	v_mul_f32_e32 v0, v6, v1
	v_and_b32_e32 v20, 0x7f800000, v0
	v_cmp_ne_u64_e32 vcc, s[62:63], v[20:21]
                                        ; implicit-def: $vgpr41
	s_and_saveexec_b64 s[28:29], vcc
	s_xor_b64 s[30:31], exec, s[28:29]
	s_cbranch_execz .LBB6_5077
; %bb.5064:                             ;   in Loop: Header=BB6_3875 Depth=3
	v_and_b32_e32 v20, 0x7fffffff, v0
	v_cmp_gt_u64_e32 vcc, s[78:79], v[20:21]
	v_and_b32_sdwa v28, v0, s80 dst_sel:DWORD dst_unused:UNUSED_PAD src0_sel:BYTE_3 src1_sel:DWORD
                                        ; implicit-def: $vgpr41
	s_and_saveexec_b64 s[28:29], vcc
	s_xor_b64 s[34:35], exec, s[28:29]
	s_cbranch_execz .LBB6_5074
; %bb.5065:                             ;   in Loop: Header=BB6_3875 Depth=3
	v_mov_b32_e32 v41, 0
	v_cmp_ne_u32_e32 vcc, 0, v0
	s_and_saveexec_b64 s[36:37], vcc
	s_cbranch_execz .LBB6_5073
; %bb.5066:                             ;   in Loop: Header=BB6_3875 Depth=3
	v_bfe_u32 v30, v0, 23, 8
	v_and_b32_e32 v1, 0x7fffff, v0
	v_cmp_gt_u32_e64 s[28:29], s47, v30
	v_sub_u32_e32 v0, 0x79, v30
	v_cmp_eq_u32_e32 vcc, 0, v30
	v_cndmask_b32_e64 v0, 0, v0, s[28:29]
	v_mov_b32_e32 v7, 0x78
	v_cndmask_b32_e32 v36, v0, v7, vcc
	v_or_b32_e32 v6, 0x800000, v1
	v_add_u32_e32 v0, 20, v36
	v_cndmask_b32_e32 v20, v6, v1, vcc
	v_lshlrev_b64 v[0:1], v0, -1
	v_add_u32_e32 v6, 19, v36
	v_lshlrev_b64 v[6:7], v6, 1
	v_bfi_b32 v1, v1, 0, 0
	v_bfi_b32 v0, v0, 0, v20
	v_cmp_eq_u64_e64 s[28:29], v[0:1], v[6:7]
	v_lshrrev_b64 v[0:1], v36, v[20:21]
	v_mov_b32_e32 v7, v1
	v_mov_b32_e32 v6, v0
	s_and_saveexec_b64 s[38:39], s[28:29]
; %bb.5067:                             ;   in Loop: Header=BB6_3875 Depth=3
	v_bfe_u32 v1, v0, 20, 1
	v_add_co_u32_e64 v1, s[28:29], v0, v1
	v_add_co_u32_e64 v6, s[28:29], -1, v1
; %bb.5068:                             ;   in Loop: Header=BB6_3875 Depth=3
	s_or_b64 exec, exec, s[38:39]
	v_add_u32_e32 v1, 0xffffff81, v30
	v_mov_b32_e32 v7, 0xffffff82
	v_cndmask_b32_e32 v1, v1, v7, vcc
	v_lshrrev_b32_e32 v7, 23, v0
	v_add3_u32 v29, v36, v1, v7
	v_add_u32_e32 v7, 6, v29
	v_and_b32_e32 v1, 0xfffff, v6
	v_add_u32_e32 v20, v1, v0
	v_cmp_ne_u32_e32 vcc, 0, v7
                                        ; implicit-def: $vgpr0_vgpr1
                                        ; implicit-def: $vgpr6
	s_and_saveexec_b64 s[28:29], vcc
	s_xor_b64 s[28:29], exec, s[28:29]
; %bb.5069:                             ;   in Loop: Header=BB6_3875 Depth=3
	v_cmp_lt_u64_e32 vcc, s[88:89], v[20:21]
	v_add_u32_e32 v0, 7, v29
	v_cndmask_b32_e32 v6, v7, v0, vcc
	v_cndmask_b32_e64 v0, 0, 1, vcc
	v_lshrrev_b64 v[0:1], v0, v[20:21]
; %bb.5070:                             ;   in Loop: Header=BB6_3875 Depth=3
	s_andn2_saveexec_b64 s[28:29], s[28:29]
; %bb.5071:                             ;   in Loop: Header=BB6_3875 Depth=3
	v_mov_b32_e32 v0, v20
	v_bfe_u32 v6, v20, 23, 1
	v_mov_b32_e32 v1, v21
; %bb.5072:                             ;   in Loop: Header=BB6_3875 Depth=3
	s_or_b64 exec, exec, s[28:29]
	v_lshrrev_b64 v[0:1], 20, v[0:1]
	v_cmp_gt_i32_e32 vcc, 16, v6
	v_cndmask_b32_e32 v1, 0, v1, vcc
	v_cndmask_b32_e32 v0, 7, v0, vcc
	v_cmp_eq_u64_e64 s[28:29], 0, v[0:1]
	v_min_i32_e32 v1, 15, v6
	v_lshlrev_b32_e32 v1, 3, v1
	v_cmp_eq_u32_e32 vcc, 0, v6
	v_and_b32_e32 v1, 0xf8, v1
	v_and_or_b32 v0, v0, 7, v1
	s_and_b64 s[28:29], vcc, s[28:29]
	v_cndmask_b32_e64 v0, v0, 0, s[28:29]
	v_or_b32_e32 v41, v0, v28
.LBB6_5073:                             ;   in Loop: Header=BB6_3875 Depth=3
	s_or_b64 exec, exec, s[36:37]
                                        ; implicit-def: $vgpr28
.LBB6_5074:                             ;   in Loop: Header=BB6_3875 Depth=3
	s_andn2_saveexec_b64 s[28:29], s[34:35]
; %bb.5075:                             ;   in Loop: Header=BB6_3875 Depth=3
	v_or_b32_e32 v41, 0x7e, v28
; %bb.5076:                             ;   in Loop: Header=BB6_3875 Depth=3
	s_or_b64 exec, exec, s[28:29]
                                        ; implicit-def: $vgpr0
.LBB6_5077:                             ;   in Loop: Header=BB6_3875 Depth=3
	s_andn2_saveexec_b64 s[28:29], s[30:31]
; %bb.5078:                             ;   in Loop: Header=BB6_3875 Depth=3
	v_or_b32_sdwa v41, v0, s81 dst_sel:DWORD dst_unused:UNUSED_PAD src0_sel:BYTE_3 src1_sel:DWORD
; %bb.5079:                             ;   in Loop: Header=BB6_3875 Depth=3
	s_or_b64 exec, exec, s[28:29]
	v_cmp_lt_u32_e32 vcc, s57, v2
	v_mov_b32_e32 v1, 0
	v_mov_b32_e32 v6, 0
	s_and_saveexec_b64 s[28:29], vcc
	s_cbranch_execz .LBB6_5085
; %bb.5080:                             ;   in Loop: Header=BB6_3875 Depth=3
	v_lshrrev_b32_e32 v0, 24, v2
	v_cmp_ne_u32_e32 vcc, s80, v0
	v_bfrev_b32_e32 v6, 1
	s_and_saveexec_b64 s[30:31], vcc
	s_cbranch_execz .LBB6_5084
; %bb.5081:                             ;   in Loop: Header=BB6_3875 Depth=3
	v_bfe_u32 v7, v2, 24, 7
	v_cmp_ne_u32_e32 vcc, s81, v7
	v_mov_b32_e32 v6, 0x7f800001
	s_and_saveexec_b64 s[34:35], vcc
	s_cbranch_execz .LBB6_5083
; %bb.5082:                             ;   in Loop: Header=BB6_3875 Depth=3
	v_and_b32_e32 v20, 7, v0
	v_ffbh_u32_e32 v6, v20
	v_min_u32_e32 v25, 32, v6
	v_subrev_u32_e32 v6, 28, v25
	v_lshrrev_b32_e32 v24, 3, v7
	v_cmp_gt_u32_e32 vcc, 8, v7
	v_lshlrev_b64 v[6:7], v6, v[0:1]
	v_sub_u32_e32 v7, 29, v25
	v_and_b32_e32 v6, 7, v6
	v_cndmask_b32_e32 v7, v24, v7, vcc
	v_cndmask_b32_e32 v6, v20, v6, vcc
	v_lshlrev_b32_e32 v0, 24, v0
	v_bfrev_b32_e32 v20, 60
	v_lshlrev_b32_e32 v6, 20, v6
	v_and_b32_e32 v0, 0x80000000, v0
	v_lshl_add_u32 v7, v7, 23, v20
	v_or3_b32 v6, v0, v7, v6
.LBB6_5083:                             ;   in Loop: Header=BB6_3875 Depth=3
	s_or_b64 exec, exec, s[34:35]
.LBB6_5084:                             ;   in Loop: Header=BB6_3875 Depth=3
	s_or_b64 exec, exec, s[30:31]
.LBB6_5085:                             ;   in Loop: Header=BB6_3875 Depth=3
	s_or_b64 exec, exec, s[28:29]
	v_cmp_lt_u32_e32 vcc, s57, v18
	s_and_saveexec_b64 s[28:29], vcc
	s_cbranch_execz .LBB6_5091
; %bb.5086:                             ;   in Loop: Header=BB6_3875 Depth=3
	v_lshrrev_b32_e32 v0, 24, v18
	v_cmp_ne_u32_e32 vcc, s80, v0
	v_bfrev_b32_e32 v1, 1
	s_and_saveexec_b64 s[30:31], vcc
	s_cbranch_execz .LBB6_5090
; %bb.5087:                             ;   in Loop: Header=BB6_3875 Depth=3
	v_bfe_u32 v7, v18, 24, 7
	v_cmp_ne_u32_e32 vcc, s81, v7
	v_mov_b32_e32 v1, 0x7f800001
	s_and_saveexec_b64 s[34:35], vcc
	s_cbranch_execz .LBB6_5089
; %bb.5088:                             ;   in Loop: Header=BB6_3875 Depth=3
	v_and_b32_e32 v1, 7, v0
	v_lshrrev_b32_e32 v20, 3, v7
	v_cmp_gt_u32_e32 vcc, 8, v7
	v_ffbh_u32_e32 v7, v1
	v_min_u32_e32 v7, 32, v7
	v_subrev_u32_e32 v24, 28, v7
	v_lshlrev_b64 v[28:29], v24, v[0:1]
	v_sub_u32_e32 v7, 29, v7
	v_and_b32_e32 v24, 7, v28
	v_cndmask_b32_e32 v7, v20, v7, vcc
	v_cndmask_b32_e32 v1, v1, v24, vcc
	v_lshlrev_b32_e32 v0, 24, v0
	v_bfrev_b32_e32 v20, 60
	v_lshlrev_b32_e32 v1, 20, v1
	v_and_b32_e32 v0, 0x80000000, v0
	v_lshl_add_u32 v7, v7, 23, v20
	v_or3_b32 v1, v0, v7, v1
.LBB6_5089:                             ;   in Loop: Header=BB6_3875 Depth=3
	s_or_b64 exec, exec, s[34:35]
.LBB6_5090:                             ;   in Loop: Header=BB6_3875 Depth=3
	s_or_b64 exec, exec, s[30:31]
.LBB6_5091:                             ;   in Loop: Header=BB6_3875 Depth=3
	s_or_b64 exec, exec, s[28:29]
	v_mul_f32_e32 v0, v6, v1
	v_and_b32_e32 v20, 0x7f800000, v0
	v_cmp_ne_u64_e32 vcc, s[62:63], v[20:21]
                                        ; implicit-def: $vgpr36
	s_and_saveexec_b64 s[28:29], vcc
	s_xor_b64 s[30:31], exec, s[28:29]
	s_cbranch_execz .LBB6_5105
; %bb.5092:                             ;   in Loop: Header=BB6_3875 Depth=3
	v_and_b32_e32 v20, 0x7fffffff, v0
	v_cmp_gt_u64_e32 vcc, s[78:79], v[20:21]
	v_and_b32_sdwa v28, v0, s80 dst_sel:DWORD dst_unused:UNUSED_PAD src0_sel:BYTE_3 src1_sel:DWORD
                                        ; implicit-def: $vgpr36
	s_and_saveexec_b64 s[28:29], vcc
	s_xor_b64 s[34:35], exec, s[28:29]
	s_cbranch_execz .LBB6_5102
; %bb.5093:                             ;   in Loop: Header=BB6_3875 Depth=3
	v_mov_b32_e32 v36, 0
	v_cmp_ne_u32_e32 vcc, 0, v0
	s_and_saveexec_b64 s[36:37], vcc
	s_cbranch_execz .LBB6_5101
; %bb.5094:                             ;   in Loop: Header=BB6_3875 Depth=3
	v_bfe_u32 v30, v0, 23, 8
	v_and_b32_e32 v1, 0x7fffff, v0
	v_cmp_gt_u32_e64 s[28:29], s47, v30
	v_sub_u32_e32 v0, 0x79, v30
	v_cmp_eq_u32_e32 vcc, 0, v30
	v_cndmask_b32_e64 v0, 0, v0, s[28:29]
	v_mov_b32_e32 v7, 0x78
	v_cndmask_b32_e32 v36, v0, v7, vcc
	v_or_b32_e32 v6, 0x800000, v1
	v_add_u32_e32 v0, 20, v36
	v_cndmask_b32_e32 v20, v6, v1, vcc
	v_lshlrev_b64 v[0:1], v0, -1
	v_add_u32_e32 v6, 19, v36
	v_lshlrev_b64 v[6:7], v6, 1
	v_bfi_b32 v1, v1, 0, 0
	v_bfi_b32 v0, v0, 0, v20
	v_cmp_eq_u64_e64 s[28:29], v[0:1], v[6:7]
	v_lshrrev_b64 v[0:1], v36, v[20:21]
	v_mov_b32_e32 v7, v1
	v_mov_b32_e32 v6, v0
	s_and_saveexec_b64 s[38:39], s[28:29]
; %bb.5095:                             ;   in Loop: Header=BB6_3875 Depth=3
	v_bfe_u32 v1, v0, 20, 1
	v_add_co_u32_e64 v1, s[28:29], v0, v1
	v_add_co_u32_e64 v6, s[28:29], -1, v1
; %bb.5096:                             ;   in Loop: Header=BB6_3875 Depth=3
	s_or_b64 exec, exec, s[38:39]
	v_add_u32_e32 v1, 0xffffff81, v30
	v_mov_b32_e32 v7, 0xffffff82
	v_cndmask_b32_e32 v1, v1, v7, vcc
	v_lshrrev_b32_e32 v7, 23, v0
	v_add3_u32 v29, v36, v1, v7
	v_add_u32_e32 v7, 6, v29
	v_and_b32_e32 v1, 0xfffff, v6
	v_add_u32_e32 v20, v1, v0
	v_cmp_ne_u32_e32 vcc, 0, v7
                                        ; implicit-def: $vgpr0_vgpr1
                                        ; implicit-def: $vgpr6
	s_and_saveexec_b64 s[28:29], vcc
	s_xor_b64 s[28:29], exec, s[28:29]
; %bb.5097:                             ;   in Loop: Header=BB6_3875 Depth=3
	v_cmp_lt_u64_e32 vcc, s[88:89], v[20:21]
	v_add_u32_e32 v0, 7, v29
	v_cndmask_b32_e32 v6, v7, v0, vcc
	v_cndmask_b32_e64 v0, 0, 1, vcc
	v_lshrrev_b64 v[0:1], v0, v[20:21]
; %bb.5098:                             ;   in Loop: Header=BB6_3875 Depth=3
	s_andn2_saveexec_b64 s[28:29], s[28:29]
; %bb.5099:                             ;   in Loop: Header=BB6_3875 Depth=3
	v_mov_b32_e32 v0, v20
	v_bfe_u32 v6, v20, 23, 1
	v_mov_b32_e32 v1, v21
; %bb.5100:                             ;   in Loop: Header=BB6_3875 Depth=3
	s_or_b64 exec, exec, s[28:29]
	v_lshrrev_b64 v[0:1], 20, v[0:1]
	v_cmp_gt_i32_e32 vcc, 16, v6
	v_cndmask_b32_e32 v1, 0, v1, vcc
	v_cndmask_b32_e32 v0, 7, v0, vcc
	v_cmp_eq_u64_e64 s[28:29], 0, v[0:1]
	v_min_i32_e32 v1, 15, v6
	v_lshlrev_b32_e32 v1, 3, v1
	v_cmp_eq_u32_e32 vcc, 0, v6
	v_and_b32_e32 v1, 0xf8, v1
	v_and_or_b32 v0, v0, 7, v1
	s_and_b64 s[28:29], vcc, s[28:29]
	v_cndmask_b32_e64 v0, v0, 0, s[28:29]
	v_or_b32_e32 v36, v0, v28
.LBB6_5101:                             ;   in Loop: Header=BB6_3875 Depth=3
	s_or_b64 exec, exec, s[36:37]
                                        ; implicit-def: $vgpr28
.LBB6_5102:                             ;   in Loop: Header=BB6_3875 Depth=3
	s_andn2_saveexec_b64 s[28:29], s[34:35]
; %bb.5103:                             ;   in Loop: Header=BB6_3875 Depth=3
	v_or_b32_e32 v36, 0x7e, v28
; %bb.5104:                             ;   in Loop: Header=BB6_3875 Depth=3
	s_or_b64 exec, exec, s[28:29]
                                        ; implicit-def: $vgpr0
.LBB6_5105:                             ;   in Loop: Header=BB6_3875 Depth=3
	s_andn2_saveexec_b64 s[28:29], s[30:31]
; %bb.5106:                             ;   in Loop: Header=BB6_3875 Depth=3
	v_or_b32_sdwa v36, v0, s81 dst_sel:DWORD dst_unused:UNUSED_PAD src0_sel:BYTE_3 src1_sel:DWORD
; %bb.5107:                             ;   in Loop: Header=BB6_3875 Depth=3
	s_or_b64 exec, exec, s[28:29]
	v_mov_b32_e32 v20, v3
	v_cmp_ne_u16_sdwa vcc, v3, v21 src0_sel:BYTE_0 src1_sel:DWORD
	v_mov_b32_e32 v1, 0
	v_mov_b32_e32 v0, 0
	s_and_saveexec_b64 s[28:29], vcc
	s_cbranch_execz .LBB6_5113
; %bb.5108:                             ;   in Loop: Header=BB6_3875 Depth=3
	v_cmp_ne_u16_sdwa vcc, v3, s80 src0_sel:BYTE_0 src1_sel:DWORD
	v_bfrev_b32_e32 v0, 1
	s_and_saveexec_b64 s[30:31], vcc
	s_cbranch_execz .LBB6_5112
; %bb.5109:                             ;   in Loop: Header=BB6_3875 Depth=3
	v_and_b32_e32 v6, 0x7f, v3
	v_cmp_ne_u32_e32 vcc, s81, v6
	v_mov_b32_e32 v0, 0x7f800001
	s_and_saveexec_b64 s[34:35], vcc
	s_cbranch_execz .LBB6_5111
; %bb.5110:                             ;   in Loop: Header=BB6_3875 Depth=3
	v_and_b32_e32 v0, 7, v3
	v_ffbh_u32_e32 v0, v0
	v_min_u32_e32 v0, 32, v0
	v_lshrrev_b32_e32 v7, 3, v6
	v_cmp_gt_u32_e32 vcc, 8, v6
	v_subrev_u32_e32 v6, 28, v0
	v_sub_u32_e32 v0, 29, v0
	v_cndmask_b32_e32 v6, 0, v6, vcc
	v_cndmask_b32_e32 v0, v7, v0, vcc
	v_lshlrev_b64 v[6:7], v6, v[20:21]
	v_lshlrev_b32_e32 v7, 24, v20
	v_lshlrev_b32_e32 v6, 20, v6
	v_bfrev_b32_e32 v24, 60
	v_and_b32_e32 v6, 0x700000, v6
	v_and_b32_e32 v7, 0x80000000, v7
	v_lshl_add_u32 v0, v0, 23, v24
	v_or3_b32 v0, v7, v0, v6
.LBB6_5111:                             ;   in Loop: Header=BB6_3875 Depth=3
	s_or_b64 exec, exec, s[34:35]
.LBB6_5112:                             ;   in Loop: Header=BB6_3875 Depth=3
	s_or_b64 exec, exec, s[30:31]
.LBB6_5113:                             ;   in Loop: Header=BB6_3875 Depth=3
	s_or_b64 exec, exec, s[28:29]
	v_cmp_ne_u16_sdwa vcc, v19, v21 src0_sel:BYTE_0 src1_sel:DWORD
	s_and_saveexec_b64 s[28:29], vcc
	s_cbranch_execz .LBB6_5119
; %bb.5114:                             ;   in Loop: Header=BB6_3875 Depth=3
	v_cmp_ne_u16_sdwa vcc, v19, s80 src0_sel:BYTE_0 src1_sel:DWORD
	v_bfrev_b32_e32 v1, 1
	s_and_saveexec_b64 s[30:31], vcc
	s_cbranch_execz .LBB6_5118
; %bb.5115:                             ;   in Loop: Header=BB6_3875 Depth=3
	v_and_b32_e32 v6, 0x7f, v19
	v_cmp_ne_u32_e32 vcc, s81, v6
	v_mov_b32_e32 v1, 0x7f800001
	s_and_saveexec_b64 s[34:35], vcc
	s_cbranch_execz .LBB6_5117
; %bb.5116:                             ;   in Loop: Header=BB6_3875 Depth=3
	v_and_b32_e32 v1, 7, v19
	v_ffbh_u32_e32 v1, v1
	v_min_u32_e32 v1, 32, v1
	v_lshrrev_b32_e32 v7, 3, v6
	v_cmp_gt_u32_e32 vcc, 8, v6
	v_subrev_u32_e32 v6, 28, v1
	v_mov_b32_e32 v28, v19
	v_mov_b32_e32 v29, v21
	v_sub_u32_e32 v1, 29, v1
	v_cndmask_b32_e32 v6, 0, v6, vcc
	v_cndmask_b32_e32 v1, v7, v1, vcc
	v_lshlrev_b64 v[6:7], v6, v[28:29]
	v_lshlrev_b32_e32 v7, 24, v28
	v_lshlrev_b32_e32 v6, 20, v6
	v_bfrev_b32_e32 v24, 60
	v_and_b32_e32 v6, 0x700000, v6
	v_and_b32_e32 v7, 0x80000000, v7
	v_lshl_add_u32 v1, v1, 23, v24
	v_or3_b32 v1, v7, v1, v6
.LBB6_5117:                             ;   in Loop: Header=BB6_3875 Depth=3
	s_or_b64 exec, exec, s[34:35]
.LBB6_5118:                             ;   in Loop: Header=BB6_3875 Depth=3
	s_or_b64 exec, exec, s[30:31]
.LBB6_5119:                             ;   in Loop: Header=BB6_3875 Depth=3
	s_or_b64 exec, exec, s[28:29]
	v_mul_f32_e32 v0, v0, v1
	v_and_b32_e32 v6, 0x7f800000, v0
	v_mov_b32_e32 v7, v21
	v_cmp_ne_u64_e32 vcc, s[62:63], v[6:7]
                                        ; implicit-def: $vgpr37
	s_and_saveexec_b64 s[28:29], vcc
	s_xor_b64 s[30:31], exec, s[28:29]
	s_cbranch_execz .LBB6_5133
; %bb.5120:                             ;   in Loop: Header=BB6_3875 Depth=3
	v_and_b32_e32 v6, 0x7fffffff, v0
	v_mov_b32_e32 v7, v21
	v_cmp_gt_u64_e32 vcc, s[78:79], v[6:7]
	v_and_b32_sdwa v28, v0, s80 dst_sel:DWORD dst_unused:UNUSED_PAD src0_sel:BYTE_3 src1_sel:DWORD
                                        ; implicit-def: $vgpr37
	s_and_saveexec_b64 s[28:29], vcc
	s_xor_b64 s[34:35], exec, s[28:29]
	s_cbranch_execz .LBB6_5130
; %bb.5121:                             ;   in Loop: Header=BB6_3875 Depth=3
	v_mov_b32_e32 v37, 0
	v_cmp_ne_u32_e32 vcc, 0, v0
	s_and_saveexec_b64 s[36:37], vcc
	s_cbranch_execz .LBB6_5129
; %bb.5122:                             ;   in Loop: Header=BB6_3875 Depth=3
	v_bfe_u32 v30, v0, 23, 8
	v_and_b32_e32 v1, 0x7fffff, v0
	v_cmp_gt_u32_e64 s[28:29], s47, v30
	v_sub_u32_e32 v0, 0x79, v30
	v_cmp_eq_u32_e32 vcc, 0, v30
	v_cndmask_b32_e64 v0, 0, v0, s[28:29]
	v_mov_b32_e32 v7, 0x78
	v_or_b32_e32 v6, 0x800000, v1
	v_cndmask_b32_e32 v37, v0, v7, vcc
	v_cndmask_b32_e32 v0, v6, v1, vcc
	v_add_u32_e32 v6, 20, v37
	v_lshlrev_b64 v[6:7], v6, -1
	v_mov_b32_e32 v1, v21
	v_add_u32_e32 v24, 19, v37
	v_bfi_b32 v6, v6, 0, v0
	v_lshlrev_b64 v[38:39], v24, 1
	v_lshrrev_b64 v[0:1], v37, v[0:1]
	v_bfi_b32 v7, v7, 0, 0
	v_cmp_eq_u64_e64 s[28:29], v[6:7], v[38:39]
	v_mov_b32_e32 v7, v1
	v_mov_b32_e32 v6, v0
	s_and_saveexec_b64 s[38:39], s[28:29]
; %bb.5123:                             ;   in Loop: Header=BB6_3875 Depth=3
	v_bfe_u32 v1, v0, 20, 1
	v_add_co_u32_e64 v1, s[28:29], v0, v1
	v_add_co_u32_e64 v6, s[28:29], -1, v1
; %bb.5124:                             ;   in Loop: Header=BB6_3875 Depth=3
	s_or_b64 exec, exec, s[38:39]
	v_add_u32_e32 v1, 0xffffff81, v30
	v_mov_b32_e32 v7, 0xffffff82
	v_cndmask_b32_e32 v1, v1, v7, vcc
	v_lshrrev_b32_e32 v7, 23, v0
	v_add3_u32 v29, v37, v1, v7
	v_add_u32_e32 v7, 6, v29
	v_and_b32_e32 v1, 0xfffff, v6
	v_add_u32_e32 v0, v1, v0
	v_mov_b32_e32 v1, v21
	v_cmp_ne_u32_e32 vcc, 0, v7
                                        ; implicit-def: $vgpr6
	s_and_saveexec_b64 s[28:29], vcc
	s_xor_b64 s[28:29], exec, s[28:29]
; %bb.5125:                             ;   in Loop: Header=BB6_3875 Depth=3
	v_cmp_lt_u64_e32 vcc, s[88:89], v[0:1]
	v_add_u32_e32 v6, 7, v29
	v_cndmask_b32_e32 v6, v7, v6, vcc
	v_cndmask_b32_e64 v7, 0, 1, vcc
	v_lshrrev_b64 v[0:1], v7, v[0:1]
; %bb.5126:                             ;   in Loop: Header=BB6_3875 Depth=3
	s_andn2_saveexec_b64 s[28:29], s[28:29]
; %bb.5127:                             ;   in Loop: Header=BB6_3875 Depth=3
	v_bfe_u32 v6, v0, 23, 1
; %bb.5128:                             ;   in Loop: Header=BB6_3875 Depth=3
	s_or_b64 exec, exec, s[28:29]
	v_lshrrev_b64 v[0:1], 20, v[0:1]
	v_cmp_gt_i32_e32 vcc, 16, v6
	v_cndmask_b32_e32 v1, 0, v1, vcc
	v_cndmask_b32_e32 v0, 7, v0, vcc
	v_cmp_eq_u64_e64 s[28:29], 0, v[0:1]
	v_min_i32_e32 v1, 15, v6
	v_lshlrev_b32_e32 v1, 3, v1
	v_cmp_eq_u32_e32 vcc, 0, v6
	v_and_b32_e32 v1, 0xf8, v1
	v_and_or_b32 v0, v0, 7, v1
	s_and_b64 s[28:29], vcc, s[28:29]
	v_cndmask_b32_e64 v0, v0, 0, s[28:29]
	v_or_b32_e32 v37, v0, v28
.LBB6_5129:                             ;   in Loop: Header=BB6_3875 Depth=3
	s_or_b64 exec, exec, s[36:37]
                                        ; implicit-def: $vgpr28
.LBB6_5130:                             ;   in Loop: Header=BB6_3875 Depth=3
	s_andn2_saveexec_b64 s[28:29], s[34:35]
; %bb.5131:                             ;   in Loop: Header=BB6_3875 Depth=3
	v_or_b32_e32 v37, 0x7e, v28
; %bb.5132:                             ;   in Loop: Header=BB6_3875 Depth=3
	s_or_b64 exec, exec, s[28:29]
                                        ; implicit-def: $vgpr0
.LBB6_5133:                             ;   in Loop: Header=BB6_3875 Depth=3
	s_andn2_saveexec_b64 s[28:29], s[30:31]
; %bb.5134:                             ;   in Loop: Header=BB6_3875 Depth=3
	v_or_b32_sdwa v37, v0, s81 dst_sel:DWORD dst_unused:UNUSED_PAD src0_sel:BYTE_3 src1_sel:DWORD
; %bb.5135:                             ;   in Loop: Header=BB6_3875 Depth=3
	s_or_b64 exec, exec, s[28:29]
	v_lshrrev_b16_e32 v0, 8, v20
	v_cmp_ne_u16_e32 vcc, 0, v0
	v_mov_b32_e32 v1, 0
	v_mov_b32_e32 v6, 0
	s_and_saveexec_b64 s[28:29], vcc
	s_cbranch_execz .LBB6_5141
; %bb.5136:                             ;   in Loop: Header=BB6_3875 Depth=3
	v_cmp_ne_u16_e32 vcc, s80, v0
	v_bfrev_b32_e32 v6, 1
	s_and_saveexec_b64 s[30:31], vcc
	s_cbranch_execz .LBB6_5140
; %bb.5137:                             ;   in Loop: Header=BB6_3875 Depth=3
	v_and_b32_e32 v7, 0x7f, v0
	v_cmp_ne_u32_e32 vcc, s81, v7
	v_mov_b32_e32 v6, 0x7f800001
	s_and_saveexec_b64 s[34:35], vcc
	s_cbranch_execz .LBB6_5139
; %bb.5138:                             ;   in Loop: Header=BB6_3875 Depth=3
	v_and_b32_e32 v24, 7, v0
	v_ffbh_u32_e32 v6, v24
	v_min_u32_e32 v28, 32, v6
	v_subrev_u32_e32 v6, 28, v28
	v_lshrrev_b32_e32 v25, 3, v7
	v_cmp_gt_u32_e32 vcc, 8, v7
	v_lshlrev_b64 v[6:7], v6, v[0:1]
	v_sub_u32_e32 v0, 29, v28
	v_and_b32_e32 v6, 7, v6
	v_cndmask_b32_e32 v0, v25, v0, vcc
	v_cndmask_b32_e32 v6, v24, v6, vcc
	v_lshlrev_b32_e32 v7, 16, v20
	v_bfrev_b32_e32 v20, 60
	v_lshlrev_b32_e32 v6, 20, v6
	v_and_b32_e32 v7, 0x80000000, v7
	v_lshl_add_u32 v0, v0, 23, v20
	v_or3_b32 v6, v7, v0, v6
.LBB6_5139:                             ;   in Loop: Header=BB6_3875 Depth=3
	s_or_b64 exec, exec, s[34:35]
.LBB6_5140:                             ;   in Loop: Header=BB6_3875 Depth=3
	s_or_b64 exec, exec, s[30:31]
.LBB6_5141:                             ;   in Loop: Header=BB6_3875 Depth=3
	s_or_b64 exec, exec, s[28:29]
	v_lshrrev_b16_e32 v0, 8, v19
	v_cmp_ne_u16_e32 vcc, 0, v0
	s_and_saveexec_b64 s[28:29], vcc
	s_cbranch_execz .LBB6_5147
; %bb.5142:                             ;   in Loop: Header=BB6_3875 Depth=3
	v_cmp_ne_u16_e32 vcc, s80, v0
	v_bfrev_b32_e32 v1, 1
	s_and_saveexec_b64 s[30:31], vcc
	s_cbranch_execz .LBB6_5146
; %bb.5143:                             ;   in Loop: Header=BB6_3875 Depth=3
	v_and_b32_e32 v7, 0x7f, v0
	v_cmp_ne_u32_e32 vcc, s81, v7
	v_mov_b32_e32 v1, 0x7f800001
	s_and_saveexec_b64 s[34:35], vcc
	s_cbranch_execz .LBB6_5145
; %bb.5144:                             ;   in Loop: Header=BB6_3875 Depth=3
	v_and_b32_e32 v20, 7, v0
	v_ffbh_u32_e32 v1, v20
	v_lshrrev_b32_e32 v24, 3, v7
	v_cmp_gt_u32_e32 vcc, 8, v7
	v_min_u32_e32 v7, 32, v1
	v_subrev_u32_e32 v1, 28, v7
	v_lshlrev_b64 v[0:1], v1, v[0:1]
	v_sub_u32_e32 v1, 29, v7
	v_and_b32_e32 v0, 7, v0
	v_cndmask_b32_e32 v1, v24, v1, vcc
	v_cndmask_b32_e32 v0, v20, v0, vcc
	v_lshlrev_b32_e32 v7, 16, v19
	v_bfrev_b32_e32 v20, 60
	v_lshlrev_b32_e32 v0, 20, v0
	v_and_b32_e32 v7, 0x80000000, v7
	v_lshl_add_u32 v1, v1, 23, v20
	v_or3_b32 v1, v7, v1, v0
.LBB6_5145:                             ;   in Loop: Header=BB6_3875 Depth=3
	s_or_b64 exec, exec, s[34:35]
.LBB6_5146:                             ;   in Loop: Header=BB6_3875 Depth=3
	s_or_b64 exec, exec, s[30:31]
.LBB6_5147:                             ;   in Loop: Header=BB6_3875 Depth=3
	s_or_b64 exec, exec, s[28:29]
	v_mul_f32_e32 v0, v6, v1
	v_and_b32_e32 v20, 0x7f800000, v0
	v_cmp_ne_u64_e32 vcc, s[62:63], v[20:21]
                                        ; implicit-def: $vgpr30
	s_and_saveexec_b64 s[28:29], vcc
	s_xor_b64 s[30:31], exec, s[28:29]
	s_cbranch_execz .LBB6_5161
; %bb.5148:                             ;   in Loop: Header=BB6_3875 Depth=3
	v_and_b32_e32 v20, 0x7fffffff, v0
	v_cmp_gt_u64_e32 vcc, s[78:79], v[20:21]
	v_and_b32_sdwa v28, v0, s80 dst_sel:DWORD dst_unused:UNUSED_PAD src0_sel:BYTE_3 src1_sel:DWORD
                                        ; implicit-def: $vgpr30
	s_and_saveexec_b64 s[28:29], vcc
	s_xor_b64 s[34:35], exec, s[28:29]
	s_cbranch_execz .LBB6_5158
; %bb.5149:                             ;   in Loop: Header=BB6_3875 Depth=3
	v_mov_b32_e32 v30, 0
	v_cmp_ne_u32_e32 vcc, 0, v0
	s_and_saveexec_b64 s[36:37], vcc
	s_cbranch_execz .LBB6_5157
; %bb.5150:                             ;   in Loop: Header=BB6_3875 Depth=3
	v_bfe_u32 v30, v0, 23, 8
	v_and_b32_e32 v1, 0x7fffff, v0
	v_cmp_gt_u32_e64 s[28:29], s47, v30
	v_sub_u32_e32 v0, 0x79, v30
	v_cmp_eq_u32_e32 vcc, 0, v30
	v_cndmask_b32_e64 v0, 0, v0, s[28:29]
	v_mov_b32_e32 v7, 0x78
	v_cndmask_b32_e32 v38, v0, v7, vcc
	v_or_b32_e32 v6, 0x800000, v1
	v_add_u32_e32 v0, 20, v38
	v_cndmask_b32_e32 v20, v6, v1, vcc
	v_lshlrev_b64 v[0:1], v0, -1
	v_add_u32_e32 v6, 19, v38
	v_lshlrev_b64 v[6:7], v6, 1
	v_bfi_b32 v1, v1, 0, 0
	v_bfi_b32 v0, v0, 0, v20
	v_cmp_eq_u64_e64 s[28:29], v[0:1], v[6:7]
	v_lshrrev_b64 v[0:1], v38, v[20:21]
	v_mov_b32_e32 v7, v1
	v_mov_b32_e32 v6, v0
	s_and_saveexec_b64 s[38:39], s[28:29]
; %bb.5151:                             ;   in Loop: Header=BB6_3875 Depth=3
	v_bfe_u32 v1, v0, 20, 1
	v_add_co_u32_e64 v1, s[28:29], v0, v1
	v_add_co_u32_e64 v6, s[28:29], -1, v1
; %bb.5152:                             ;   in Loop: Header=BB6_3875 Depth=3
	s_or_b64 exec, exec, s[38:39]
	v_add_u32_e32 v1, 0xffffff81, v30
	v_mov_b32_e32 v7, 0xffffff82
	v_cndmask_b32_e32 v1, v1, v7, vcc
	v_lshrrev_b32_e32 v7, 23, v0
	v_add3_u32 v29, v38, v1, v7
	v_add_u32_e32 v7, 6, v29
	v_and_b32_e32 v1, 0xfffff, v6
	v_add_u32_e32 v20, v1, v0
	v_cmp_ne_u32_e32 vcc, 0, v7
                                        ; implicit-def: $vgpr0_vgpr1
                                        ; implicit-def: $vgpr6
	s_and_saveexec_b64 s[28:29], vcc
	s_xor_b64 s[28:29], exec, s[28:29]
; %bb.5153:                             ;   in Loop: Header=BB6_3875 Depth=3
	v_cmp_lt_u64_e32 vcc, s[88:89], v[20:21]
	v_add_u32_e32 v0, 7, v29
	v_cndmask_b32_e32 v6, v7, v0, vcc
	v_cndmask_b32_e64 v0, 0, 1, vcc
	v_lshrrev_b64 v[0:1], v0, v[20:21]
; %bb.5154:                             ;   in Loop: Header=BB6_3875 Depth=3
	s_andn2_saveexec_b64 s[28:29], s[28:29]
; %bb.5155:                             ;   in Loop: Header=BB6_3875 Depth=3
	v_mov_b32_e32 v0, v20
	v_bfe_u32 v6, v20, 23, 1
	v_mov_b32_e32 v1, v21
; %bb.5156:                             ;   in Loop: Header=BB6_3875 Depth=3
	s_or_b64 exec, exec, s[28:29]
	v_lshrrev_b64 v[0:1], 20, v[0:1]
	v_cmp_gt_i32_e32 vcc, 16, v6
	v_cndmask_b32_e32 v1, 0, v1, vcc
	v_cndmask_b32_e32 v0, 7, v0, vcc
	v_cmp_eq_u64_e64 s[28:29], 0, v[0:1]
	v_min_i32_e32 v1, 15, v6
	v_lshlrev_b32_e32 v1, 3, v1
	v_cmp_eq_u32_e32 vcc, 0, v6
	v_and_b32_e32 v1, 0xf8, v1
	v_and_or_b32 v0, v0, 7, v1
	s_and_b64 s[28:29], vcc, s[28:29]
	v_cndmask_b32_e64 v0, v0, 0, s[28:29]
	v_or_b32_e32 v30, v0, v28
.LBB6_5157:                             ;   in Loop: Header=BB6_3875 Depth=3
	s_or_b64 exec, exec, s[36:37]
                                        ; implicit-def: $vgpr28
.LBB6_5158:                             ;   in Loop: Header=BB6_3875 Depth=3
	s_andn2_saveexec_b64 s[28:29], s[34:35]
; %bb.5159:                             ;   in Loop: Header=BB6_3875 Depth=3
	v_or_b32_e32 v30, 0x7e, v28
; %bb.5160:                             ;   in Loop: Header=BB6_3875 Depth=3
	s_or_b64 exec, exec, s[28:29]
                                        ; implicit-def: $vgpr0
.LBB6_5161:                             ;   in Loop: Header=BB6_3875 Depth=3
	s_andn2_saveexec_b64 s[28:29], s[30:31]
; %bb.5162:                             ;   in Loop: Header=BB6_3875 Depth=3
	v_or_b32_sdwa v30, v0, s81 dst_sel:DWORD dst_unused:UNUSED_PAD src0_sel:BYTE_3 src1_sel:DWORD
; %bb.5163:                             ;   in Loop: Header=BB6_3875 Depth=3
	s_or_b64 exec, exec, s[28:29]
	v_lshrrev_b32_e32 v0, 16, v3
	v_cmp_ne_u16_sdwa vcc, v0, v21 src0_sel:BYTE_0 src1_sel:DWORD
	v_mov_b32_e32 v1, 0
	v_mov_b32_e32 v6, 0
	s_and_saveexec_b64 s[28:29], vcc
	s_cbranch_execz .LBB6_5169
; %bb.5164:                             ;   in Loop: Header=BB6_3875 Depth=3
	v_cmp_ne_u16_sdwa vcc, v0, s80 src0_sel:BYTE_0 src1_sel:DWORD
	v_bfrev_b32_e32 v6, 1
	s_and_saveexec_b64 s[30:31], vcc
	s_cbranch_execz .LBB6_5168
; %bb.5165:                             ;   in Loop: Header=BB6_3875 Depth=3
	v_bfe_u32 v7, v3, 16, 7
	v_cmp_ne_u32_e32 vcc, s81, v7
	v_mov_b32_e32 v6, 0x7f800001
	s_and_saveexec_b64 s[34:35], vcc
	s_cbranch_execz .LBB6_5167
; %bb.5166:                             ;   in Loop: Header=BB6_3875 Depth=3
	v_and_b32_e32 v20, 7, v0
	v_ffbh_u32_e32 v6, v20
	v_min_u32_e32 v25, 32, v6
	v_subrev_u32_e32 v6, 28, v25
	v_lshrrev_b32_e32 v24, 3, v7
	v_cmp_gt_u32_e32 vcc, 8, v7
	v_lshlrev_b64 v[6:7], v6, v[0:1]
	v_sub_u32_e32 v7, 29, v25
	v_and_b32_e32 v6, 7, v6
	v_cndmask_b32_e32 v7, v24, v7, vcc
	v_cndmask_b32_e32 v6, v20, v6, vcc
	v_lshlrev_b32_e32 v0, 24, v0
	v_bfrev_b32_e32 v20, 60
	v_lshlrev_b32_e32 v6, 20, v6
	v_and_b32_e32 v0, 0x80000000, v0
	v_lshl_add_u32 v7, v7, 23, v20
	v_or3_b32 v6, v0, v7, v6
.LBB6_5167:                             ;   in Loop: Header=BB6_3875 Depth=3
	s_or_b64 exec, exec, s[34:35]
.LBB6_5168:                             ;   in Loop: Header=BB6_3875 Depth=3
	s_or_b64 exec, exec, s[30:31]
.LBB6_5169:                             ;   in Loop: Header=BB6_3875 Depth=3
	s_or_b64 exec, exec, s[28:29]
	v_lshrrev_b32_e32 v0, 16, v19
	v_cmp_ne_u16_sdwa vcc, v0, v21 src0_sel:BYTE_0 src1_sel:DWORD
	s_and_saveexec_b64 s[28:29], vcc
	s_cbranch_execz .LBB6_5175
; %bb.5170:                             ;   in Loop: Header=BB6_3875 Depth=3
	v_cmp_ne_u16_sdwa vcc, v0, s80 src0_sel:BYTE_0 src1_sel:DWORD
	v_bfrev_b32_e32 v1, 1
	s_and_saveexec_b64 s[30:31], vcc
	s_cbranch_execz .LBB6_5174
; %bb.5171:                             ;   in Loop: Header=BB6_3875 Depth=3
	v_bfe_u32 v7, v19, 16, 7
	v_cmp_ne_u32_e32 vcc, s81, v7
	v_mov_b32_e32 v1, 0x7f800001
	s_and_saveexec_b64 s[34:35], vcc
	s_cbranch_execz .LBB6_5173
; %bb.5172:                             ;   in Loop: Header=BB6_3875 Depth=3
	v_and_b32_e32 v20, 7, v0
	v_ffbh_u32_e32 v1, v20
	v_lshrrev_b32_e32 v24, 3, v7
	v_cmp_gt_u32_e32 vcc, 8, v7
	v_min_u32_e32 v7, 32, v1
	v_subrev_u32_e32 v1, 28, v7
	v_lshlrev_b64 v[0:1], v1, v[0:1]
	v_sub_u32_e32 v1, 29, v7
	v_and_b32_e32 v0, 7, v0
	v_cndmask_b32_e32 v1, v24, v1, vcc
	v_cndmask_b32_e32 v0, v20, v0, vcc
	v_lshlrev_b32_e32 v7, 8, v19
	v_bfrev_b32_e32 v20, 60
	v_lshlrev_b32_e32 v0, 20, v0
	v_and_b32_e32 v7, 0x80000000, v7
	v_lshl_add_u32 v1, v1, 23, v20
	v_or3_b32 v1, v7, v1, v0
.LBB6_5173:                             ;   in Loop: Header=BB6_3875 Depth=3
	s_or_b64 exec, exec, s[34:35]
.LBB6_5174:                             ;   in Loop: Header=BB6_3875 Depth=3
	s_or_b64 exec, exec, s[30:31]
.LBB6_5175:                             ;   in Loop: Header=BB6_3875 Depth=3
	s_or_b64 exec, exec, s[28:29]
	v_mul_f32_e32 v0, v6, v1
	v_and_b32_e32 v20, 0x7f800000, v0
	v_cmp_ne_u64_e32 vcc, s[62:63], v[20:21]
                                        ; implicit-def: $vgpr6
	s_and_saveexec_b64 s[28:29], vcc
	s_xor_b64 s[30:31], exec, s[28:29]
	s_cbranch_execz .LBB6_5189
; %bb.5176:                             ;   in Loop: Header=BB6_3875 Depth=3
	v_and_b32_e32 v20, 0x7fffffff, v0
	v_cmp_gt_u64_e32 vcc, s[78:79], v[20:21]
	v_and_b32_sdwa v28, v0, s80 dst_sel:DWORD dst_unused:UNUSED_PAD src0_sel:BYTE_3 src1_sel:DWORD
                                        ; implicit-def: $vgpr6
	s_and_saveexec_b64 s[28:29], vcc
	s_xor_b64 s[34:35], exec, s[28:29]
	s_cbranch_execz .LBB6_5186
; %bb.5177:                             ;   in Loop: Header=BB6_3875 Depth=3
	v_mov_b32_e32 v6, 0
	v_cmp_ne_u32_e32 vcc, 0, v0
	s_and_saveexec_b64 s[36:37], vcc
	s_cbranch_execz .LBB6_5185
; %bb.5178:                             ;   in Loop: Header=BB6_3875 Depth=3
	v_bfe_u32 v38, v0, 23, 8
	v_and_b32_e32 v1, 0x7fffff, v0
	v_cmp_gt_u32_e64 s[28:29], s47, v38
	v_sub_u32_e32 v0, 0x79, v38
	v_cmp_eq_u32_e32 vcc, 0, v38
	v_cndmask_b32_e64 v0, 0, v0, s[28:29]
	v_mov_b32_e32 v7, 0x78
	v_cndmask_b32_e32 v39, v0, v7, vcc
	v_or_b32_e32 v6, 0x800000, v1
	v_add_u32_e32 v0, 20, v39
	v_cndmask_b32_e32 v20, v6, v1, vcc
	v_lshlrev_b64 v[0:1], v0, -1
	v_add_u32_e32 v6, 19, v39
	v_lshlrev_b64 v[6:7], v6, 1
	v_bfi_b32 v1, v1, 0, 0
	v_bfi_b32 v0, v0, 0, v20
	v_cmp_eq_u64_e64 s[28:29], v[0:1], v[6:7]
	v_lshrrev_b64 v[0:1], v39, v[20:21]
	v_mov_b32_e32 v7, v1
	v_mov_b32_e32 v6, v0
	s_and_saveexec_b64 s[38:39], s[28:29]
; %bb.5179:                             ;   in Loop: Header=BB6_3875 Depth=3
	v_bfe_u32 v1, v0, 20, 1
	v_add_co_u32_e64 v1, s[28:29], v0, v1
	v_add_co_u32_e64 v6, s[28:29], -1, v1
; %bb.5180:                             ;   in Loop: Header=BB6_3875 Depth=3
	s_or_b64 exec, exec, s[38:39]
	v_add_u32_e32 v1, 0xffffff81, v38
	v_mov_b32_e32 v7, 0xffffff82
	v_cndmask_b32_e32 v1, v1, v7, vcc
	v_lshrrev_b32_e32 v7, 23, v0
	v_add3_u32 v29, v39, v1, v7
	v_add_u32_e32 v7, 6, v29
	v_and_b32_e32 v1, 0xfffff, v6
	v_add_u32_e32 v20, v1, v0
	v_cmp_ne_u32_e32 vcc, 0, v7
                                        ; implicit-def: $vgpr0_vgpr1
                                        ; implicit-def: $vgpr6
	s_and_saveexec_b64 s[28:29], vcc
	s_xor_b64 s[28:29], exec, s[28:29]
; %bb.5181:                             ;   in Loop: Header=BB6_3875 Depth=3
	v_cmp_lt_u64_e32 vcc, s[88:89], v[20:21]
	v_add_u32_e32 v0, 7, v29
	v_cndmask_b32_e32 v6, v7, v0, vcc
	v_cndmask_b32_e64 v0, 0, 1, vcc
	v_lshrrev_b64 v[0:1], v0, v[20:21]
; %bb.5182:                             ;   in Loop: Header=BB6_3875 Depth=3
	s_andn2_saveexec_b64 s[28:29], s[28:29]
; %bb.5183:                             ;   in Loop: Header=BB6_3875 Depth=3
	v_mov_b32_e32 v0, v20
	v_bfe_u32 v6, v20, 23, 1
	v_mov_b32_e32 v1, v21
; %bb.5184:                             ;   in Loop: Header=BB6_3875 Depth=3
	s_or_b64 exec, exec, s[28:29]
	v_lshrrev_b64 v[0:1], 20, v[0:1]
	v_cmp_gt_i32_e32 vcc, 16, v6
	v_cndmask_b32_e32 v1, 0, v1, vcc
	v_cndmask_b32_e32 v0, 7, v0, vcc
	v_cmp_eq_u64_e64 s[28:29], 0, v[0:1]
	v_min_i32_e32 v1, 15, v6
	v_lshlrev_b32_e32 v1, 3, v1
	v_cmp_eq_u32_e32 vcc, 0, v6
	v_and_b32_e32 v1, 0xf8, v1
	v_and_or_b32 v0, v0, 7, v1
	s_and_b64 s[28:29], vcc, s[28:29]
	v_cndmask_b32_e64 v0, v0, 0, s[28:29]
	v_or_b32_e32 v6, v0, v28
.LBB6_5185:                             ;   in Loop: Header=BB6_3875 Depth=3
	s_or_b64 exec, exec, s[36:37]
                                        ; implicit-def: $vgpr28
.LBB6_5186:                             ;   in Loop: Header=BB6_3875 Depth=3
	s_andn2_saveexec_b64 s[28:29], s[34:35]
; %bb.5187:                             ;   in Loop: Header=BB6_3875 Depth=3
	v_or_b32_e32 v6, 0x7e, v28
; %bb.5188:                             ;   in Loop: Header=BB6_3875 Depth=3
	s_or_b64 exec, exec, s[28:29]
                                        ; implicit-def: $vgpr0
.LBB6_5189:                             ;   in Loop: Header=BB6_3875 Depth=3
	s_andn2_saveexec_b64 s[28:29], s[30:31]
; %bb.5190:                             ;   in Loop: Header=BB6_3875 Depth=3
	v_or_b32_sdwa v6, v0, s81 dst_sel:DWORD dst_unused:UNUSED_PAD src0_sel:BYTE_3 src1_sel:DWORD
; %bb.5191:                             ;   in Loop: Header=BB6_3875 Depth=3
	s_or_b64 exec, exec, s[28:29]
	v_cmp_lt_u64_e32 vcc, s[56:57], v[2:3]
	v_mov_b32_e32 v1, 0
	v_mov_b32_e32 v2, 0
	s_and_saveexec_b64 s[28:29], vcc
	s_cbranch_execz .LBB6_5197
; %bb.5192:                             ;   in Loop: Header=BB6_3875 Depth=3
	v_lshrrev_b32_e32 v0, 24, v3
	v_cmp_ne_u32_e32 vcc, s80, v0
	v_bfrev_b32_e32 v2, 1
	s_and_saveexec_b64 s[30:31], vcc
	s_cbranch_execz .LBB6_5196
; %bb.5193:                             ;   in Loop: Header=BB6_3875 Depth=3
	v_bfe_u32 v3, v3, 24, 7
	v_cmp_ne_u32_e32 vcc, s81, v3
	v_mov_b32_e32 v2, 0x7f800001
	s_and_saveexec_b64 s[34:35], vcc
	s_cbranch_execz .LBB6_5195
; %bb.5194:                             ;   in Loop: Header=BB6_3875 Depth=3
	v_and_b32_e32 v7, 7, v0
	v_ffbh_u32_e32 v2, v7
	v_min_u32_e32 v24, 32, v2
	v_subrev_u32_e32 v2, 28, v24
	v_lshrrev_b32_e32 v20, 3, v3
	v_cmp_gt_u32_e32 vcc, 8, v3
	v_lshlrev_b64 v[2:3], v2, v[0:1]
	v_sub_u32_e32 v3, 29, v24
	v_and_b32_e32 v2, 7, v2
	v_cndmask_b32_e32 v3, v20, v3, vcc
	v_cndmask_b32_e32 v2, v7, v2, vcc
	v_lshlrev_b32_e32 v0, 24, v0
	v_bfrev_b32_e32 v7, 60
	v_lshlrev_b32_e32 v2, 20, v2
	v_and_b32_e32 v0, 0x80000000, v0
	v_lshl_add_u32 v3, v3, 23, v7
	v_or3_b32 v2, v0, v3, v2
.LBB6_5195:                             ;   in Loop: Header=BB6_3875 Depth=3
	s_or_b64 exec, exec, s[34:35]
.LBB6_5196:                             ;   in Loop: Header=BB6_3875 Depth=3
	s_or_b64 exec, exec, s[30:31]
.LBB6_5197:                             ;   in Loop: Header=BB6_3875 Depth=3
	s_or_b64 exec, exec, s[28:29]
	v_cmp_lt_u64_e32 vcc, s[56:57], v[18:19]
	s_and_saveexec_b64 s[28:29], vcc
	s_cbranch_execz .LBB6_5203
; %bb.5198:                             ;   in Loop: Header=BB6_3875 Depth=3
	v_lshrrev_b32_e32 v0, 24, v19
	v_cmp_ne_u32_e32 vcc, s80, v0
	v_bfrev_b32_e32 v1, 1
	s_and_saveexec_b64 s[30:31], vcc
	s_cbranch_execz .LBB6_5202
; %bb.5199:                             ;   in Loop: Header=BB6_3875 Depth=3
	v_bfe_u32 v3, v19, 24, 7
	v_cmp_ne_u32_e32 vcc, s81, v3
	v_mov_b32_e32 v1, 0x7f800001
	s_and_saveexec_b64 s[34:35], vcc
	s_cbranch_execz .LBB6_5201
; %bb.5200:                             ;   in Loop: Header=BB6_3875 Depth=3
	v_and_b32_e32 v1, 7, v0
	v_lshrrev_b32_e32 v7, 3, v3
	v_cmp_gt_u32_e32 vcc, 8, v3
	v_ffbh_u32_e32 v3, v1
	v_min_u32_e32 v3, 32, v3
	v_subrev_u32_e32 v18, 28, v3
	v_lshlrev_b64 v[18:19], v18, v[0:1]
	v_sub_u32_e32 v3, 29, v3
	v_and_b32_e32 v18, 7, v18
	v_cndmask_b32_e32 v3, v7, v3, vcc
	v_cndmask_b32_e32 v1, v1, v18, vcc
	v_lshlrev_b32_e32 v0, 24, v0
	v_bfrev_b32_e32 v7, 60
	v_lshlrev_b32_e32 v1, 20, v1
	v_and_b32_e32 v0, 0x80000000, v0
	v_lshl_add_u32 v3, v3, 23, v7
	v_or3_b32 v1, v0, v3, v1
.LBB6_5201:                             ;   in Loop: Header=BB6_3875 Depth=3
	s_or_b64 exec, exec, s[34:35]
.LBB6_5202:                             ;   in Loop: Header=BB6_3875 Depth=3
	s_or_b64 exec, exec, s[30:31]
.LBB6_5203:                             ;   in Loop: Header=BB6_3875 Depth=3
	s_or_b64 exec, exec, s[28:29]
	v_mul_f32_e32 v0, v2, v1
	v_and_b32_e32 v20, 0x7f800000, v0
	v_cmp_ne_u64_e32 vcc, s[62:63], v[20:21]
                                        ; implicit-def: $vgpr3
	s_and_saveexec_b64 s[28:29], vcc
	s_xor_b64 s[30:31], exec, s[28:29]
	s_cbranch_execz .LBB6_5217
; %bb.5204:                             ;   in Loop: Header=BB6_3875 Depth=3
	v_and_b32_e32 v20, 0x7fffffff, v0
	v_cmp_gt_u64_e32 vcc, s[78:79], v[20:21]
	v_and_b32_sdwa v7, v0, s80 dst_sel:DWORD dst_unused:UNUSED_PAD src0_sel:BYTE_3 src1_sel:DWORD
                                        ; implicit-def: $vgpr3
	s_and_saveexec_b64 s[28:29], vcc
	s_xor_b64 s[34:35], exec, s[28:29]
	s_cbranch_execz .LBB6_5214
; %bb.5205:                             ;   in Loop: Header=BB6_3875 Depth=3
	v_mov_b32_e32 v3, 0
	v_cmp_ne_u32_e32 vcc, 0, v0
	s_and_saveexec_b64 s[36:37], vcc
	s_cbranch_execz .LBB6_5213
; %bb.5206:                             ;   in Loop: Header=BB6_3875 Depth=3
	v_bfe_u32 v3, v0, 23, 8
	v_and_b32_e32 v1, 0x7fffff, v0
	v_cmp_gt_u32_e64 s[28:29], s47, v3
	v_sub_u32_e32 v0, 0x79, v3
	v_cmp_eq_u32_e32 vcc, 0, v3
	v_cndmask_b32_e64 v0, 0, v0, s[28:29]
	v_mov_b32_e32 v18, 0x78
	v_cndmask_b32_e32 v18, v0, v18, vcc
	v_or_b32_e32 v2, 0x800000, v1
	v_add_u32_e32 v0, 20, v18
	v_cndmask_b32_e32 v20, v2, v1, vcc
	v_lshlrev_b64 v[0:1], v0, -1
	v_add_u32_e32 v2, 19, v18
	v_lshlrev_b64 v[28:29], v2, 1
	v_bfi_b32 v1, v1, 0, 0
	v_bfi_b32 v0, v0, 0, v20
	v_cmp_eq_u64_e64 s[28:29], v[0:1], v[28:29]
	v_lshrrev_b64 v[0:1], v18, v[20:21]
	v_mov_b32_e32 v2, v1
	v_mov_b32_e32 v1, v0
	s_and_saveexec_b64 s[38:39], s[28:29]
; %bb.5207:                             ;   in Loop: Header=BB6_3875 Depth=3
	v_bfe_u32 v1, v0, 20, 1
	v_add_co_u32_e64 v1, s[28:29], v0, v1
	v_add_co_u32_e64 v1, s[28:29], -1, v1
; %bb.5208:                             ;   in Loop: Header=BB6_3875 Depth=3
	s_or_b64 exec, exec, s[38:39]
	v_add_u32_e32 v2, 0xffffff81, v3
	v_mov_b32_e32 v3, 0xffffff82
	v_cndmask_b32_e32 v2, v2, v3, vcc
	v_lshrrev_b32_e32 v3, 23, v0
	v_add3_u32 v18, v18, v2, v3
	v_add_u32_e32 v3, 6, v18
	v_and_b32_e32 v1, 0xfffff, v1
	v_add_u32_e32 v20, v1, v0
	v_cmp_ne_u32_e32 vcc, 0, v3
                                        ; implicit-def: $vgpr0_vgpr1
                                        ; implicit-def: $vgpr2
	s_and_saveexec_b64 s[28:29], vcc
	s_xor_b64 s[28:29], exec, s[28:29]
; %bb.5209:                             ;   in Loop: Header=BB6_3875 Depth=3
	v_cmp_lt_u64_e32 vcc, s[88:89], v[20:21]
	v_add_u32_e32 v0, 7, v18
	v_cndmask_b32_e32 v2, v3, v0, vcc
	v_cndmask_b32_e64 v0, 0, 1, vcc
	v_lshrrev_b64 v[0:1], v0, v[20:21]
; %bb.5210:                             ;   in Loop: Header=BB6_3875 Depth=3
	s_andn2_saveexec_b64 s[28:29], s[28:29]
; %bb.5211:                             ;   in Loop: Header=BB6_3875 Depth=3
	v_mov_b32_e32 v0, v20
	v_bfe_u32 v2, v20, 23, 1
	v_mov_b32_e32 v1, v21
; %bb.5212:                             ;   in Loop: Header=BB6_3875 Depth=3
	s_or_b64 exec, exec, s[28:29]
	v_lshrrev_b64 v[0:1], 20, v[0:1]
	v_cmp_gt_i32_e32 vcc, 16, v2
	v_cndmask_b32_e32 v1, 0, v1, vcc
	v_cndmask_b32_e32 v0, 7, v0, vcc
	v_cmp_eq_u64_e64 s[28:29], 0, v[0:1]
	v_min_i32_e32 v1, 15, v2
	v_lshlrev_b32_e32 v1, 3, v1
	v_cmp_eq_u32_e32 vcc, 0, v2
	v_and_b32_e32 v1, 0xf8, v1
	v_and_or_b32 v0, v0, 7, v1
	s_and_b64 s[28:29], vcc, s[28:29]
	v_cndmask_b32_e64 v0, v0, 0, s[28:29]
	v_or_b32_e32 v3, v0, v7
.LBB6_5213:                             ;   in Loop: Header=BB6_3875 Depth=3
	s_or_b64 exec, exec, s[36:37]
                                        ; implicit-def: $vgpr7
.LBB6_5214:                             ;   in Loop: Header=BB6_3875 Depth=3
	s_andn2_saveexec_b64 s[28:29], s[34:35]
; %bb.5215:                             ;   in Loop: Header=BB6_3875 Depth=3
	v_or_b32_e32 v3, 0x7e, v7
; %bb.5216:                             ;   in Loop: Header=BB6_3875 Depth=3
	s_or_b64 exec, exec, s[28:29]
                                        ; implicit-def: $vgpr0
.LBB6_5217:                             ;   in Loop: Header=BB6_3875 Depth=3
	s_andn2_saveexec_b64 s[28:29], s[30:31]
; %bb.5218:                             ;   in Loop: Header=BB6_3875 Depth=3
	v_or_b32_sdwa v3, v0, s81 dst_sel:DWORD dst_unused:UNUSED_PAD src0_sel:BYTE_3 src1_sel:DWORD
; %bb.5219:                             ;   in Loop: Header=BB6_3875 Depth=3
	s_or_b64 exec, exec, s[28:29]
	v_cmp_ne_u16_sdwa vcc, v12, v21 src0_sel:BYTE_0 src1_sel:DWORD
	v_mov_b32_e32 v0, 0
	v_mov_b32_e32 v1, 0
	s_and_saveexec_b64 s[28:29], vcc
	s_cbranch_execz .LBB6_5225
; %bb.5220:                             ;   in Loop: Header=BB6_3875 Depth=3
	v_cmp_ne_u16_sdwa vcc, v12, s80 src0_sel:BYTE_0 src1_sel:DWORD
	v_bfrev_b32_e32 v1, 1
	s_and_saveexec_b64 s[30:31], vcc
	s_cbranch_execz .LBB6_5224
; %bb.5221:                             ;   in Loop: Header=BB6_3875 Depth=3
	v_and_b32_e32 v2, 0x7f, v12
	v_cmp_ne_u32_e32 vcc, s81, v2
	v_mov_b32_e32 v1, 0x7f800001
	s_and_saveexec_b64 s[34:35], vcc
	s_cbranch_execz .LBB6_5223
; %bb.5222:                             ;   in Loop: Header=BB6_3875 Depth=3
	v_and_b32_e32 v1, 7, v12
	v_ffbh_u32_e32 v1, v1
	v_min_u32_e32 v1, 32, v1
	v_lshrrev_b32_e32 v7, 3, v2
	v_cmp_gt_u32_e32 vcc, 8, v2
	v_subrev_u32_e32 v2, 28, v1
	v_sub_u32_e32 v1, 29, v1
	v_cndmask_b32_e32 v7, v7, v1, vcc
	v_cndmask_b32_e32 v1, 0, v2, vcc
	v_lshlrev_b64 v[1:2], v1, v[12:13]
	v_lshlrev_b32_e32 v2, 24, v12
	v_lshlrev_b32_e32 v1, 20, v1
	v_bfrev_b32_e32 v18, 60
	v_and_b32_e32 v1, 0x700000, v1
	v_and_b32_e32 v2, 0x80000000, v2
	v_lshl_add_u32 v7, v7, 23, v18
	v_or3_b32 v1, v2, v7, v1
.LBB6_5223:                             ;   in Loop: Header=BB6_3875 Depth=3
	s_or_b64 exec, exec, s[34:35]
.LBB6_5224:                             ;   in Loop: Header=BB6_3875 Depth=3
	s_or_b64 exec, exec, s[30:31]
.LBB6_5225:                             ;   in Loop: Header=BB6_3875 Depth=3
	s_or_b64 exec, exec, s[28:29]
	s_waitcnt vmcnt(0)
	v_cmp_ne_u16_sdwa vcc, v8, v21 src0_sel:BYTE_0 src1_sel:DWORD
	s_and_saveexec_b64 s[28:29], vcc
	s_cbranch_execz .LBB6_5231
; %bb.5226:                             ;   in Loop: Header=BB6_3875 Depth=3
	v_cmp_ne_u16_sdwa vcc, v8, s80 src0_sel:BYTE_0 src1_sel:DWORD
	v_bfrev_b32_e32 v0, 1
	s_and_saveexec_b64 s[30:31], vcc
	s_cbranch_execz .LBB6_5230
; %bb.5227:                             ;   in Loop: Header=BB6_3875 Depth=3
	v_and_b32_e32 v2, 0x7f, v8
	v_cmp_ne_u32_e32 vcc, s81, v2
	v_mov_b32_e32 v0, 0x7f800001
	s_and_saveexec_b64 s[34:35], vcc
	s_cbranch_execz .LBB6_5229
; %bb.5228:                             ;   in Loop: Header=BB6_3875 Depth=3
	v_and_b32_e32 v0, 7, v8
	v_ffbh_u32_e32 v0, v0
	v_min_u32_e32 v0, 32, v0
	v_lshrrev_b32_e32 v7, 3, v2
	v_cmp_gt_u32_e32 vcc, 8, v2
	v_subrev_u32_e32 v2, 28, v0
	v_cndmask_b32_e32 v2, 0, v2, vcc
	v_lshlrev_b64 v[18:19], v2, v[8:9]
	v_sub_u32_e32 v0, 29, v0
	v_cndmask_b32_e32 v0, v7, v0, vcc
	v_lshlrev_b32_e32 v2, 20, v18
	v_lshlrev_b32_e32 v7, 24, v8
	v_bfrev_b32_e32 v18, 60
	v_and_b32_e32 v2, 0x700000, v2
	v_and_b32_e32 v7, 0x80000000, v7
	v_lshl_add_u32 v0, v0, 23, v18
	v_or3_b32 v0, v7, v0, v2
.LBB6_5229:                             ;   in Loop: Header=BB6_3875 Depth=3
	s_or_b64 exec, exec, s[34:35]
.LBB6_5230:                             ;   in Loop: Header=BB6_3875 Depth=3
	s_or_b64 exec, exec, s[30:31]
.LBB6_5231:                             ;   in Loop: Header=BB6_3875 Depth=3
	s_or_b64 exec, exec, s[28:29]
	v_mul_f32_e32 v0, v1, v0
	v_and_b32_e32 v20, 0x7f800000, v0
	v_cmp_ne_u64_e32 vcc, s[62:63], v[20:21]
                                        ; implicit-def: $vgpr7
	s_and_saveexec_b64 s[28:29], vcc
	s_xor_b64 s[30:31], exec, s[28:29]
	s_cbranch_execz .LBB6_5245
; %bb.5232:                             ;   in Loop: Header=BB6_3875 Depth=3
	v_and_b32_e32 v20, 0x7fffffff, v0
	v_cmp_gt_u64_e32 vcc, s[78:79], v[20:21]
	v_and_b32_sdwa v18, v0, s80 dst_sel:DWORD dst_unused:UNUSED_PAD src0_sel:BYTE_3 src1_sel:DWORD
                                        ; implicit-def: $vgpr7
	s_and_saveexec_b64 s[28:29], vcc
	s_xor_b64 s[34:35], exec, s[28:29]
	s_cbranch_execz .LBB6_5242
; %bb.5233:                             ;   in Loop: Header=BB6_3875 Depth=3
	v_mov_b32_e32 v7, 0
	v_cmp_ne_u32_e32 vcc, 0, v0
	s_and_saveexec_b64 s[36:37], vcc
	s_cbranch_execz .LBB6_5241
; %bb.5234:                             ;   in Loop: Header=BB6_3875 Depth=3
	v_bfe_u32 v7, v0, 23, 8
	v_and_b32_e32 v1, 0x7fffff, v0
	v_cmp_gt_u32_e64 s[28:29], s47, v7
	v_sub_u32_e32 v0, 0x79, v7
	v_cmp_eq_u32_e32 vcc, 0, v7
	v_cndmask_b32_e64 v0, 0, v0, s[28:29]
	v_mov_b32_e32 v19, 0x78
	v_cndmask_b32_e32 v19, v0, v19, vcc
	v_or_b32_e32 v2, 0x800000, v1
	v_add_u32_e32 v0, 20, v19
	v_cndmask_b32_e32 v20, v2, v1, vcc
	v_lshlrev_b64 v[0:1], v0, -1
	v_add_u32_e32 v2, 19, v19
	v_lshlrev_b64 v[28:29], v2, 1
	v_bfi_b32 v1, v1, 0, 0
	v_bfi_b32 v0, v0, 0, v20
	v_cmp_eq_u64_e64 s[28:29], v[0:1], v[28:29]
	v_lshrrev_b64 v[0:1], v19, v[20:21]
	v_mov_b32_e32 v2, v1
	v_mov_b32_e32 v1, v0
	s_and_saveexec_b64 s[38:39], s[28:29]
; %bb.5235:                             ;   in Loop: Header=BB6_3875 Depth=3
	v_bfe_u32 v1, v0, 20, 1
	v_add_co_u32_e64 v1, s[28:29], v0, v1
	v_add_co_u32_e64 v1, s[28:29], -1, v1
; %bb.5236:                             ;   in Loop: Header=BB6_3875 Depth=3
	s_or_b64 exec, exec, s[38:39]
	v_add_u32_e32 v2, 0xffffff81, v7
	v_mov_b32_e32 v7, 0xffffff82
	v_cndmask_b32_e32 v2, v2, v7, vcc
	v_lshrrev_b32_e32 v7, 23, v0
	v_add3_u32 v19, v19, v2, v7
	v_add_u32_e32 v7, 6, v19
	v_and_b32_e32 v1, 0xfffff, v1
	v_add_u32_e32 v20, v1, v0
	v_cmp_ne_u32_e32 vcc, 0, v7
                                        ; implicit-def: $vgpr0_vgpr1
                                        ; implicit-def: $vgpr2
	s_and_saveexec_b64 s[28:29], vcc
	s_xor_b64 s[28:29], exec, s[28:29]
; %bb.5237:                             ;   in Loop: Header=BB6_3875 Depth=3
	v_cmp_lt_u64_e32 vcc, s[88:89], v[20:21]
	v_add_u32_e32 v0, 7, v19
	v_cndmask_b32_e32 v2, v7, v0, vcc
	v_cndmask_b32_e64 v0, 0, 1, vcc
	v_lshrrev_b64 v[0:1], v0, v[20:21]
; %bb.5238:                             ;   in Loop: Header=BB6_3875 Depth=3
	s_andn2_saveexec_b64 s[28:29], s[28:29]
; %bb.5239:                             ;   in Loop: Header=BB6_3875 Depth=3
	v_mov_b32_e32 v0, v20
	v_bfe_u32 v2, v20, 23, 1
	v_mov_b32_e32 v1, v21
; %bb.5240:                             ;   in Loop: Header=BB6_3875 Depth=3
	s_or_b64 exec, exec, s[28:29]
	v_lshrrev_b64 v[0:1], 20, v[0:1]
	v_cmp_gt_i32_e32 vcc, 16, v2
	v_cndmask_b32_e32 v1, 0, v1, vcc
	v_cndmask_b32_e32 v0, 7, v0, vcc
	v_cmp_eq_u64_e64 s[28:29], 0, v[0:1]
	v_min_i32_e32 v1, 15, v2
	v_lshlrev_b32_e32 v1, 3, v1
	v_cmp_eq_u32_e32 vcc, 0, v2
	v_and_b32_e32 v1, 0xf8, v1
	v_and_or_b32 v0, v0, 7, v1
	s_and_b64 s[28:29], vcc, s[28:29]
	v_cndmask_b32_e64 v0, v0, 0, s[28:29]
	v_or_b32_e32 v7, v0, v18
.LBB6_5241:                             ;   in Loop: Header=BB6_3875 Depth=3
	s_or_b64 exec, exec, s[36:37]
                                        ; implicit-def: $vgpr18
.LBB6_5242:                             ;   in Loop: Header=BB6_3875 Depth=3
	s_andn2_saveexec_b64 s[28:29], s[34:35]
; %bb.5243:                             ;   in Loop: Header=BB6_3875 Depth=3
	v_or_b32_e32 v7, 0x7e, v18
; %bb.5244:                             ;   in Loop: Header=BB6_3875 Depth=3
	s_or_b64 exec, exec, s[28:29]
                                        ; implicit-def: $vgpr0
.LBB6_5245:                             ;   in Loop: Header=BB6_3875 Depth=3
	s_andn2_saveexec_b64 s[28:29], s[30:31]
; %bb.5246:                             ;   in Loop: Header=BB6_3875 Depth=3
	v_or_b32_sdwa v7, v0, s81 dst_sel:DWORD dst_unused:UNUSED_PAD src0_sel:BYTE_3 src1_sel:DWORD
; %bb.5247:                             ;   in Loop: Header=BB6_3875 Depth=3
	s_or_b64 exec, exec, s[28:29]
	v_lshrrev_b16_e32 v0, 8, v12
	v_cmp_ne_u16_e32 vcc, 0, v0
	v_mov_b32_e32 v1, 0
	v_mov_b32_e32 v2, 0
	s_and_saveexec_b64 s[28:29], vcc
	s_cbranch_execz .LBB6_5253
; %bb.5248:                             ;   in Loop: Header=BB6_3875 Depth=3
	v_cmp_ne_u16_e32 vcc, s80, v0
	v_bfrev_b32_e32 v2, 1
	s_and_saveexec_b64 s[30:31], vcc
	s_cbranch_execz .LBB6_5252
; %bb.5249:                             ;   in Loop: Header=BB6_3875 Depth=3
	v_and_b32_e32 v18, 0x7f, v0
	v_cmp_ne_u32_e32 vcc, s81, v18
	v_mov_b32_e32 v2, 0x7f800001
	s_and_saveexec_b64 s[34:35], vcc
	s_cbranch_execz .LBB6_5251
; %bb.5250:                             ;   in Loop: Header=BB6_3875 Depth=3
	v_and_b32_e32 v2, 7, v0
	v_lshrrev_b32_e32 v20, 3, v18
	v_cmp_gt_u32_e32 vcc, 8, v18
	v_ffbh_u32_e32 v18, v2
	v_min_u32_e32 v24, 32, v18
	v_subrev_u32_e32 v18, 28, v24
	v_lshlrev_b64 v[18:19], v18, v[0:1]
	v_sub_u32_e32 v0, 29, v24
	v_and_b32_e32 v18, 7, v18
	v_cndmask_b32_e32 v0, v20, v0, vcc
	v_cndmask_b32_e32 v2, v2, v18, vcc
	v_lshlrev_b32_e32 v18, 16, v12
	v_bfrev_b32_e32 v19, 60
	v_lshlrev_b32_e32 v2, 20, v2
	v_and_b32_e32 v18, 0x80000000, v18
	v_lshl_add_u32 v0, v0, 23, v19
	v_or3_b32 v2, v18, v0, v2
.LBB6_5251:                             ;   in Loop: Header=BB6_3875 Depth=3
	s_or_b64 exec, exec, s[34:35]
.LBB6_5252:                             ;   in Loop: Header=BB6_3875 Depth=3
	s_or_b64 exec, exec, s[30:31]
.LBB6_5253:                             ;   in Loop: Header=BB6_3875 Depth=3
	s_or_b64 exec, exec, s[28:29]
	v_lshrrev_b16_e32 v0, 8, v8
	v_cmp_ne_u16_e32 vcc, 0, v0
	s_and_saveexec_b64 s[28:29], vcc
	s_cbranch_execz .LBB6_5259
; %bb.5254:                             ;   in Loop: Header=BB6_3875 Depth=3
	v_cmp_ne_u16_e32 vcc, s80, v0
	v_bfrev_b32_e32 v1, 1
	s_and_saveexec_b64 s[30:31], vcc
	s_cbranch_execz .LBB6_5258
; %bb.5255:                             ;   in Loop: Header=BB6_3875 Depth=3
	v_and_b32_e32 v18, 0x7f, v0
	v_cmp_ne_u32_e32 vcc, s81, v18
	v_mov_b32_e32 v1, 0x7f800001
	s_and_saveexec_b64 s[34:35], vcc
	s_cbranch_execz .LBB6_5257
; %bb.5256:                             ;   in Loop: Header=BB6_3875 Depth=3
	v_and_b32_e32 v19, 7, v0
	v_ffbh_u32_e32 v1, v19
	v_lshrrev_b32_e32 v20, 3, v18
	v_cmp_gt_u32_e32 vcc, 8, v18
	v_min_u32_e32 v18, 32, v1
	v_subrev_u32_e32 v1, 28, v18
	v_lshlrev_b64 v[0:1], v1, v[0:1]
	v_sub_u32_e32 v1, 29, v18
	v_and_b32_e32 v0, 7, v0
	v_cndmask_b32_e32 v1, v20, v1, vcc
	v_cndmask_b32_e32 v0, v19, v0, vcc
	v_lshlrev_b32_e32 v18, 16, v8
	v_bfrev_b32_e32 v19, 60
	v_lshlrev_b32_e32 v0, 20, v0
	v_and_b32_e32 v18, 0x80000000, v18
	v_lshl_add_u32 v1, v1, 23, v19
	v_or3_b32 v1, v18, v1, v0
.LBB6_5257:                             ;   in Loop: Header=BB6_3875 Depth=3
	s_or_b64 exec, exec, s[34:35]
.LBB6_5258:                             ;   in Loop: Header=BB6_3875 Depth=3
	s_or_b64 exec, exec, s[30:31]
.LBB6_5259:                             ;   in Loop: Header=BB6_3875 Depth=3
	s_or_b64 exec, exec, s[28:29]
	v_mul_f32_e32 v0, v2, v1
	v_and_b32_e32 v20, 0x7f800000, v0
	v_cmp_ne_u64_e32 vcc, s[62:63], v[20:21]
                                        ; implicit-def: $vgpr18
	s_and_saveexec_b64 s[28:29], vcc
	s_xor_b64 s[30:31], exec, s[28:29]
	s_cbranch_execz .LBB6_5273
; %bb.5260:                             ;   in Loop: Header=BB6_3875 Depth=3
	v_and_b32_e32 v20, 0x7fffffff, v0
	v_cmp_gt_u64_e32 vcc, s[78:79], v[20:21]
	v_and_b32_sdwa v19, v0, s80 dst_sel:DWORD dst_unused:UNUSED_PAD src0_sel:BYTE_3 src1_sel:DWORD
                                        ; implicit-def: $vgpr18
	s_and_saveexec_b64 s[28:29], vcc
	s_xor_b64 s[34:35], exec, s[28:29]
	s_cbranch_execz .LBB6_5270
; %bb.5261:                             ;   in Loop: Header=BB6_3875 Depth=3
	v_mov_b32_e32 v18, 0
	v_cmp_ne_u32_e32 vcc, 0, v0
	s_and_saveexec_b64 s[36:37], vcc
	s_cbranch_execz .LBB6_5269
; %bb.5262:                             ;   in Loop: Header=BB6_3875 Depth=3
	v_bfe_u32 v18, v0, 23, 8
	v_and_b32_e32 v1, 0x7fffff, v0
	v_cmp_gt_u32_e64 s[28:29], s47, v18
	v_sub_u32_e32 v0, 0x79, v18
	v_cmp_eq_u32_e32 vcc, 0, v18
	v_cndmask_b32_e64 v0, 0, v0, s[28:29]
	v_mov_b32_e32 v20, 0x78
	v_cndmask_b32_e32 v28, v0, v20, vcc
	v_or_b32_e32 v2, 0x800000, v1
	v_add_u32_e32 v0, 20, v28
	v_cndmask_b32_e32 v20, v2, v1, vcc
	v_lshlrev_b64 v[0:1], v0, -1
	v_add_u32_e32 v2, 19, v28
	v_lshlrev_b64 v[38:39], v2, 1
	v_bfi_b32 v1, v1, 0, 0
	v_bfi_b32 v0, v0, 0, v20
	v_cmp_eq_u64_e64 s[28:29], v[0:1], v[38:39]
	v_lshrrev_b64 v[0:1], v28, v[20:21]
	v_mov_b32_e32 v2, v1
	v_mov_b32_e32 v1, v0
	s_and_saveexec_b64 s[38:39], s[28:29]
; %bb.5263:                             ;   in Loop: Header=BB6_3875 Depth=3
	v_bfe_u32 v1, v0, 20, 1
	v_add_co_u32_e64 v1, s[28:29], v0, v1
	v_add_co_u32_e64 v1, s[28:29], -1, v1
; %bb.5264:                             ;   in Loop: Header=BB6_3875 Depth=3
	s_or_b64 exec, exec, s[38:39]
	v_add_u32_e32 v2, 0xffffff81, v18
	v_mov_b32_e32 v18, 0xffffff82
	v_cndmask_b32_e32 v2, v2, v18, vcc
	v_lshrrev_b32_e32 v18, 23, v0
	v_add3_u32 v28, v28, v2, v18
	v_add_u32_e32 v18, 6, v28
	v_and_b32_e32 v1, 0xfffff, v1
	v_add_u32_e32 v20, v1, v0
	v_cmp_ne_u32_e32 vcc, 0, v18
                                        ; implicit-def: $vgpr0_vgpr1
                                        ; implicit-def: $vgpr2
	s_and_saveexec_b64 s[28:29], vcc
	s_xor_b64 s[28:29], exec, s[28:29]
; %bb.5265:                             ;   in Loop: Header=BB6_3875 Depth=3
	v_cmp_lt_u64_e32 vcc, s[88:89], v[20:21]
	v_add_u32_e32 v0, 7, v28
	v_cndmask_b32_e32 v2, v18, v0, vcc
	v_cndmask_b32_e64 v0, 0, 1, vcc
	v_lshrrev_b64 v[0:1], v0, v[20:21]
; %bb.5266:                             ;   in Loop: Header=BB6_3875 Depth=3
	s_andn2_saveexec_b64 s[28:29], s[28:29]
; %bb.5267:                             ;   in Loop: Header=BB6_3875 Depth=3
	v_mov_b32_e32 v0, v20
	v_bfe_u32 v2, v20, 23, 1
	v_mov_b32_e32 v1, v21
; %bb.5268:                             ;   in Loop: Header=BB6_3875 Depth=3
	s_or_b64 exec, exec, s[28:29]
	v_lshrrev_b64 v[0:1], 20, v[0:1]
	v_cmp_gt_i32_e32 vcc, 16, v2
	v_cndmask_b32_e32 v1, 0, v1, vcc
	v_cndmask_b32_e32 v0, 7, v0, vcc
	v_cmp_eq_u64_e64 s[28:29], 0, v[0:1]
	v_min_i32_e32 v1, 15, v2
	v_lshlrev_b32_e32 v1, 3, v1
	v_cmp_eq_u32_e32 vcc, 0, v2
	v_and_b32_e32 v1, 0xf8, v1
	v_and_or_b32 v0, v0, 7, v1
	s_and_b64 s[28:29], vcc, s[28:29]
	v_cndmask_b32_e64 v0, v0, 0, s[28:29]
	v_or_b32_e32 v18, v0, v19
.LBB6_5269:                             ;   in Loop: Header=BB6_3875 Depth=3
	s_or_b64 exec, exec, s[36:37]
                                        ; implicit-def: $vgpr19
.LBB6_5270:                             ;   in Loop: Header=BB6_3875 Depth=3
	s_andn2_saveexec_b64 s[28:29], s[34:35]
; %bb.5271:                             ;   in Loop: Header=BB6_3875 Depth=3
	v_or_b32_e32 v18, 0x7e, v19
; %bb.5272:                             ;   in Loop: Header=BB6_3875 Depth=3
	s_or_b64 exec, exec, s[28:29]
                                        ; implicit-def: $vgpr0
.LBB6_5273:                             ;   in Loop: Header=BB6_3875 Depth=3
	s_andn2_saveexec_b64 s[28:29], s[30:31]
; %bb.5274:                             ;   in Loop: Header=BB6_3875 Depth=3
	v_or_b32_sdwa v18, v0, s81 dst_sel:DWORD dst_unused:UNUSED_PAD src0_sel:BYTE_3 src1_sel:DWORD
; %bb.5275:                             ;   in Loop: Header=BB6_3875 Depth=3
	s_or_b64 exec, exec, s[28:29]
	v_lshrrev_b32_e32 v0, 16, v12
	v_cmp_ne_u16_sdwa vcc, v0, v21 src0_sel:BYTE_0 src1_sel:DWORD
	v_mov_b32_e32 v1, 0
	v_mov_b32_e32 v2, 0
	s_and_saveexec_b64 s[28:29], vcc
	s_cbranch_execz .LBB6_5281
; %bb.5276:                             ;   in Loop: Header=BB6_3875 Depth=3
	v_cmp_ne_u16_sdwa vcc, v0, s80 src0_sel:BYTE_0 src1_sel:DWORD
	v_bfrev_b32_e32 v2, 1
	s_and_saveexec_b64 s[30:31], vcc
	s_cbranch_execz .LBB6_5280
; %bb.5277:                             ;   in Loop: Header=BB6_3875 Depth=3
	v_bfe_u32 v19, v12, 16, 7
	v_cmp_ne_u32_e32 vcc, s81, v19
	v_mov_b32_e32 v2, 0x7f800001
	s_and_saveexec_b64 s[34:35], vcc
	s_cbranch_execz .LBB6_5279
; %bb.5278:                             ;   in Loop: Header=BB6_3875 Depth=3
	v_and_b32_e32 v2, 7, v0
	v_lshrrev_b32_e32 v24, 3, v19
	v_cmp_gt_u32_e32 vcc, 8, v19
	v_ffbh_u32_e32 v19, v2
	v_min_u32_e32 v25, 32, v19
	v_subrev_u32_e32 v19, 28, v25
	v_lshlrev_b64 v[19:20], v19, v[0:1]
	v_sub_u32_e32 v20, 29, v25
	v_and_b32_e32 v19, 7, v19
	v_cndmask_b32_e32 v20, v24, v20, vcc
	v_cndmask_b32_e32 v2, v2, v19, vcc
	v_lshlrev_b32_e32 v0, 24, v0
	v_bfrev_b32_e32 v19, 60
	v_lshlrev_b32_e32 v2, 20, v2
	v_and_b32_e32 v0, 0x80000000, v0
	v_lshl_add_u32 v19, v20, 23, v19
	v_or3_b32 v2, v0, v19, v2
.LBB6_5279:                             ;   in Loop: Header=BB6_3875 Depth=3
	s_or_b64 exec, exec, s[34:35]
.LBB6_5280:                             ;   in Loop: Header=BB6_3875 Depth=3
	s_or_b64 exec, exec, s[30:31]
.LBB6_5281:                             ;   in Loop: Header=BB6_3875 Depth=3
	s_or_b64 exec, exec, s[28:29]
	v_lshrrev_b32_e32 v0, 16, v8
	v_cmp_ne_u16_sdwa vcc, v0, v21 src0_sel:BYTE_0 src1_sel:DWORD
	s_and_saveexec_b64 s[28:29], vcc
	s_cbranch_execz .LBB6_5287
; %bb.5282:                             ;   in Loop: Header=BB6_3875 Depth=3
	v_cmp_ne_u16_sdwa vcc, v0, s80 src0_sel:BYTE_0 src1_sel:DWORD
	v_bfrev_b32_e32 v1, 1
	s_and_saveexec_b64 s[30:31], vcc
	s_cbranch_execz .LBB6_5286
; %bb.5283:                             ;   in Loop: Header=BB6_3875 Depth=3
	v_bfe_u32 v19, v8, 16, 7
	v_cmp_ne_u32_e32 vcc, s81, v19
	v_mov_b32_e32 v1, 0x7f800001
	s_and_saveexec_b64 s[34:35], vcc
	s_cbranch_execz .LBB6_5285
; %bb.5284:                             ;   in Loop: Header=BB6_3875 Depth=3
	v_and_b32_e32 v20, 7, v0
	v_ffbh_u32_e32 v1, v20
	v_lshrrev_b32_e32 v24, 3, v19
	v_cmp_gt_u32_e32 vcc, 8, v19
	v_min_u32_e32 v19, 32, v1
	v_subrev_u32_e32 v1, 28, v19
	v_lshlrev_b64 v[0:1], v1, v[0:1]
	v_sub_u32_e32 v1, 29, v19
	v_and_b32_e32 v0, 7, v0
	v_cndmask_b32_e32 v1, v24, v1, vcc
	v_cndmask_b32_e32 v0, v20, v0, vcc
	v_lshlrev_b32_e32 v19, 8, v8
	v_bfrev_b32_e32 v20, 60
	v_lshlrev_b32_e32 v0, 20, v0
	v_and_b32_e32 v19, 0x80000000, v19
	v_lshl_add_u32 v1, v1, 23, v20
	v_or3_b32 v1, v19, v1, v0
.LBB6_5285:                             ;   in Loop: Header=BB6_3875 Depth=3
	s_or_b64 exec, exec, s[34:35]
.LBB6_5286:                             ;   in Loop: Header=BB6_3875 Depth=3
	s_or_b64 exec, exec, s[30:31]
.LBB6_5287:                             ;   in Loop: Header=BB6_3875 Depth=3
	s_or_b64 exec, exec, s[28:29]
	v_mul_f32_e32 v0, v2, v1
	v_and_b32_e32 v20, 0x7f800000, v0
	v_cmp_ne_u64_e32 vcc, s[62:63], v[20:21]
                                        ; implicit-def: $vgpr19
	s_and_saveexec_b64 s[28:29], vcc
	s_xor_b64 s[30:31], exec, s[28:29]
	s_cbranch_execz .LBB6_5301
; %bb.5288:                             ;   in Loop: Header=BB6_3875 Depth=3
	v_and_b32_e32 v20, 0x7fffffff, v0
	v_cmp_gt_u64_e32 vcc, s[78:79], v[20:21]
	v_and_b32_sdwa v28, v0, s80 dst_sel:DWORD dst_unused:UNUSED_PAD src0_sel:BYTE_3 src1_sel:DWORD
                                        ; implicit-def: $vgpr19
	s_and_saveexec_b64 s[28:29], vcc
	s_xor_b64 s[34:35], exec, s[28:29]
	s_cbranch_execz .LBB6_5298
; %bb.5289:                             ;   in Loop: Header=BB6_3875 Depth=3
	v_mov_b32_e32 v19, 0
	v_cmp_ne_u32_e32 vcc, 0, v0
	s_and_saveexec_b64 s[36:37], vcc
	s_cbranch_execz .LBB6_5297
; %bb.5290:                             ;   in Loop: Header=BB6_3875 Depth=3
	v_bfe_u32 v19, v0, 23, 8
	v_and_b32_e32 v1, 0x7fffff, v0
	v_cmp_gt_u32_e64 s[28:29], s47, v19
	v_sub_u32_e32 v0, 0x79, v19
	v_cmp_eq_u32_e32 vcc, 0, v19
	v_cndmask_b32_e64 v0, 0, v0, s[28:29]
	v_mov_b32_e32 v20, 0x78
	v_cndmask_b32_e32 v38, v0, v20, vcc
	v_or_b32_e32 v2, 0x800000, v1
	v_add_u32_e32 v0, 20, v38
	v_cndmask_b32_e32 v20, v2, v1, vcc
	v_lshlrev_b64 v[0:1], v0, -1
	v_add_u32_e32 v2, 19, v38
	v_lshlrev_b64 v[50:51], v2, 1
	v_bfi_b32 v1, v1, 0, 0
	v_bfi_b32 v0, v0, 0, v20
	v_cmp_eq_u64_e64 s[28:29], v[0:1], v[50:51]
	v_lshrrev_b64 v[0:1], v38, v[20:21]
	v_mov_b32_e32 v2, v1
	v_mov_b32_e32 v1, v0
	s_and_saveexec_b64 s[38:39], s[28:29]
; %bb.5291:                             ;   in Loop: Header=BB6_3875 Depth=3
	v_bfe_u32 v1, v0, 20, 1
	v_add_co_u32_e64 v1, s[28:29], v0, v1
	v_add_co_u32_e64 v1, s[28:29], -1, v1
; %bb.5292:                             ;   in Loop: Header=BB6_3875 Depth=3
	s_or_b64 exec, exec, s[38:39]
	v_add_u32_e32 v2, 0xffffff81, v19
	v_mov_b32_e32 v19, 0xffffff82
	v_cndmask_b32_e32 v2, v2, v19, vcc
	v_lshrrev_b32_e32 v19, 23, v0
	v_add3_u32 v29, v38, v2, v19
	v_add_u32_e32 v19, 6, v29
	v_and_b32_e32 v1, 0xfffff, v1
	v_add_u32_e32 v20, v1, v0
	v_cmp_ne_u32_e32 vcc, 0, v19
                                        ; implicit-def: $vgpr0_vgpr1
                                        ; implicit-def: $vgpr2
	s_and_saveexec_b64 s[28:29], vcc
	s_xor_b64 s[28:29], exec, s[28:29]
; %bb.5293:                             ;   in Loop: Header=BB6_3875 Depth=3
	v_cmp_lt_u64_e32 vcc, s[88:89], v[20:21]
	v_add_u32_e32 v0, 7, v29
	v_cndmask_b32_e32 v2, v19, v0, vcc
	v_cndmask_b32_e64 v0, 0, 1, vcc
	v_lshrrev_b64 v[0:1], v0, v[20:21]
; %bb.5294:                             ;   in Loop: Header=BB6_3875 Depth=3
	s_andn2_saveexec_b64 s[28:29], s[28:29]
; %bb.5295:                             ;   in Loop: Header=BB6_3875 Depth=3
	v_mov_b32_e32 v0, v20
	v_bfe_u32 v2, v20, 23, 1
	v_mov_b32_e32 v1, v21
; %bb.5296:                             ;   in Loop: Header=BB6_3875 Depth=3
	s_or_b64 exec, exec, s[28:29]
	v_lshrrev_b64 v[0:1], 20, v[0:1]
	v_cmp_gt_i32_e32 vcc, 16, v2
	v_cndmask_b32_e32 v1, 0, v1, vcc
	v_cndmask_b32_e32 v0, 7, v0, vcc
	v_cmp_eq_u64_e64 s[28:29], 0, v[0:1]
	v_min_i32_e32 v1, 15, v2
	v_lshlrev_b32_e32 v1, 3, v1
	v_cmp_eq_u32_e32 vcc, 0, v2
	v_and_b32_e32 v1, 0xf8, v1
	v_and_or_b32 v0, v0, 7, v1
	s_and_b64 s[28:29], vcc, s[28:29]
	v_cndmask_b32_e64 v0, v0, 0, s[28:29]
	v_or_b32_e32 v19, v0, v28
.LBB6_5297:                             ;   in Loop: Header=BB6_3875 Depth=3
	s_or_b64 exec, exec, s[36:37]
                                        ; implicit-def: $vgpr28
.LBB6_5298:                             ;   in Loop: Header=BB6_3875 Depth=3
	s_andn2_saveexec_b64 s[28:29], s[34:35]
; %bb.5299:                             ;   in Loop: Header=BB6_3875 Depth=3
	v_or_b32_e32 v19, 0x7e, v28
; %bb.5300:                             ;   in Loop: Header=BB6_3875 Depth=3
	s_or_b64 exec, exec, s[28:29]
                                        ; implicit-def: $vgpr0
.LBB6_5301:                             ;   in Loop: Header=BB6_3875 Depth=3
	s_andn2_saveexec_b64 s[28:29], s[30:31]
; %bb.5302:                             ;   in Loop: Header=BB6_3875 Depth=3
	v_or_b32_sdwa v19, v0, s81 dst_sel:DWORD dst_unused:UNUSED_PAD src0_sel:BYTE_3 src1_sel:DWORD
; %bb.5303:                             ;   in Loop: Header=BB6_3875 Depth=3
	s_or_b64 exec, exec, s[28:29]
	v_cmp_lt_u32_e32 vcc, s57, v12
	v_mov_b32_e32 v1, 0
	v_mov_b32_e32 v2, 0
	s_and_saveexec_b64 s[28:29], vcc
	s_cbranch_execz .LBB6_5309
; %bb.5304:                             ;   in Loop: Header=BB6_3875 Depth=3
	v_lshrrev_b32_e32 v0, 24, v12
	v_cmp_ne_u32_e32 vcc, s80, v0
	v_bfrev_b32_e32 v2, 1
	s_and_saveexec_b64 s[30:31], vcc
	s_cbranch_execz .LBB6_5308
; %bb.5305:                             ;   in Loop: Header=BB6_3875 Depth=3
	v_bfe_u32 v20, v12, 24, 7
	v_cmp_ne_u32_e32 vcc, s81, v20
	v_mov_b32_e32 v2, 0x7f800001
	s_and_saveexec_b64 s[34:35], vcc
	s_cbranch_execz .LBB6_5307
; %bb.5306:                             ;   in Loop: Header=BB6_3875 Depth=3
	v_and_b32_e32 v2, 7, v0
	v_lshrrev_b32_e32 v24, 3, v20
	v_cmp_gt_u32_e32 vcc, 8, v20
	v_ffbh_u32_e32 v20, v2
	v_min_u32_e32 v20, 32, v20
	v_subrev_u32_e32 v25, 28, v20
	v_lshlrev_b64 v[28:29], v25, v[0:1]
	v_sub_u32_e32 v20, 29, v20
	v_and_b32_e32 v25, 7, v28
	v_cndmask_b32_e32 v20, v24, v20, vcc
	v_cndmask_b32_e32 v2, v2, v25, vcc
	v_lshlrev_b32_e32 v0, 24, v0
	v_bfrev_b32_e32 v24, 60
	v_lshlrev_b32_e32 v2, 20, v2
	v_and_b32_e32 v0, 0x80000000, v0
	v_lshl_add_u32 v20, v20, 23, v24
	v_or3_b32 v2, v0, v20, v2
.LBB6_5307:                             ;   in Loop: Header=BB6_3875 Depth=3
	s_or_b64 exec, exec, s[34:35]
.LBB6_5308:                             ;   in Loop: Header=BB6_3875 Depth=3
	s_or_b64 exec, exec, s[30:31]
.LBB6_5309:                             ;   in Loop: Header=BB6_3875 Depth=3
	s_or_b64 exec, exec, s[28:29]
	v_cmp_lt_u32_e32 vcc, s57, v8
	s_and_saveexec_b64 s[28:29], vcc
	s_cbranch_execz .LBB6_5315
; %bb.5310:                             ;   in Loop: Header=BB6_3875 Depth=3
	v_lshrrev_b32_e32 v0, 24, v8
	v_cmp_ne_u32_e32 vcc, s80, v0
	v_bfrev_b32_e32 v1, 1
	s_and_saveexec_b64 s[30:31], vcc
	s_cbranch_execz .LBB6_5314
; %bb.5311:                             ;   in Loop: Header=BB6_3875 Depth=3
	v_bfe_u32 v20, v8, 24, 7
	v_cmp_ne_u32_e32 vcc, s81, v20
	v_mov_b32_e32 v1, 0x7f800001
	s_and_saveexec_b64 s[34:35], vcc
	s_cbranch_execz .LBB6_5313
; %bb.5312:                             ;   in Loop: Header=BB6_3875 Depth=3
	v_and_b32_e32 v1, 7, v0
	v_lshrrev_b32_e32 v24, 3, v20
	v_cmp_gt_u32_e32 vcc, 8, v20
	v_ffbh_u32_e32 v20, v1
	v_min_u32_e32 v20, 32, v20
	v_subrev_u32_e32 v25, 28, v20
	v_lshlrev_b64 v[28:29], v25, v[0:1]
	v_sub_u32_e32 v20, 29, v20
	v_and_b32_e32 v25, 7, v28
	v_cndmask_b32_e32 v20, v24, v20, vcc
	v_cndmask_b32_e32 v1, v1, v25, vcc
	v_lshlrev_b32_e32 v0, 24, v0
	v_bfrev_b32_e32 v24, 60
	v_lshlrev_b32_e32 v1, 20, v1
	v_and_b32_e32 v0, 0x80000000, v0
	v_lshl_add_u32 v20, v20, 23, v24
	v_or3_b32 v1, v0, v20, v1
.LBB6_5313:                             ;   in Loop: Header=BB6_3875 Depth=3
	s_or_b64 exec, exec, s[34:35]
.LBB6_5314:                             ;   in Loop: Header=BB6_3875 Depth=3
	s_or_b64 exec, exec, s[30:31]
.LBB6_5315:                             ;   in Loop: Header=BB6_3875 Depth=3
	s_or_b64 exec, exec, s[28:29]
	v_mul_f32_e32 v0, v2, v1
	v_and_b32_e32 v20, 0x7f800000, v0
	v_cmp_ne_u64_e32 vcc, s[62:63], v[20:21]
                                        ; implicit-def: $vgpr42
	s_and_saveexec_b64 s[28:29], vcc
	s_xor_b64 s[30:31], exec, s[28:29]
	s_cbranch_execz .LBB6_5329
; %bb.5316:                             ;   in Loop: Header=BB6_3875 Depth=3
	v_and_b32_e32 v20, 0x7fffffff, v0
	v_cmp_gt_u64_e32 vcc, s[78:79], v[20:21]
	v_and_b32_sdwa v28, v0, s80 dst_sel:DWORD dst_unused:UNUSED_PAD src0_sel:BYTE_3 src1_sel:DWORD
                                        ; implicit-def: $vgpr42
	s_and_saveexec_b64 s[28:29], vcc
	s_xor_b64 s[34:35], exec, s[28:29]
	s_cbranch_execz .LBB6_5326
; %bb.5317:                             ;   in Loop: Header=BB6_3875 Depth=3
	v_mov_b32_e32 v42, 0
	v_cmp_ne_u32_e32 vcc, 0, v0
	s_and_saveexec_b64 s[36:37], vcc
	s_cbranch_execz .LBB6_5325
; %bb.5318:                             ;   in Loop: Header=BB6_3875 Depth=3
	v_bfe_u32 v38, v0, 23, 8
	v_and_b32_e32 v1, 0x7fffff, v0
	v_cmp_gt_u32_e64 s[28:29], s47, v38
	v_sub_u32_e32 v0, 0x79, v38
	v_cmp_eq_u32_e32 vcc, 0, v38
	v_cndmask_b32_e64 v0, 0, v0, s[28:29]
	v_mov_b32_e32 v20, 0x78
	v_cndmask_b32_e32 v39, v0, v20, vcc
	v_or_b32_e32 v2, 0x800000, v1
	v_add_u32_e32 v0, 20, v39
	v_cndmask_b32_e32 v20, v2, v1, vcc
	v_lshlrev_b64 v[0:1], v0, -1
	v_add_u32_e32 v2, 19, v39
	v_lshlrev_b64 v[50:51], v2, 1
	v_bfi_b32 v1, v1, 0, 0
	v_bfi_b32 v0, v0, 0, v20
	v_cmp_eq_u64_e64 s[28:29], v[0:1], v[50:51]
	v_lshrrev_b64 v[0:1], v39, v[20:21]
	v_mov_b32_e32 v2, v1
	v_mov_b32_e32 v1, v0
	s_and_saveexec_b64 s[38:39], s[28:29]
; %bb.5319:                             ;   in Loop: Header=BB6_3875 Depth=3
	v_bfe_u32 v1, v0, 20, 1
	v_add_co_u32_e64 v1, s[28:29], v0, v1
	v_add_co_u32_e64 v1, s[28:29], -1, v1
; %bb.5320:                             ;   in Loop: Header=BB6_3875 Depth=3
	s_or_b64 exec, exec, s[38:39]
	v_add_u32_e32 v2, 0xffffff81, v38
	v_mov_b32_e32 v20, 0xffffff82
	v_cndmask_b32_e32 v2, v2, v20, vcc
	v_lshrrev_b32_e32 v20, 23, v0
	v_add3_u32 v38, v39, v2, v20
	v_add_u32_e32 v29, 6, v38
	v_and_b32_e32 v1, 0xfffff, v1
	v_add_u32_e32 v20, v1, v0
	v_cmp_ne_u32_e32 vcc, 0, v29
                                        ; implicit-def: $vgpr0_vgpr1
                                        ; implicit-def: $vgpr2
	s_and_saveexec_b64 s[28:29], vcc
	s_xor_b64 s[28:29], exec, s[28:29]
; %bb.5321:                             ;   in Loop: Header=BB6_3875 Depth=3
	v_cmp_lt_u64_e32 vcc, s[88:89], v[20:21]
	v_add_u32_e32 v0, 7, v38
	v_cndmask_b32_e32 v2, v29, v0, vcc
	v_cndmask_b32_e64 v0, 0, 1, vcc
	v_lshrrev_b64 v[0:1], v0, v[20:21]
; %bb.5322:                             ;   in Loop: Header=BB6_3875 Depth=3
	s_andn2_saveexec_b64 s[28:29], s[28:29]
; %bb.5323:                             ;   in Loop: Header=BB6_3875 Depth=3
	v_mov_b32_e32 v0, v20
	v_bfe_u32 v2, v20, 23, 1
	v_mov_b32_e32 v1, v21
; %bb.5324:                             ;   in Loop: Header=BB6_3875 Depth=3
	s_or_b64 exec, exec, s[28:29]
	v_lshrrev_b64 v[0:1], 20, v[0:1]
	v_cmp_gt_i32_e32 vcc, 16, v2
	v_cndmask_b32_e32 v1, 0, v1, vcc
	v_cndmask_b32_e32 v0, 7, v0, vcc
	v_cmp_eq_u64_e64 s[28:29], 0, v[0:1]
	v_min_i32_e32 v1, 15, v2
	v_lshlrev_b32_e32 v1, 3, v1
	v_cmp_eq_u32_e32 vcc, 0, v2
	v_and_b32_e32 v1, 0xf8, v1
	v_and_or_b32 v0, v0, 7, v1
	s_and_b64 s[28:29], vcc, s[28:29]
	v_cndmask_b32_e64 v0, v0, 0, s[28:29]
	v_or_b32_e32 v42, v0, v28
.LBB6_5325:                             ;   in Loop: Header=BB6_3875 Depth=3
	s_or_b64 exec, exec, s[36:37]
                                        ; implicit-def: $vgpr28
.LBB6_5326:                             ;   in Loop: Header=BB6_3875 Depth=3
	s_andn2_saveexec_b64 s[28:29], s[34:35]
; %bb.5327:                             ;   in Loop: Header=BB6_3875 Depth=3
	v_or_b32_e32 v42, 0x7e, v28
; %bb.5328:                             ;   in Loop: Header=BB6_3875 Depth=3
	s_or_b64 exec, exec, s[28:29]
                                        ; implicit-def: $vgpr0
.LBB6_5329:                             ;   in Loop: Header=BB6_3875 Depth=3
	s_andn2_saveexec_b64 s[28:29], s[30:31]
; %bb.5330:                             ;   in Loop: Header=BB6_3875 Depth=3
	v_or_b32_sdwa v42, v0, s81 dst_sel:DWORD dst_unused:UNUSED_PAD src0_sel:BYTE_3 src1_sel:DWORD
; %bb.5331:                             ;   in Loop: Header=BB6_3875 Depth=3
	s_or_b64 exec, exec, s[28:29]
	v_mov_b32_e32 v20, v13
	v_cmp_ne_u16_sdwa vcc, v13, v21 src0_sel:BYTE_0 src1_sel:DWORD
	v_mov_b32_e32 v1, 0
	v_mov_b32_e32 v0, 0
	s_and_saveexec_b64 s[28:29], vcc
	s_cbranch_execz .LBB6_5337
; %bb.5332:                             ;   in Loop: Header=BB6_3875 Depth=3
	v_cmp_ne_u16_sdwa vcc, v13, s80 src0_sel:BYTE_0 src1_sel:DWORD
	v_bfrev_b32_e32 v0, 1
	s_and_saveexec_b64 s[30:31], vcc
	s_cbranch_execz .LBB6_5336
; %bb.5333:                             ;   in Loop: Header=BB6_3875 Depth=3
	v_and_b32_e32 v2, 0x7f, v13
	v_cmp_ne_u32_e32 vcc, s81, v2
	v_mov_b32_e32 v0, 0x7f800001
	s_and_saveexec_b64 s[34:35], vcc
	s_cbranch_execz .LBB6_5335
; %bb.5334:                             ;   in Loop: Header=BB6_3875 Depth=3
	v_and_b32_e32 v0, 7, v13
	v_ffbh_u32_e32 v0, v0
	v_min_u32_e32 v0, 32, v0
	v_lshrrev_b32_e32 v24, 3, v2
	v_cmp_gt_u32_e32 vcc, 8, v2
	v_subrev_u32_e32 v2, 28, v0
	v_cndmask_b32_e32 v2, 0, v2, vcc
	v_lshlrev_b64 v[28:29], v2, v[20:21]
	v_sub_u32_e32 v0, 29, v0
	v_cndmask_b32_e32 v0, v24, v0, vcc
	v_lshlrev_b32_e32 v2, 20, v28
	v_lshlrev_b32_e32 v24, 24, v20
	v_bfrev_b32_e32 v25, 60
	v_and_b32_e32 v2, 0x700000, v2
	v_and_b32_e32 v24, 0x80000000, v24
	v_lshl_add_u32 v0, v0, 23, v25
	v_or3_b32 v0, v24, v0, v2
.LBB6_5335:                             ;   in Loop: Header=BB6_3875 Depth=3
	s_or_b64 exec, exec, s[34:35]
.LBB6_5336:                             ;   in Loop: Header=BB6_3875 Depth=3
	s_or_b64 exec, exec, s[30:31]
.LBB6_5337:                             ;   in Loop: Header=BB6_3875 Depth=3
	s_or_b64 exec, exec, s[28:29]
	v_cmp_ne_u16_sdwa vcc, v9, v21 src0_sel:BYTE_0 src1_sel:DWORD
	s_and_saveexec_b64 s[28:29], vcc
	s_cbranch_execz .LBB6_5343
; %bb.5338:                             ;   in Loop: Header=BB6_3875 Depth=3
	v_cmp_ne_u16_sdwa vcc, v9, s80 src0_sel:BYTE_0 src1_sel:DWORD
	v_bfrev_b32_e32 v1, 1
	s_and_saveexec_b64 s[30:31], vcc
	s_cbranch_execz .LBB6_5342
; %bb.5339:                             ;   in Loop: Header=BB6_3875 Depth=3
	v_and_b32_e32 v2, 0x7f, v9
	v_cmp_ne_u32_e32 vcc, s81, v2
	v_mov_b32_e32 v1, 0x7f800001
	s_and_saveexec_b64 s[34:35], vcc
	s_cbranch_execz .LBB6_5341
; %bb.5340:                             ;   in Loop: Header=BB6_3875 Depth=3
	v_and_b32_e32 v1, 7, v9
	v_ffbh_u32_e32 v1, v1
	v_min_u32_e32 v1, 32, v1
	v_lshrrev_b32_e32 v24, 3, v2
	v_cmp_gt_u32_e32 vcc, 8, v2
	v_subrev_u32_e32 v2, 28, v1
	v_sub_u32_e32 v1, 29, v1
	v_mov_b32_e32 v28, v9
	v_mov_b32_e32 v29, v21
	v_cndmask_b32_e32 v24, v24, v1, vcc
	v_cndmask_b32_e32 v1, 0, v2, vcc
	v_lshlrev_b64 v[1:2], v1, v[28:29]
	v_lshlrev_b32_e32 v2, 24, v28
	v_lshlrev_b32_e32 v1, 20, v1
	v_bfrev_b32_e32 v25, 60
	v_and_b32_e32 v1, 0x700000, v1
	v_and_b32_e32 v2, 0x80000000, v2
	v_lshl_add_u32 v24, v24, 23, v25
	v_or3_b32 v1, v2, v24, v1
.LBB6_5341:                             ;   in Loop: Header=BB6_3875 Depth=3
	s_or_b64 exec, exec, s[34:35]
.LBB6_5342:                             ;   in Loop: Header=BB6_3875 Depth=3
	s_or_b64 exec, exec, s[30:31]
.LBB6_5343:                             ;   in Loop: Header=BB6_3875 Depth=3
	s_or_b64 exec, exec, s[28:29]
	v_mul_f32_e32 v0, v0, v1
	v_and_b32_e32 v1, 0x7f800000, v0
	v_mov_b32_e32 v2, v21
	v_cmp_ne_u64_e32 vcc, s[62:63], v[1:2]
                                        ; implicit-def: $vgpr46
	s_and_saveexec_b64 s[28:29], vcc
	s_xor_b64 s[30:31], exec, s[28:29]
	s_cbranch_execz .LBB6_5357
; %bb.5344:                             ;   in Loop: Header=BB6_3875 Depth=3
	v_and_b32_e32 v1, 0x7fffffff, v0
	v_mov_b32_e32 v2, v21
	v_cmp_gt_u64_e32 vcc, s[78:79], v[1:2]
	v_and_b32_sdwa v28, v0, s80 dst_sel:DWORD dst_unused:UNUSED_PAD src0_sel:BYTE_3 src1_sel:DWORD
                                        ; implicit-def: $vgpr46
	s_and_saveexec_b64 s[28:29], vcc
	s_xor_b64 s[34:35], exec, s[28:29]
	s_cbranch_execz .LBB6_5354
; %bb.5345:                             ;   in Loop: Header=BB6_3875 Depth=3
	v_mov_b32_e32 v46, 0
	v_cmp_ne_u32_e32 vcc, 0, v0
	s_and_saveexec_b64 s[36:37], vcc
	s_cbranch_execz .LBB6_5353
; %bb.5346:                             ;   in Loop: Header=BB6_3875 Depth=3
	v_bfe_u32 v38, v0, 23, 8
	v_and_b32_e32 v1, 0x7fffff, v0
	v_cmp_gt_u32_e64 s[28:29], s47, v38
	v_sub_u32_e32 v0, 0x79, v38
	v_cmp_eq_u32_e32 vcc, 0, v38
	v_cndmask_b32_e64 v0, 0, v0, s[28:29]
	v_mov_b32_e32 v24, 0x78
	v_or_b32_e32 v2, 0x800000, v1
	v_cndmask_b32_e32 v39, v0, v24, vcc
	v_cndmask_b32_e32 v0, v2, v1, vcc
	v_add_u32_e32 v2, 20, v39
	v_lshlrev_b64 v[50:51], v2, -1
	v_mov_b32_e32 v1, v21
	v_add_u32_e32 v2, 19, v39
	v_bfi_b32 v50, v50, 0, v0
	v_lshlrev_b64 v[46:47], v2, 1
	v_lshrrev_b64 v[0:1], v39, v[0:1]
	v_bfi_b32 v51, v51, 0, 0
	v_cmp_eq_u64_e64 s[28:29], v[50:51], v[46:47]
	v_mov_b32_e32 v2, v1
	v_mov_b32_e32 v1, v0
	s_and_saveexec_b64 s[38:39], s[28:29]
; %bb.5347:                             ;   in Loop: Header=BB6_3875 Depth=3
	v_bfe_u32 v1, v0, 20, 1
	v_add_co_u32_e64 v1, s[28:29], v0, v1
	v_add_co_u32_e64 v1, s[28:29], -1, v1
; %bb.5348:                             ;   in Loop: Header=BB6_3875 Depth=3
	s_or_b64 exec, exec, s[38:39]
	v_add_u32_e32 v2, 0xffffff81, v38
	v_mov_b32_e32 v24, 0xffffff82
	v_cndmask_b32_e32 v2, v2, v24, vcc
	v_lshrrev_b32_e32 v24, 23, v0
	v_add3_u32 v38, v39, v2, v24
	v_add_u32_e32 v29, 6, v38
	v_and_b32_e32 v1, 0xfffff, v1
	v_add_u32_e32 v0, v1, v0
	v_mov_b32_e32 v1, v21
	v_cmp_ne_u32_e32 vcc, 0, v29
                                        ; implicit-def: $vgpr2
	s_and_saveexec_b64 s[28:29], vcc
	s_xor_b64 s[28:29], exec, s[28:29]
; %bb.5349:                             ;   in Loop: Header=BB6_3875 Depth=3
	v_cmp_lt_u64_e32 vcc, s[88:89], v[0:1]
	v_add_u32_e32 v2, 7, v38
	v_cndmask_b32_e64 v24, 0, 1, vcc
	v_lshrrev_b64 v[0:1], v24, v[0:1]
	v_cndmask_b32_e32 v2, v29, v2, vcc
; %bb.5350:                             ;   in Loop: Header=BB6_3875 Depth=3
	s_andn2_saveexec_b64 s[28:29], s[28:29]
; %bb.5351:                             ;   in Loop: Header=BB6_3875 Depth=3
	v_bfe_u32 v2, v0, 23, 1
; %bb.5352:                             ;   in Loop: Header=BB6_3875 Depth=3
	s_or_b64 exec, exec, s[28:29]
	v_lshrrev_b64 v[0:1], 20, v[0:1]
	v_cmp_gt_i32_e32 vcc, 16, v2
	v_cndmask_b32_e32 v1, 0, v1, vcc
	v_cndmask_b32_e32 v0, 7, v0, vcc
	v_cmp_eq_u64_e64 s[28:29], 0, v[0:1]
	v_min_i32_e32 v1, 15, v2
	v_lshlrev_b32_e32 v1, 3, v1
	v_cmp_eq_u32_e32 vcc, 0, v2
	v_and_b32_e32 v1, 0xf8, v1
	v_and_or_b32 v0, v0, 7, v1
	s_and_b64 s[28:29], vcc, s[28:29]
	v_cndmask_b32_e64 v0, v0, 0, s[28:29]
	v_or_b32_e32 v46, v0, v28
.LBB6_5353:                             ;   in Loop: Header=BB6_3875 Depth=3
	s_or_b64 exec, exec, s[36:37]
                                        ; implicit-def: $vgpr28
.LBB6_5354:                             ;   in Loop: Header=BB6_3875 Depth=3
	s_andn2_saveexec_b64 s[28:29], s[34:35]
; %bb.5355:                             ;   in Loop: Header=BB6_3875 Depth=3
	v_or_b32_e32 v46, 0x7e, v28
; %bb.5356:                             ;   in Loop: Header=BB6_3875 Depth=3
	s_or_b64 exec, exec, s[28:29]
                                        ; implicit-def: $vgpr0
.LBB6_5357:                             ;   in Loop: Header=BB6_3875 Depth=3
	s_andn2_saveexec_b64 s[28:29], s[30:31]
; %bb.5358:                             ;   in Loop: Header=BB6_3875 Depth=3
	v_or_b32_sdwa v46, v0, s81 dst_sel:DWORD dst_unused:UNUSED_PAD src0_sel:BYTE_3 src1_sel:DWORD
; %bb.5359:                             ;   in Loop: Header=BB6_3875 Depth=3
	s_or_b64 exec, exec, s[28:29]
	v_lshrrev_b16_e32 v0, 8, v20
	v_cmp_ne_u16_e32 vcc, 0, v0
	v_mov_b32_e32 v1, 0
	v_mov_b32_e32 v2, 0
	s_and_saveexec_b64 s[28:29], vcc
	s_cbranch_execz .LBB6_5365
; %bb.5360:                             ;   in Loop: Header=BB6_3875 Depth=3
	v_cmp_ne_u16_e32 vcc, s80, v0
	v_bfrev_b32_e32 v2, 1
	s_and_saveexec_b64 s[30:31], vcc
	s_cbranch_execz .LBB6_5364
; %bb.5361:                             ;   in Loop: Header=BB6_3875 Depth=3
	v_and_b32_e32 v28, 0x7f, v0
	v_cmp_ne_u32_e32 vcc, s81, v28
	v_mov_b32_e32 v2, 0x7f800001
	s_and_saveexec_b64 s[34:35], vcc
	s_cbranch_execz .LBB6_5363
; %bb.5362:                             ;   in Loop: Header=BB6_3875 Depth=3
	v_and_b32_e32 v2, 7, v0
	v_ffbh_u32_e32 v25, v2
	v_min_u32_e32 v25, 32, v25
	v_lshrrev_b32_e32 v24, 3, v28
	v_cmp_gt_u32_e32 vcc, 8, v28
	v_subrev_u32_e32 v28, 28, v25
	v_lshlrev_b64 v[28:29], v28, v[0:1]
	v_sub_u32_e32 v0, 29, v25
	v_and_b32_e32 v25, 7, v28
	v_cndmask_b32_e32 v0, v24, v0, vcc
	v_cndmask_b32_e32 v2, v2, v25, vcc
	v_lshlrev_b32_e32 v20, 16, v20
	v_bfrev_b32_e32 v24, 60
	v_lshlrev_b32_e32 v2, 20, v2
	v_and_b32_e32 v20, 0x80000000, v20
	v_lshl_add_u32 v0, v0, 23, v24
	v_or3_b32 v2, v20, v0, v2
.LBB6_5363:                             ;   in Loop: Header=BB6_3875 Depth=3
	s_or_b64 exec, exec, s[34:35]
.LBB6_5364:                             ;   in Loop: Header=BB6_3875 Depth=3
	s_or_b64 exec, exec, s[30:31]
.LBB6_5365:                             ;   in Loop: Header=BB6_3875 Depth=3
	s_or_b64 exec, exec, s[28:29]
	v_lshrrev_b16_e32 v0, 8, v9
	v_cmp_ne_u16_e32 vcc, 0, v0
	s_and_saveexec_b64 s[28:29], vcc
	s_cbranch_execz .LBB6_5371
; %bb.5366:                             ;   in Loop: Header=BB6_3875 Depth=3
	v_cmp_ne_u16_e32 vcc, s80, v0
	v_bfrev_b32_e32 v1, 1
	s_and_saveexec_b64 s[30:31], vcc
	s_cbranch_execz .LBB6_5370
; %bb.5367:                             ;   in Loop: Header=BB6_3875 Depth=3
	v_and_b32_e32 v20, 0x7f, v0
	v_cmp_ne_u32_e32 vcc, s81, v20
	v_mov_b32_e32 v1, 0x7f800001
	s_and_saveexec_b64 s[34:35], vcc
	s_cbranch_execz .LBB6_5369
; %bb.5368:                             ;   in Loop: Header=BB6_3875 Depth=3
	v_and_b32_e32 v24, 7, v0
	v_ffbh_u32_e32 v1, v24
	v_lshrrev_b32_e32 v25, 3, v20
	v_cmp_gt_u32_e32 vcc, 8, v20
	v_min_u32_e32 v20, 32, v1
	v_subrev_u32_e32 v1, 28, v20
	v_lshlrev_b64 v[0:1], v1, v[0:1]
	v_sub_u32_e32 v1, 29, v20
	v_and_b32_e32 v0, 7, v0
	v_cndmask_b32_e32 v1, v25, v1, vcc
	v_cndmask_b32_e32 v0, v24, v0, vcc
	v_lshlrev_b32_e32 v20, 16, v9
	v_bfrev_b32_e32 v24, 60
	v_lshlrev_b32_e32 v0, 20, v0
	v_and_b32_e32 v20, 0x80000000, v20
	v_lshl_add_u32 v1, v1, 23, v24
	v_or3_b32 v1, v20, v1, v0
.LBB6_5369:                             ;   in Loop: Header=BB6_3875 Depth=3
	s_or_b64 exec, exec, s[34:35]
.LBB6_5370:                             ;   in Loop: Header=BB6_3875 Depth=3
	s_or_b64 exec, exec, s[30:31]
.LBB6_5371:                             ;   in Loop: Header=BB6_3875 Depth=3
	s_or_b64 exec, exec, s[28:29]
	v_mul_f32_e32 v0, v2, v1
	v_and_b32_e32 v20, 0x7f800000, v0
	v_cmp_ne_u64_e32 vcc, s[62:63], v[20:21]
                                        ; implicit-def: $vgpr47
	s_and_saveexec_b64 s[28:29], vcc
	s_xor_b64 s[30:31], exec, s[28:29]
	s_cbranch_execz .LBB6_5385
; %bb.5372:                             ;   in Loop: Header=BB6_3875 Depth=3
	v_and_b32_e32 v20, 0x7fffffff, v0
	v_cmp_gt_u64_e32 vcc, s[78:79], v[20:21]
	v_and_b32_sdwa v28, v0, s80 dst_sel:DWORD dst_unused:UNUSED_PAD src0_sel:BYTE_3 src1_sel:DWORD
                                        ; implicit-def: $vgpr47
	s_and_saveexec_b64 s[28:29], vcc
	s_xor_b64 s[34:35], exec, s[28:29]
	s_cbranch_execz .LBB6_5382
; %bb.5373:                             ;   in Loop: Header=BB6_3875 Depth=3
	v_mov_b32_e32 v47, 0
	v_cmp_ne_u32_e32 vcc, 0, v0
	s_and_saveexec_b64 s[36:37], vcc
	s_cbranch_execz .LBB6_5381
; %bb.5374:                             ;   in Loop: Header=BB6_3875 Depth=3
	v_bfe_u32 v38, v0, 23, 8
	v_and_b32_e32 v1, 0x7fffff, v0
	v_cmp_gt_u32_e64 s[28:29], s47, v38
	v_sub_u32_e32 v0, 0x79, v38
	v_cmp_eq_u32_e32 vcc, 0, v38
	v_cndmask_b32_e64 v0, 0, v0, s[28:29]
	v_mov_b32_e32 v20, 0x78
	v_cndmask_b32_e32 v39, v0, v20, vcc
	v_or_b32_e32 v2, 0x800000, v1
	v_add_u32_e32 v0, 20, v39
	v_cndmask_b32_e32 v20, v2, v1, vcc
	v_lshlrev_b64 v[0:1], v0, -1
	v_add_u32_e32 v2, 19, v39
	v_lshlrev_b64 v[50:51], v2, 1
	v_bfi_b32 v1, v1, 0, 0
	v_bfi_b32 v0, v0, 0, v20
	v_cmp_eq_u64_e64 s[28:29], v[0:1], v[50:51]
	v_lshrrev_b64 v[0:1], v39, v[20:21]
	v_mov_b32_e32 v2, v1
	v_mov_b32_e32 v1, v0
	s_and_saveexec_b64 s[38:39], s[28:29]
; %bb.5375:                             ;   in Loop: Header=BB6_3875 Depth=3
	v_bfe_u32 v1, v0, 20, 1
	v_add_co_u32_e64 v1, s[28:29], v0, v1
	v_add_co_u32_e64 v1, s[28:29], -1, v1
; %bb.5376:                             ;   in Loop: Header=BB6_3875 Depth=3
	s_or_b64 exec, exec, s[38:39]
	v_add_u32_e32 v2, 0xffffff81, v38
	v_mov_b32_e32 v20, 0xffffff82
	v_cndmask_b32_e32 v2, v2, v20, vcc
	v_lshrrev_b32_e32 v20, 23, v0
	v_add3_u32 v38, v39, v2, v20
	v_add_u32_e32 v29, 6, v38
	v_and_b32_e32 v1, 0xfffff, v1
	v_add_u32_e32 v20, v1, v0
	v_cmp_ne_u32_e32 vcc, 0, v29
                                        ; implicit-def: $vgpr0_vgpr1
                                        ; implicit-def: $vgpr2
	s_and_saveexec_b64 s[28:29], vcc
	s_xor_b64 s[28:29], exec, s[28:29]
; %bb.5377:                             ;   in Loop: Header=BB6_3875 Depth=3
	v_cmp_lt_u64_e32 vcc, s[88:89], v[20:21]
	v_add_u32_e32 v0, 7, v38
	v_cndmask_b32_e32 v2, v29, v0, vcc
	v_cndmask_b32_e64 v0, 0, 1, vcc
	v_lshrrev_b64 v[0:1], v0, v[20:21]
; %bb.5378:                             ;   in Loop: Header=BB6_3875 Depth=3
	s_andn2_saveexec_b64 s[28:29], s[28:29]
; %bb.5379:                             ;   in Loop: Header=BB6_3875 Depth=3
	v_mov_b32_e32 v0, v20
	v_bfe_u32 v2, v20, 23, 1
	v_mov_b32_e32 v1, v21
; %bb.5380:                             ;   in Loop: Header=BB6_3875 Depth=3
	s_or_b64 exec, exec, s[28:29]
	v_lshrrev_b64 v[0:1], 20, v[0:1]
	v_cmp_gt_i32_e32 vcc, 16, v2
	v_cndmask_b32_e32 v1, 0, v1, vcc
	v_cndmask_b32_e32 v0, 7, v0, vcc
	v_cmp_eq_u64_e64 s[28:29], 0, v[0:1]
	v_min_i32_e32 v1, 15, v2
	v_lshlrev_b32_e32 v1, 3, v1
	v_cmp_eq_u32_e32 vcc, 0, v2
	v_and_b32_e32 v1, 0xf8, v1
	v_and_or_b32 v0, v0, 7, v1
	s_and_b64 s[28:29], vcc, s[28:29]
	v_cndmask_b32_e64 v0, v0, 0, s[28:29]
	v_or_b32_e32 v47, v0, v28
.LBB6_5381:                             ;   in Loop: Header=BB6_3875 Depth=3
	s_or_b64 exec, exec, s[36:37]
                                        ; implicit-def: $vgpr28
.LBB6_5382:                             ;   in Loop: Header=BB6_3875 Depth=3
	s_andn2_saveexec_b64 s[28:29], s[34:35]
; %bb.5383:                             ;   in Loop: Header=BB6_3875 Depth=3
	v_or_b32_e32 v47, 0x7e, v28
; %bb.5384:                             ;   in Loop: Header=BB6_3875 Depth=3
	s_or_b64 exec, exec, s[28:29]
                                        ; implicit-def: $vgpr0
.LBB6_5385:                             ;   in Loop: Header=BB6_3875 Depth=3
	s_andn2_saveexec_b64 s[28:29], s[30:31]
; %bb.5386:                             ;   in Loop: Header=BB6_3875 Depth=3
	v_or_b32_sdwa v47, v0, s81 dst_sel:DWORD dst_unused:UNUSED_PAD src0_sel:BYTE_3 src1_sel:DWORD
; %bb.5387:                             ;   in Loop: Header=BB6_3875 Depth=3
	s_or_b64 exec, exec, s[28:29]
	v_lshrrev_b32_e32 v0, 16, v13
	v_cmp_ne_u16_sdwa vcc, v0, v21 src0_sel:BYTE_0 src1_sel:DWORD
	v_mov_b32_e32 v1, 0
	v_mov_b32_e32 v2, 0
	s_and_saveexec_b64 s[28:29], vcc
	s_cbranch_execz .LBB6_5393
; %bb.5388:                             ;   in Loop: Header=BB6_3875 Depth=3
	v_cmp_ne_u16_sdwa vcc, v0, s80 src0_sel:BYTE_0 src1_sel:DWORD
	v_bfrev_b32_e32 v2, 1
	s_and_saveexec_b64 s[30:31], vcc
	s_cbranch_execz .LBB6_5392
; %bb.5389:                             ;   in Loop: Header=BB6_3875 Depth=3
	v_bfe_u32 v20, v13, 16, 7
	v_cmp_ne_u32_e32 vcc, s81, v20
	v_mov_b32_e32 v2, 0x7f800001
	s_and_saveexec_b64 s[34:35], vcc
	s_cbranch_execz .LBB6_5391
; %bb.5390:                             ;   in Loop: Header=BB6_3875 Depth=3
	v_and_b32_e32 v2, 7, v0
	v_lshrrev_b32_e32 v24, 3, v20
	v_cmp_gt_u32_e32 vcc, 8, v20
	v_ffbh_u32_e32 v20, v2
	v_min_u32_e32 v20, 32, v20
	v_subrev_u32_e32 v25, 28, v20
	v_lshlrev_b64 v[28:29], v25, v[0:1]
	v_sub_u32_e32 v20, 29, v20
	v_and_b32_e32 v25, 7, v28
	v_cndmask_b32_e32 v20, v24, v20, vcc
	v_cndmask_b32_e32 v2, v2, v25, vcc
	v_lshlrev_b32_e32 v0, 24, v0
	v_bfrev_b32_e32 v24, 60
	v_lshlrev_b32_e32 v2, 20, v2
	v_and_b32_e32 v0, 0x80000000, v0
	v_lshl_add_u32 v20, v20, 23, v24
	v_or3_b32 v2, v0, v20, v2
.LBB6_5391:                             ;   in Loop: Header=BB6_3875 Depth=3
	s_or_b64 exec, exec, s[34:35]
.LBB6_5392:                             ;   in Loop: Header=BB6_3875 Depth=3
	s_or_b64 exec, exec, s[30:31]
.LBB6_5393:                             ;   in Loop: Header=BB6_3875 Depth=3
	s_or_b64 exec, exec, s[28:29]
	v_lshrrev_b32_e32 v0, 16, v9
	v_cmp_ne_u16_sdwa vcc, v0, v21 src0_sel:BYTE_0 src1_sel:DWORD
	s_and_saveexec_b64 s[28:29], vcc
	s_cbranch_execz .LBB6_5399
; %bb.5394:                             ;   in Loop: Header=BB6_3875 Depth=3
	v_cmp_ne_u16_sdwa vcc, v0, s80 src0_sel:BYTE_0 src1_sel:DWORD
	v_bfrev_b32_e32 v1, 1
	s_and_saveexec_b64 s[30:31], vcc
	s_cbranch_execz .LBB6_5398
; %bb.5395:                             ;   in Loop: Header=BB6_3875 Depth=3
	v_bfe_u32 v20, v9, 16, 7
	v_cmp_ne_u32_e32 vcc, s81, v20
	v_mov_b32_e32 v1, 0x7f800001
	s_and_saveexec_b64 s[34:35], vcc
	s_cbranch_execz .LBB6_5397
; %bb.5396:                             ;   in Loop: Header=BB6_3875 Depth=3
	v_and_b32_e32 v24, 7, v0
	v_ffbh_u32_e32 v1, v24
	v_lshrrev_b32_e32 v25, 3, v20
	v_cmp_gt_u32_e32 vcc, 8, v20
	v_min_u32_e32 v20, 32, v1
	v_subrev_u32_e32 v1, 28, v20
	v_lshlrev_b64 v[0:1], v1, v[0:1]
	v_sub_u32_e32 v1, 29, v20
	v_and_b32_e32 v0, 7, v0
	v_cndmask_b32_e32 v1, v25, v1, vcc
	v_cndmask_b32_e32 v0, v24, v0, vcc
	v_lshlrev_b32_e32 v20, 8, v9
	v_bfrev_b32_e32 v24, 60
	v_lshlrev_b32_e32 v0, 20, v0
	v_and_b32_e32 v20, 0x80000000, v20
	v_lshl_add_u32 v1, v1, 23, v24
	v_or3_b32 v1, v20, v1, v0
.LBB6_5397:                             ;   in Loop: Header=BB6_3875 Depth=3
	s_or_b64 exec, exec, s[34:35]
.LBB6_5398:                             ;   in Loop: Header=BB6_3875 Depth=3
	s_or_b64 exec, exec, s[30:31]
.LBB6_5399:                             ;   in Loop: Header=BB6_3875 Depth=3
	s_or_b64 exec, exec, s[28:29]
	v_mul_f32_e32 v0, v2, v1
	v_and_b32_e32 v20, 0x7f800000, v0
	v_cmp_ne_u64_e32 vcc, s[62:63], v[20:21]
                                        ; implicit-def: $vgpr28
	s_and_saveexec_b64 s[28:29], vcc
	s_xor_b64 s[30:31], exec, s[28:29]
	s_cbranch_execz .LBB6_5413
; %bb.5400:                             ;   in Loop: Header=BB6_3875 Depth=3
	v_and_b32_e32 v20, 0x7fffffff, v0
	v_cmp_gt_u64_e32 vcc, s[78:79], v[20:21]
	v_and_b32_sdwa v38, v0, s80 dst_sel:DWORD dst_unused:UNUSED_PAD src0_sel:BYTE_3 src1_sel:DWORD
                                        ; implicit-def: $vgpr28
	s_and_saveexec_b64 s[28:29], vcc
	s_xor_b64 s[34:35], exec, s[28:29]
	s_cbranch_execz .LBB6_5410
; %bb.5401:                             ;   in Loop: Header=BB6_3875 Depth=3
	v_mov_b32_e32 v28, 0
	v_cmp_ne_u32_e32 vcc, 0, v0
	s_and_saveexec_b64 s[36:37], vcc
	s_cbranch_execz .LBB6_5409
; %bb.5402:                             ;   in Loop: Header=BB6_3875 Depth=3
	v_bfe_u32 v28, v0, 23, 8
	v_and_b32_e32 v1, 0x7fffff, v0
	v_cmp_gt_u32_e64 s[28:29], s47, v28
	v_sub_u32_e32 v0, 0x79, v28
	v_cmp_eq_u32_e32 vcc, 0, v28
	v_cndmask_b32_e64 v0, 0, v0, s[28:29]
	v_mov_b32_e32 v20, 0x78
	v_cndmask_b32_e32 v39, v0, v20, vcc
	v_or_b32_e32 v2, 0x800000, v1
	v_add_u32_e32 v0, 20, v39
	v_cndmask_b32_e32 v20, v2, v1, vcc
	v_lshlrev_b64 v[0:1], v0, -1
	v_add_u32_e32 v2, 19, v39
	v_lshlrev_b64 v[50:51], v2, 1
	v_bfi_b32 v1, v1, 0, 0
	v_bfi_b32 v0, v0, 0, v20
	v_cmp_eq_u64_e64 s[28:29], v[0:1], v[50:51]
	v_lshrrev_b64 v[0:1], v39, v[20:21]
	v_mov_b32_e32 v2, v1
	v_mov_b32_e32 v1, v0
	s_and_saveexec_b64 s[38:39], s[28:29]
; %bb.5403:                             ;   in Loop: Header=BB6_3875 Depth=3
	v_bfe_u32 v1, v0, 20, 1
	v_add_co_u32_e64 v1, s[28:29], v0, v1
	v_add_co_u32_e64 v1, s[28:29], -1, v1
; %bb.5404:                             ;   in Loop: Header=BB6_3875 Depth=3
	s_or_b64 exec, exec, s[38:39]
	v_add_u32_e32 v2, 0xffffff81, v28
	v_mov_b32_e32 v20, 0xffffff82
	v_cndmask_b32_e32 v2, v2, v20, vcc
	v_lshrrev_b32_e32 v20, 23, v0
	v_add3_u32 v29, v39, v2, v20
	v_add_u32_e32 v28, 6, v29
	v_and_b32_e32 v1, 0xfffff, v1
	v_add_u32_e32 v20, v1, v0
	v_cmp_ne_u32_e32 vcc, 0, v28
                                        ; implicit-def: $vgpr0_vgpr1
                                        ; implicit-def: $vgpr2
	s_and_saveexec_b64 s[28:29], vcc
	s_xor_b64 s[28:29], exec, s[28:29]
; %bb.5405:                             ;   in Loop: Header=BB6_3875 Depth=3
	v_cmp_lt_u64_e32 vcc, s[88:89], v[20:21]
	v_add_u32_e32 v0, 7, v29
	v_cndmask_b32_e32 v2, v28, v0, vcc
	v_cndmask_b32_e64 v0, 0, 1, vcc
	v_lshrrev_b64 v[0:1], v0, v[20:21]
; %bb.5406:                             ;   in Loop: Header=BB6_3875 Depth=3
	s_andn2_saveexec_b64 s[28:29], s[28:29]
; %bb.5407:                             ;   in Loop: Header=BB6_3875 Depth=3
	v_mov_b32_e32 v0, v20
	v_bfe_u32 v2, v20, 23, 1
	v_mov_b32_e32 v1, v21
; %bb.5408:                             ;   in Loop: Header=BB6_3875 Depth=3
	s_or_b64 exec, exec, s[28:29]
	v_lshrrev_b64 v[0:1], 20, v[0:1]
	v_cmp_gt_i32_e32 vcc, 16, v2
	v_cndmask_b32_e32 v1, 0, v1, vcc
	v_cndmask_b32_e32 v0, 7, v0, vcc
	v_cmp_eq_u64_e64 s[28:29], 0, v[0:1]
	v_min_i32_e32 v1, 15, v2
	v_lshlrev_b32_e32 v1, 3, v1
	v_cmp_eq_u32_e32 vcc, 0, v2
	v_and_b32_e32 v1, 0xf8, v1
	v_and_or_b32 v0, v0, 7, v1
	s_and_b64 s[28:29], vcc, s[28:29]
	v_cndmask_b32_e64 v0, v0, 0, s[28:29]
	v_or_b32_e32 v28, v0, v38
.LBB6_5409:                             ;   in Loop: Header=BB6_3875 Depth=3
	s_or_b64 exec, exec, s[36:37]
                                        ; implicit-def: $vgpr38
.LBB6_5410:                             ;   in Loop: Header=BB6_3875 Depth=3
	s_andn2_saveexec_b64 s[28:29], s[34:35]
; %bb.5411:                             ;   in Loop: Header=BB6_3875 Depth=3
	v_or_b32_e32 v28, 0x7e, v38
; %bb.5412:                             ;   in Loop: Header=BB6_3875 Depth=3
	s_or_b64 exec, exec, s[28:29]
                                        ; implicit-def: $vgpr0
.LBB6_5413:                             ;   in Loop: Header=BB6_3875 Depth=3
	s_andn2_saveexec_b64 s[28:29], s[30:31]
; %bb.5414:                             ;   in Loop: Header=BB6_3875 Depth=3
	v_or_b32_sdwa v28, v0, s81 dst_sel:DWORD dst_unused:UNUSED_PAD src0_sel:BYTE_3 src1_sel:DWORD
; %bb.5415:                             ;   in Loop: Header=BB6_3875 Depth=3
	s_or_b64 exec, exec, s[28:29]
	v_cmp_lt_u64_e32 vcc, s[56:57], v[12:13]
	v_mov_b32_e32 v1, 0
	v_mov_b32_e32 v2, 0
	s_and_saveexec_b64 s[28:29], vcc
	s_cbranch_execz .LBB6_5421
; %bb.5416:                             ;   in Loop: Header=BB6_3875 Depth=3
	v_lshrrev_b32_e32 v0, 24, v13
	v_cmp_ne_u32_e32 vcc, s80, v0
	v_bfrev_b32_e32 v2, 1
	s_and_saveexec_b64 s[30:31], vcc
	s_cbranch_execz .LBB6_5420
; %bb.5417:                             ;   in Loop: Header=BB6_3875 Depth=3
	v_bfe_u32 v12, v13, 24, 7
	v_cmp_ne_u32_e32 vcc, s81, v12
	v_mov_b32_e32 v2, 0x7f800001
	s_and_saveexec_b64 s[34:35], vcc
	s_cbranch_execz .LBB6_5419
; %bb.5418:                             ;   in Loop: Header=BB6_3875 Depth=3
	v_and_b32_e32 v2, 7, v0
	v_lshrrev_b32_e32 v20, 3, v12
	v_cmp_gt_u32_e32 vcc, 8, v12
	v_ffbh_u32_e32 v12, v2
	v_min_u32_e32 v24, 32, v12
	v_subrev_u32_e32 v12, 28, v24
	v_lshlrev_b64 v[12:13], v12, v[0:1]
	v_sub_u32_e32 v13, 29, v24
	v_and_b32_e32 v12, 7, v12
	v_cndmask_b32_e32 v13, v20, v13, vcc
	v_cndmask_b32_e32 v2, v2, v12, vcc
	v_lshlrev_b32_e32 v0, 24, v0
	v_bfrev_b32_e32 v12, 60
	v_lshlrev_b32_e32 v2, 20, v2
	v_and_b32_e32 v0, 0x80000000, v0
	v_lshl_add_u32 v12, v13, 23, v12
	v_or3_b32 v2, v0, v12, v2
.LBB6_5419:                             ;   in Loop: Header=BB6_3875 Depth=3
	s_or_b64 exec, exec, s[34:35]
.LBB6_5420:                             ;   in Loop: Header=BB6_3875 Depth=3
	s_or_b64 exec, exec, s[30:31]
.LBB6_5421:                             ;   in Loop: Header=BB6_3875 Depth=3
	s_or_b64 exec, exec, s[28:29]
	v_cmp_lt_u64_e32 vcc, s[56:57], v[8:9]
	s_and_saveexec_b64 s[28:29], vcc
	s_cbranch_execz .LBB6_5427
; %bb.5422:                             ;   in Loop: Header=BB6_3875 Depth=3
	v_lshrrev_b32_e32 v0, 24, v9
	v_cmp_ne_u32_e32 vcc, s80, v0
	v_bfrev_b32_e32 v1, 1
	s_and_saveexec_b64 s[30:31], vcc
	s_cbranch_execz .LBB6_5426
; %bb.5423:                             ;   in Loop: Header=BB6_3875 Depth=3
	v_bfe_u32 v8, v9, 24, 7
	v_cmp_ne_u32_e32 vcc, s81, v8
	v_mov_b32_e32 v1, 0x7f800001
	s_and_saveexec_b64 s[34:35], vcc
	s_cbranch_execz .LBB6_5425
; %bb.5424:                             ;   in Loop: Header=BB6_3875 Depth=3
	v_and_b32_e32 v1, 7, v0
	v_lshrrev_b32_e32 v12, 3, v8
	v_cmp_gt_u32_e32 vcc, 8, v8
	v_ffbh_u32_e32 v8, v1
	v_min_u32_e32 v13, 32, v8
	v_subrev_u32_e32 v8, 28, v13
	v_lshlrev_b64 v[8:9], v8, v[0:1]
	v_sub_u32_e32 v9, 29, v13
	v_and_b32_e32 v8, 7, v8
	v_cndmask_b32_e32 v9, v12, v9, vcc
	v_cndmask_b32_e32 v1, v1, v8, vcc
	v_lshlrev_b32_e32 v0, 24, v0
	v_bfrev_b32_e32 v8, 60
	v_lshlrev_b32_e32 v1, 20, v1
	v_and_b32_e32 v0, 0x80000000, v0
	v_lshl_add_u32 v8, v9, 23, v8
	v_or3_b32 v1, v0, v8, v1
.LBB6_5425:                             ;   in Loop: Header=BB6_3875 Depth=3
	s_or_b64 exec, exec, s[34:35]
.LBB6_5426:                             ;   in Loop: Header=BB6_3875 Depth=3
	s_or_b64 exec, exec, s[30:31]
.LBB6_5427:                             ;   in Loop: Header=BB6_3875 Depth=3
	s_or_b64 exec, exec, s[28:29]
	v_mul_f32_e32 v0, v2, v1
	v_and_b32_e32 v20, 0x7f800000, v0
	v_cmp_ne_u64_e32 vcc, s[62:63], v[20:21]
                                        ; implicit-def: $vgpr8
	s_and_saveexec_b64 s[28:29], vcc
	s_xor_b64 s[30:31], exec, s[28:29]
	s_cbranch_execz .LBB6_5441
; %bb.5428:                             ;   in Loop: Header=BB6_3875 Depth=3
	v_and_b32_e32 v20, 0x7fffffff, v0
	v_cmp_gt_u64_e32 vcc, s[78:79], v[20:21]
	v_and_b32_sdwa v9, v0, s80 dst_sel:DWORD dst_unused:UNUSED_PAD src0_sel:BYTE_3 src1_sel:DWORD
                                        ; implicit-def: $vgpr8
	s_and_saveexec_b64 s[28:29], vcc
	s_xor_b64 s[34:35], exec, s[28:29]
	s_cbranch_execz .LBB6_5438
; %bb.5429:                             ;   in Loop: Header=BB6_3875 Depth=3
	v_mov_b32_e32 v8, 0
	v_cmp_ne_u32_e32 vcc, 0, v0
	s_and_saveexec_b64 s[36:37], vcc
	s_cbranch_execz .LBB6_5437
; %bb.5430:                             ;   in Loop: Header=BB6_3875 Depth=3
	v_bfe_u32 v8, v0, 23, 8
	v_and_b32_e32 v1, 0x7fffff, v0
	v_cmp_gt_u32_e64 s[28:29], s47, v8
	v_sub_u32_e32 v0, 0x79, v8
	v_cmp_eq_u32_e32 vcc, 0, v8
	v_cndmask_b32_e64 v0, 0, v0, s[28:29]
	v_mov_b32_e32 v12, 0x78
	v_cndmask_b32_e32 v12, v0, v12, vcc
	v_or_b32_e32 v2, 0x800000, v1
	v_add_u32_e32 v0, 20, v12
	v_cndmask_b32_e32 v20, v2, v1, vcc
	v_lshlrev_b64 v[0:1], v0, -1
	v_add_u32_e32 v2, 19, v12
	v_lshlrev_b64 v[38:39], v2, 1
	v_bfi_b32 v1, v1, 0, 0
	v_bfi_b32 v0, v0, 0, v20
	v_cmp_eq_u64_e64 s[28:29], v[0:1], v[38:39]
	v_lshrrev_b64 v[0:1], v12, v[20:21]
	v_mov_b32_e32 v2, v1
	v_mov_b32_e32 v1, v0
	s_and_saveexec_b64 s[38:39], s[28:29]
; %bb.5431:                             ;   in Loop: Header=BB6_3875 Depth=3
	v_bfe_u32 v1, v0, 20, 1
	v_add_co_u32_e64 v1, s[28:29], v0, v1
	v_add_co_u32_e64 v1, s[28:29], -1, v1
; %bb.5432:                             ;   in Loop: Header=BB6_3875 Depth=3
	s_or_b64 exec, exec, s[38:39]
	v_add_u32_e32 v2, 0xffffff81, v8
	v_mov_b32_e32 v8, 0xffffff82
	v_cndmask_b32_e32 v2, v2, v8, vcc
	v_lshrrev_b32_e32 v8, 23, v0
	v_add3_u32 v12, v12, v2, v8
	v_add_u32_e32 v8, 6, v12
	v_and_b32_e32 v1, 0xfffff, v1
	v_add_u32_e32 v20, v1, v0
	v_cmp_ne_u32_e32 vcc, 0, v8
                                        ; implicit-def: $vgpr0_vgpr1
                                        ; implicit-def: $vgpr2
	s_and_saveexec_b64 s[28:29], vcc
	s_xor_b64 s[28:29], exec, s[28:29]
; %bb.5433:                             ;   in Loop: Header=BB6_3875 Depth=3
	v_cmp_lt_u64_e32 vcc, s[88:89], v[20:21]
	v_add_u32_e32 v0, 7, v12
	v_cndmask_b32_e32 v2, v8, v0, vcc
	v_cndmask_b32_e64 v0, 0, 1, vcc
	v_lshrrev_b64 v[0:1], v0, v[20:21]
; %bb.5434:                             ;   in Loop: Header=BB6_3875 Depth=3
	s_andn2_saveexec_b64 s[28:29], s[28:29]
; %bb.5435:                             ;   in Loop: Header=BB6_3875 Depth=3
	v_mov_b32_e32 v0, v20
	v_bfe_u32 v2, v20, 23, 1
	v_mov_b32_e32 v1, v21
; %bb.5436:                             ;   in Loop: Header=BB6_3875 Depth=3
	s_or_b64 exec, exec, s[28:29]
	v_lshrrev_b64 v[0:1], 20, v[0:1]
	v_cmp_gt_i32_e32 vcc, 16, v2
	v_cndmask_b32_e32 v1, 0, v1, vcc
	v_cndmask_b32_e32 v0, 7, v0, vcc
	v_cmp_eq_u64_e64 s[28:29], 0, v[0:1]
	v_min_i32_e32 v1, 15, v2
	v_lshlrev_b32_e32 v1, 3, v1
	v_cmp_eq_u32_e32 vcc, 0, v2
	v_and_b32_e32 v1, 0xf8, v1
	v_and_or_b32 v0, v0, 7, v1
	s_and_b64 s[28:29], vcc, s[28:29]
	v_cndmask_b32_e64 v0, v0, 0, s[28:29]
	v_or_b32_e32 v8, v0, v9
.LBB6_5437:                             ;   in Loop: Header=BB6_3875 Depth=3
	s_or_b64 exec, exec, s[36:37]
                                        ; implicit-def: $vgpr9
.LBB6_5438:                             ;   in Loop: Header=BB6_3875 Depth=3
	s_andn2_saveexec_b64 s[28:29], s[34:35]
; %bb.5439:                             ;   in Loop: Header=BB6_3875 Depth=3
	v_or_b32_e32 v8, 0x7e, v9
; %bb.5440:                             ;   in Loop: Header=BB6_3875 Depth=3
	s_or_b64 exec, exec, s[28:29]
                                        ; implicit-def: $vgpr0
.LBB6_5441:                             ;   in Loop: Header=BB6_3875 Depth=3
	s_andn2_saveexec_b64 s[28:29], s[30:31]
; %bb.5442:                             ;   in Loop: Header=BB6_3875 Depth=3
	v_or_b32_sdwa v8, v0, s81 dst_sel:DWORD dst_unused:UNUSED_PAD src0_sel:BYTE_3 src1_sel:DWORD
; %bb.5443:                             ;   in Loop: Header=BB6_3875 Depth=3
	s_or_b64 exec, exec, s[28:29]
	v_cmp_ne_u16_sdwa vcc, v14, v21 src0_sel:BYTE_0 src1_sel:DWORD
	v_mov_b32_e32 v0, 0
	v_mov_b32_e32 v1, 0
	s_and_saveexec_b64 s[28:29], vcc
	s_cbranch_execz .LBB6_5449
; %bb.5444:                             ;   in Loop: Header=BB6_3875 Depth=3
	v_cmp_ne_u16_sdwa vcc, v14, s80 src0_sel:BYTE_0 src1_sel:DWORD
	v_bfrev_b32_e32 v1, 1
	s_and_saveexec_b64 s[30:31], vcc
	s_cbranch_execz .LBB6_5448
; %bb.5445:                             ;   in Loop: Header=BB6_3875 Depth=3
	v_and_b32_e32 v2, 0x7f, v14
	v_cmp_ne_u32_e32 vcc, s81, v2
	v_mov_b32_e32 v1, 0x7f800001
	s_and_saveexec_b64 s[34:35], vcc
	s_cbranch_execz .LBB6_5447
; %bb.5446:                             ;   in Loop: Header=BB6_3875 Depth=3
	v_and_b32_e32 v1, 7, v14
	v_ffbh_u32_e32 v1, v1
	v_min_u32_e32 v1, 32, v1
	v_lshrrev_b32_e32 v9, 3, v2
	v_cmp_gt_u32_e32 vcc, 8, v2
	v_subrev_u32_e32 v2, 28, v1
	v_sub_u32_e32 v1, 29, v1
	v_cndmask_b32_e32 v9, v9, v1, vcc
	v_cndmask_b32_e32 v1, 0, v2, vcc
	v_lshlrev_b64 v[1:2], v1, v[14:15]
	v_lshlrev_b32_e32 v2, 24, v14
	v_lshlrev_b32_e32 v1, 20, v1
	v_bfrev_b32_e32 v12, 60
	v_and_b32_e32 v1, 0x700000, v1
	v_and_b32_e32 v2, 0x80000000, v2
	v_lshl_add_u32 v9, v9, 23, v12
	v_or3_b32 v1, v2, v9, v1
.LBB6_5447:                             ;   in Loop: Header=BB6_3875 Depth=3
	s_or_b64 exec, exec, s[34:35]
.LBB6_5448:                             ;   in Loop: Header=BB6_3875 Depth=3
	s_or_b64 exec, exec, s[30:31]
.LBB6_5449:                             ;   in Loop: Header=BB6_3875 Depth=3
	s_or_b64 exec, exec, s[28:29]
	v_cmp_ne_u16_sdwa vcc, v10, v21 src0_sel:BYTE_0 src1_sel:DWORD
	s_and_saveexec_b64 s[28:29], vcc
	s_cbranch_execz .LBB6_5455
; %bb.5450:                             ;   in Loop: Header=BB6_3875 Depth=3
	v_cmp_ne_u16_sdwa vcc, v10, s80 src0_sel:BYTE_0 src1_sel:DWORD
	v_bfrev_b32_e32 v0, 1
	s_and_saveexec_b64 s[30:31], vcc
	s_cbranch_execz .LBB6_5454
; %bb.5451:                             ;   in Loop: Header=BB6_3875 Depth=3
	v_and_b32_e32 v2, 0x7f, v10
	v_cmp_ne_u32_e32 vcc, s81, v2
	v_mov_b32_e32 v0, 0x7f800001
	s_and_saveexec_b64 s[34:35], vcc
	s_cbranch_execz .LBB6_5453
; %bb.5452:                             ;   in Loop: Header=BB6_3875 Depth=3
	v_and_b32_e32 v0, 7, v10
	v_ffbh_u32_e32 v0, v0
	v_min_u32_e32 v0, 32, v0
	v_lshrrev_b32_e32 v9, 3, v2
	v_cmp_gt_u32_e32 vcc, 8, v2
	v_subrev_u32_e32 v2, 28, v0
	v_cndmask_b32_e32 v2, 0, v2, vcc
	v_lshlrev_b64 v[12:13], v2, v[10:11]
	v_sub_u32_e32 v0, 29, v0
	v_cndmask_b32_e32 v0, v9, v0, vcc
	v_lshlrev_b32_e32 v2, 20, v12
	v_lshlrev_b32_e32 v9, 24, v10
	v_bfrev_b32_e32 v12, 60
	v_and_b32_e32 v2, 0x700000, v2
	v_and_b32_e32 v9, 0x80000000, v9
	v_lshl_add_u32 v0, v0, 23, v12
	v_or3_b32 v0, v9, v0, v2
.LBB6_5453:                             ;   in Loop: Header=BB6_3875 Depth=3
	s_or_b64 exec, exec, s[34:35]
.LBB6_5454:                             ;   in Loop: Header=BB6_3875 Depth=3
	s_or_b64 exec, exec, s[30:31]
.LBB6_5455:                             ;   in Loop: Header=BB6_3875 Depth=3
	s_or_b64 exec, exec, s[28:29]
	v_mul_f32_e32 v0, v1, v0
	v_and_b32_e32 v20, 0x7f800000, v0
	v_cmp_ne_u64_e32 vcc, s[62:63], v[20:21]
                                        ; implicit-def: $vgpr9
	s_and_saveexec_b64 s[28:29], vcc
	s_xor_b64 s[30:31], exec, s[28:29]
	s_cbranch_execz .LBB6_5469
; %bb.5456:                             ;   in Loop: Header=BB6_3875 Depth=3
	v_and_b32_e32 v20, 0x7fffffff, v0
	v_cmp_gt_u64_e32 vcc, s[78:79], v[20:21]
	v_and_b32_sdwa v12, v0, s80 dst_sel:DWORD dst_unused:UNUSED_PAD src0_sel:BYTE_3 src1_sel:DWORD
                                        ; implicit-def: $vgpr9
	s_and_saveexec_b64 s[28:29], vcc
	s_xor_b64 s[34:35], exec, s[28:29]
	s_cbranch_execz .LBB6_5466
; %bb.5457:                             ;   in Loop: Header=BB6_3875 Depth=3
	v_mov_b32_e32 v9, 0
	v_cmp_ne_u32_e32 vcc, 0, v0
	s_and_saveexec_b64 s[36:37], vcc
	s_cbranch_execz .LBB6_5465
; %bb.5458:                             ;   in Loop: Header=BB6_3875 Depth=3
	v_bfe_u32 v9, v0, 23, 8
	v_and_b32_e32 v1, 0x7fffff, v0
	v_cmp_gt_u32_e64 s[28:29], s47, v9
	v_sub_u32_e32 v0, 0x79, v9
	v_cmp_eq_u32_e32 vcc, 0, v9
	v_cndmask_b32_e64 v0, 0, v0, s[28:29]
	v_mov_b32_e32 v13, 0x78
	v_cndmask_b32_e32 v13, v0, v13, vcc
	v_or_b32_e32 v2, 0x800000, v1
	v_add_u32_e32 v0, 20, v13
	v_cndmask_b32_e32 v20, v2, v1, vcc
	v_lshlrev_b64 v[0:1], v0, -1
	v_add_u32_e32 v2, 19, v13
	v_lshlrev_b64 v[38:39], v2, 1
	v_bfi_b32 v1, v1, 0, 0
	v_bfi_b32 v0, v0, 0, v20
	v_cmp_eq_u64_e64 s[28:29], v[0:1], v[38:39]
	v_lshrrev_b64 v[0:1], v13, v[20:21]
	v_mov_b32_e32 v2, v1
	v_mov_b32_e32 v1, v0
	s_and_saveexec_b64 s[38:39], s[28:29]
; %bb.5459:                             ;   in Loop: Header=BB6_3875 Depth=3
	v_bfe_u32 v1, v0, 20, 1
	v_add_co_u32_e64 v1, s[28:29], v0, v1
	v_add_co_u32_e64 v1, s[28:29], -1, v1
; %bb.5460:                             ;   in Loop: Header=BB6_3875 Depth=3
	s_or_b64 exec, exec, s[38:39]
	v_add_u32_e32 v2, 0xffffff81, v9
	v_mov_b32_e32 v9, 0xffffff82
	v_cndmask_b32_e32 v2, v2, v9, vcc
	v_lshrrev_b32_e32 v9, 23, v0
	v_add3_u32 v13, v13, v2, v9
	v_add_u32_e32 v9, 6, v13
	v_and_b32_e32 v1, 0xfffff, v1
	v_add_u32_e32 v20, v1, v0
	v_cmp_ne_u32_e32 vcc, 0, v9
                                        ; implicit-def: $vgpr0_vgpr1
                                        ; implicit-def: $vgpr2
	s_and_saveexec_b64 s[28:29], vcc
	s_xor_b64 s[28:29], exec, s[28:29]
; %bb.5461:                             ;   in Loop: Header=BB6_3875 Depth=3
	v_cmp_lt_u64_e32 vcc, s[88:89], v[20:21]
	v_add_u32_e32 v0, 7, v13
	v_cndmask_b32_e32 v2, v9, v0, vcc
	v_cndmask_b32_e64 v0, 0, 1, vcc
	v_lshrrev_b64 v[0:1], v0, v[20:21]
; %bb.5462:                             ;   in Loop: Header=BB6_3875 Depth=3
	s_andn2_saveexec_b64 s[28:29], s[28:29]
; %bb.5463:                             ;   in Loop: Header=BB6_3875 Depth=3
	v_mov_b32_e32 v0, v20
	v_bfe_u32 v2, v20, 23, 1
	v_mov_b32_e32 v1, v21
; %bb.5464:                             ;   in Loop: Header=BB6_3875 Depth=3
	s_or_b64 exec, exec, s[28:29]
	v_lshrrev_b64 v[0:1], 20, v[0:1]
	v_cmp_gt_i32_e32 vcc, 16, v2
	v_cndmask_b32_e32 v1, 0, v1, vcc
	v_cndmask_b32_e32 v0, 7, v0, vcc
	v_cmp_eq_u64_e64 s[28:29], 0, v[0:1]
	v_min_i32_e32 v1, 15, v2
	v_lshlrev_b32_e32 v1, 3, v1
	v_cmp_eq_u32_e32 vcc, 0, v2
	v_and_b32_e32 v1, 0xf8, v1
	v_and_or_b32 v0, v0, 7, v1
	s_and_b64 s[28:29], vcc, s[28:29]
	v_cndmask_b32_e64 v0, v0, 0, s[28:29]
	v_or_b32_e32 v9, v0, v12
.LBB6_5465:                             ;   in Loop: Header=BB6_3875 Depth=3
	s_or_b64 exec, exec, s[36:37]
                                        ; implicit-def: $vgpr12
.LBB6_5466:                             ;   in Loop: Header=BB6_3875 Depth=3
	s_andn2_saveexec_b64 s[28:29], s[34:35]
; %bb.5467:                             ;   in Loop: Header=BB6_3875 Depth=3
	v_or_b32_e32 v9, 0x7e, v12
; %bb.5468:                             ;   in Loop: Header=BB6_3875 Depth=3
	s_or_b64 exec, exec, s[28:29]
                                        ; implicit-def: $vgpr0
.LBB6_5469:                             ;   in Loop: Header=BB6_3875 Depth=3
	s_andn2_saveexec_b64 s[28:29], s[30:31]
; %bb.5470:                             ;   in Loop: Header=BB6_3875 Depth=3
	v_or_b32_sdwa v9, v0, s81 dst_sel:DWORD dst_unused:UNUSED_PAD src0_sel:BYTE_3 src1_sel:DWORD
; %bb.5471:                             ;   in Loop: Header=BB6_3875 Depth=3
	s_or_b64 exec, exec, s[28:29]
	v_lshrrev_b16_e32 v0, 8, v14
	v_cmp_ne_u16_e32 vcc, 0, v0
	v_mov_b32_e32 v1, 0
	v_mov_b32_e32 v2, 0
	s_and_saveexec_b64 s[28:29], vcc
	s_cbranch_execz .LBB6_5477
; %bb.5472:                             ;   in Loop: Header=BB6_3875 Depth=3
	v_cmp_ne_u16_e32 vcc, s80, v0
	v_bfrev_b32_e32 v2, 1
	s_and_saveexec_b64 s[30:31], vcc
	s_cbranch_execz .LBB6_5476
; %bb.5473:                             ;   in Loop: Header=BB6_3875 Depth=3
	v_and_b32_e32 v12, 0x7f, v0
	v_cmp_ne_u32_e32 vcc, s81, v12
	v_mov_b32_e32 v2, 0x7f800001
	s_and_saveexec_b64 s[34:35], vcc
	s_cbranch_execz .LBB6_5475
; %bb.5474:                             ;   in Loop: Header=BB6_3875 Depth=3
	v_and_b32_e32 v2, 7, v0
	v_lshrrev_b32_e32 v20, 3, v12
	v_cmp_gt_u32_e32 vcc, 8, v12
	v_ffbh_u32_e32 v12, v2
	v_min_u32_e32 v24, 32, v12
	v_subrev_u32_e32 v12, 28, v24
	v_lshlrev_b64 v[12:13], v12, v[0:1]
	v_sub_u32_e32 v0, 29, v24
	v_and_b32_e32 v12, 7, v12
	v_cndmask_b32_e32 v0, v20, v0, vcc
	v_cndmask_b32_e32 v2, v2, v12, vcc
	v_lshlrev_b32_e32 v12, 16, v14
	v_bfrev_b32_e32 v13, 60
	v_lshlrev_b32_e32 v2, 20, v2
	v_and_b32_e32 v12, 0x80000000, v12
	v_lshl_add_u32 v0, v0, 23, v13
	v_or3_b32 v2, v12, v0, v2
.LBB6_5475:                             ;   in Loop: Header=BB6_3875 Depth=3
	s_or_b64 exec, exec, s[34:35]
.LBB6_5476:                             ;   in Loop: Header=BB6_3875 Depth=3
	s_or_b64 exec, exec, s[30:31]
.LBB6_5477:                             ;   in Loop: Header=BB6_3875 Depth=3
	s_or_b64 exec, exec, s[28:29]
	v_lshrrev_b16_e32 v0, 8, v10
	v_cmp_ne_u16_e32 vcc, 0, v0
	s_and_saveexec_b64 s[28:29], vcc
	s_cbranch_execz .LBB6_5483
; %bb.5478:                             ;   in Loop: Header=BB6_3875 Depth=3
	v_cmp_ne_u16_e32 vcc, s80, v0
	v_bfrev_b32_e32 v1, 1
	s_and_saveexec_b64 s[30:31], vcc
	s_cbranch_execz .LBB6_5482
; %bb.5479:                             ;   in Loop: Header=BB6_3875 Depth=3
	v_and_b32_e32 v12, 0x7f, v0
	v_cmp_ne_u32_e32 vcc, s81, v12
	v_mov_b32_e32 v1, 0x7f800001
	s_and_saveexec_b64 s[34:35], vcc
	s_cbranch_execz .LBB6_5481
; %bb.5480:                             ;   in Loop: Header=BB6_3875 Depth=3
	v_and_b32_e32 v13, 7, v0
	v_ffbh_u32_e32 v1, v13
	v_lshrrev_b32_e32 v20, 3, v12
	v_cmp_gt_u32_e32 vcc, 8, v12
	v_min_u32_e32 v12, 32, v1
	v_subrev_u32_e32 v1, 28, v12
	v_lshlrev_b64 v[0:1], v1, v[0:1]
	v_sub_u32_e32 v1, 29, v12
	v_and_b32_e32 v0, 7, v0
	v_cndmask_b32_e32 v1, v20, v1, vcc
	v_cndmask_b32_e32 v0, v13, v0, vcc
	v_lshlrev_b32_e32 v12, 16, v10
	v_bfrev_b32_e32 v13, 60
	v_lshlrev_b32_e32 v0, 20, v0
	v_and_b32_e32 v12, 0x80000000, v12
	v_lshl_add_u32 v1, v1, 23, v13
	v_or3_b32 v1, v12, v1, v0
.LBB6_5481:                             ;   in Loop: Header=BB6_3875 Depth=3
	s_or_b64 exec, exec, s[34:35]
.LBB6_5482:                             ;   in Loop: Header=BB6_3875 Depth=3
	s_or_b64 exec, exec, s[30:31]
.LBB6_5483:                             ;   in Loop: Header=BB6_3875 Depth=3
	s_or_b64 exec, exec, s[28:29]
	v_mul_f32_e32 v0, v2, v1
	v_and_b32_e32 v20, 0x7f800000, v0
	v_cmp_ne_u64_e32 vcc, s[62:63], v[20:21]
                                        ; implicit-def: $vgpr12
	s_and_saveexec_b64 s[28:29], vcc
	s_xor_b64 s[30:31], exec, s[28:29]
	s_cbranch_execz .LBB6_5497
; %bb.5484:                             ;   in Loop: Header=BB6_3875 Depth=3
	v_and_b32_e32 v20, 0x7fffffff, v0
	v_cmp_gt_u64_e32 vcc, s[78:79], v[20:21]
	v_and_b32_sdwa v13, v0, s80 dst_sel:DWORD dst_unused:UNUSED_PAD src0_sel:BYTE_3 src1_sel:DWORD
                                        ; implicit-def: $vgpr12
	s_and_saveexec_b64 s[28:29], vcc
	s_xor_b64 s[34:35], exec, s[28:29]
	s_cbranch_execz .LBB6_5494
; %bb.5485:                             ;   in Loop: Header=BB6_3875 Depth=3
	v_mov_b32_e32 v12, 0
	v_cmp_ne_u32_e32 vcc, 0, v0
	s_and_saveexec_b64 s[36:37], vcc
	s_cbranch_execz .LBB6_5493
; %bb.5486:                             ;   in Loop: Header=BB6_3875 Depth=3
	v_bfe_u32 v12, v0, 23, 8
	v_and_b32_e32 v1, 0x7fffff, v0
	v_cmp_gt_u32_e64 s[28:29], s47, v12
	v_sub_u32_e32 v0, 0x79, v12
	v_cmp_eq_u32_e32 vcc, 0, v12
	v_cndmask_b32_e64 v0, 0, v0, s[28:29]
	v_mov_b32_e32 v20, 0x78
	v_cndmask_b32_e32 v38, v0, v20, vcc
	v_or_b32_e32 v2, 0x800000, v1
	v_add_u32_e32 v0, 20, v38
	v_cndmask_b32_e32 v20, v2, v1, vcc
	v_lshlrev_b64 v[0:1], v0, -1
	v_add_u32_e32 v2, 19, v38
	v_lshlrev_b64 v[50:51], v2, 1
	v_bfi_b32 v1, v1, 0, 0
	v_bfi_b32 v0, v0, 0, v20
	v_cmp_eq_u64_e64 s[28:29], v[0:1], v[50:51]
	v_lshrrev_b64 v[0:1], v38, v[20:21]
	v_mov_b32_e32 v2, v1
	v_mov_b32_e32 v1, v0
	s_and_saveexec_b64 s[38:39], s[28:29]
; %bb.5487:                             ;   in Loop: Header=BB6_3875 Depth=3
	v_bfe_u32 v1, v0, 20, 1
	v_add_co_u32_e64 v1, s[28:29], v0, v1
	v_add_co_u32_e64 v1, s[28:29], -1, v1
; %bb.5488:                             ;   in Loop: Header=BB6_3875 Depth=3
	s_or_b64 exec, exec, s[38:39]
	v_add_u32_e32 v2, 0xffffff81, v12
	v_mov_b32_e32 v12, 0xffffff82
	v_cndmask_b32_e32 v2, v2, v12, vcc
	v_lshrrev_b32_e32 v12, 23, v0
	v_add3_u32 v29, v38, v2, v12
	v_add_u32_e32 v12, 6, v29
	v_and_b32_e32 v1, 0xfffff, v1
	v_add_u32_e32 v20, v1, v0
	v_cmp_ne_u32_e32 vcc, 0, v12
                                        ; implicit-def: $vgpr0_vgpr1
                                        ; implicit-def: $vgpr2
	s_and_saveexec_b64 s[28:29], vcc
	s_xor_b64 s[28:29], exec, s[28:29]
; %bb.5489:                             ;   in Loop: Header=BB6_3875 Depth=3
	v_cmp_lt_u64_e32 vcc, s[88:89], v[20:21]
	v_add_u32_e32 v0, 7, v29
	v_cndmask_b32_e32 v2, v12, v0, vcc
	v_cndmask_b32_e64 v0, 0, 1, vcc
	v_lshrrev_b64 v[0:1], v0, v[20:21]
; %bb.5490:                             ;   in Loop: Header=BB6_3875 Depth=3
	s_andn2_saveexec_b64 s[28:29], s[28:29]
; %bb.5491:                             ;   in Loop: Header=BB6_3875 Depth=3
	v_mov_b32_e32 v0, v20
	v_bfe_u32 v2, v20, 23, 1
	v_mov_b32_e32 v1, v21
; %bb.5492:                             ;   in Loop: Header=BB6_3875 Depth=3
	s_or_b64 exec, exec, s[28:29]
	v_lshrrev_b64 v[0:1], 20, v[0:1]
	v_cmp_gt_i32_e32 vcc, 16, v2
	v_cndmask_b32_e32 v1, 0, v1, vcc
	v_cndmask_b32_e32 v0, 7, v0, vcc
	v_cmp_eq_u64_e64 s[28:29], 0, v[0:1]
	v_min_i32_e32 v1, 15, v2
	v_lshlrev_b32_e32 v1, 3, v1
	v_cmp_eq_u32_e32 vcc, 0, v2
	v_and_b32_e32 v1, 0xf8, v1
	v_and_or_b32 v0, v0, 7, v1
	s_and_b64 s[28:29], vcc, s[28:29]
	v_cndmask_b32_e64 v0, v0, 0, s[28:29]
	v_or_b32_e32 v12, v0, v13
.LBB6_5493:                             ;   in Loop: Header=BB6_3875 Depth=3
	s_or_b64 exec, exec, s[36:37]
                                        ; implicit-def: $vgpr13
.LBB6_5494:                             ;   in Loop: Header=BB6_3875 Depth=3
	s_andn2_saveexec_b64 s[28:29], s[34:35]
; %bb.5495:                             ;   in Loop: Header=BB6_3875 Depth=3
	v_or_b32_e32 v12, 0x7e, v13
; %bb.5496:                             ;   in Loop: Header=BB6_3875 Depth=3
	s_or_b64 exec, exec, s[28:29]
                                        ; implicit-def: $vgpr0
.LBB6_5497:                             ;   in Loop: Header=BB6_3875 Depth=3
	s_andn2_saveexec_b64 s[28:29], s[30:31]
; %bb.5498:                             ;   in Loop: Header=BB6_3875 Depth=3
	v_or_b32_sdwa v12, v0, s81 dst_sel:DWORD dst_unused:UNUSED_PAD src0_sel:BYTE_3 src1_sel:DWORD
; %bb.5499:                             ;   in Loop: Header=BB6_3875 Depth=3
	s_or_b64 exec, exec, s[28:29]
	v_lshrrev_b32_e32 v0, 16, v14
	v_cmp_ne_u16_sdwa vcc, v0, v21 src0_sel:BYTE_0 src1_sel:DWORD
	v_mov_b32_e32 v1, 0
	v_mov_b32_e32 v2, 0
	s_and_saveexec_b64 s[28:29], vcc
	s_cbranch_execz .LBB6_5505
; %bb.5500:                             ;   in Loop: Header=BB6_3875 Depth=3
	v_cmp_ne_u16_sdwa vcc, v0, s80 src0_sel:BYTE_0 src1_sel:DWORD
	v_bfrev_b32_e32 v2, 1
	s_and_saveexec_b64 s[30:31], vcc
	s_cbranch_execz .LBB6_5504
; %bb.5501:                             ;   in Loop: Header=BB6_3875 Depth=3
	v_bfe_u32 v13, v14, 16, 7
	v_cmp_ne_u32_e32 vcc, s81, v13
	v_mov_b32_e32 v2, 0x7f800001
	s_and_saveexec_b64 s[34:35], vcc
	s_cbranch_execz .LBB6_5503
; %bb.5502:                             ;   in Loop: Header=BB6_3875 Depth=3
	v_and_b32_e32 v2, 7, v0
	v_lshrrev_b32_e32 v20, 3, v13
	v_cmp_gt_u32_e32 vcc, 8, v13
	v_ffbh_u32_e32 v13, v2
	v_min_u32_e32 v13, 32, v13
	v_subrev_u32_e32 v24, 28, v13
	v_lshlrev_b64 v[38:39], v24, v[0:1]
	v_sub_u32_e32 v13, 29, v13
	v_and_b32_e32 v24, 7, v38
	v_cndmask_b32_e32 v13, v20, v13, vcc
	v_cndmask_b32_e32 v2, v2, v24, vcc
	v_lshlrev_b32_e32 v0, 24, v0
	v_bfrev_b32_e32 v20, 60
	v_lshlrev_b32_e32 v2, 20, v2
	v_and_b32_e32 v0, 0x80000000, v0
	v_lshl_add_u32 v13, v13, 23, v20
	v_or3_b32 v2, v0, v13, v2
.LBB6_5503:                             ;   in Loop: Header=BB6_3875 Depth=3
	s_or_b64 exec, exec, s[34:35]
.LBB6_5504:                             ;   in Loop: Header=BB6_3875 Depth=3
	s_or_b64 exec, exec, s[30:31]
.LBB6_5505:                             ;   in Loop: Header=BB6_3875 Depth=3
	s_or_b64 exec, exec, s[28:29]
	v_lshrrev_b32_e32 v0, 16, v10
	v_cmp_ne_u16_sdwa vcc, v0, v21 src0_sel:BYTE_0 src1_sel:DWORD
	s_and_saveexec_b64 s[28:29], vcc
	s_cbranch_execz .LBB6_5511
; %bb.5506:                             ;   in Loop: Header=BB6_3875 Depth=3
	v_cmp_ne_u16_sdwa vcc, v0, s80 src0_sel:BYTE_0 src1_sel:DWORD
	v_bfrev_b32_e32 v1, 1
	s_and_saveexec_b64 s[30:31], vcc
	s_cbranch_execz .LBB6_5510
; %bb.5507:                             ;   in Loop: Header=BB6_3875 Depth=3
	v_bfe_u32 v13, v10, 16, 7
	v_cmp_ne_u32_e32 vcc, s81, v13
	v_mov_b32_e32 v1, 0x7f800001
	s_and_saveexec_b64 s[34:35], vcc
	s_cbranch_execz .LBB6_5509
; %bb.5508:                             ;   in Loop: Header=BB6_3875 Depth=3
	v_and_b32_e32 v20, 7, v0
	v_ffbh_u32_e32 v1, v20
	v_lshrrev_b32_e32 v24, 3, v13
	v_cmp_gt_u32_e32 vcc, 8, v13
	v_min_u32_e32 v13, 32, v1
	v_subrev_u32_e32 v1, 28, v13
	v_lshlrev_b64 v[0:1], v1, v[0:1]
	v_sub_u32_e32 v1, 29, v13
	v_and_b32_e32 v0, 7, v0
	v_cndmask_b32_e32 v1, v24, v1, vcc
	v_cndmask_b32_e32 v0, v20, v0, vcc
	v_lshlrev_b32_e32 v13, 8, v10
	v_bfrev_b32_e32 v20, 60
	v_lshlrev_b32_e32 v0, 20, v0
	v_and_b32_e32 v13, 0x80000000, v13
	v_lshl_add_u32 v1, v1, 23, v20
	v_or3_b32 v1, v13, v1, v0
.LBB6_5509:                             ;   in Loop: Header=BB6_3875 Depth=3
	s_or_b64 exec, exec, s[34:35]
.LBB6_5510:                             ;   in Loop: Header=BB6_3875 Depth=3
	s_or_b64 exec, exec, s[30:31]
.LBB6_5511:                             ;   in Loop: Header=BB6_3875 Depth=3
	s_or_b64 exec, exec, s[28:29]
	v_mul_f32_e32 v0, v2, v1
	v_and_b32_e32 v20, 0x7f800000, v0
	v_cmp_ne_u64_e32 vcc, s[62:63], v[20:21]
                                        ; implicit-def: $vgpr13
	s_and_saveexec_b64 s[28:29], vcc
	s_xor_b64 s[30:31], exec, s[28:29]
	s_cbranch_execz .LBB6_5525
; %bb.5512:                             ;   in Loop: Header=BB6_3875 Depth=3
	v_and_b32_e32 v20, 0x7fffffff, v0
	v_cmp_gt_u64_e32 vcc, s[78:79], v[20:21]
	v_and_b32_sdwa v38, v0, s80 dst_sel:DWORD dst_unused:UNUSED_PAD src0_sel:BYTE_3 src1_sel:DWORD
                                        ; implicit-def: $vgpr13
	s_and_saveexec_b64 s[28:29], vcc
	s_xor_b64 s[34:35], exec, s[28:29]
	s_cbranch_execz .LBB6_5522
; %bb.5513:                             ;   in Loop: Header=BB6_3875 Depth=3
	v_mov_b32_e32 v13, 0
	v_cmp_ne_u32_e32 vcc, 0, v0
	s_and_saveexec_b64 s[36:37], vcc
	s_cbranch_execz .LBB6_5521
; %bb.5514:                             ;   in Loop: Header=BB6_3875 Depth=3
	v_bfe_u32 v13, v0, 23, 8
	v_and_b32_e32 v1, 0x7fffff, v0
	v_cmp_gt_u32_e64 s[28:29], s47, v13
	v_sub_u32_e32 v0, 0x79, v13
	v_cmp_eq_u32_e32 vcc, 0, v13
	v_cndmask_b32_e64 v0, 0, v0, s[28:29]
	v_mov_b32_e32 v20, 0x78
	v_cndmask_b32_e32 v39, v0, v20, vcc
	v_or_b32_e32 v2, 0x800000, v1
	v_add_u32_e32 v0, 20, v39
	v_cndmask_b32_e32 v20, v2, v1, vcc
	v_lshlrev_b64 v[0:1], v0, -1
	v_add_u32_e32 v2, 19, v39
	v_lshlrev_b64 v[50:51], v2, 1
	v_bfi_b32 v1, v1, 0, 0
	v_bfi_b32 v0, v0, 0, v20
	v_cmp_eq_u64_e64 s[28:29], v[0:1], v[50:51]
	v_lshrrev_b64 v[0:1], v39, v[20:21]
	v_mov_b32_e32 v2, v1
	v_mov_b32_e32 v1, v0
	s_and_saveexec_b64 s[38:39], s[28:29]
; %bb.5515:                             ;   in Loop: Header=BB6_3875 Depth=3
	v_bfe_u32 v1, v0, 20, 1
	v_add_co_u32_e64 v1, s[28:29], v0, v1
	v_add_co_u32_e64 v1, s[28:29], -1, v1
; %bb.5516:                             ;   in Loop: Header=BB6_3875 Depth=3
	s_or_b64 exec, exec, s[38:39]
	v_add_u32_e32 v2, 0xffffff81, v13
	v_mov_b32_e32 v13, 0xffffff82
	v_cndmask_b32_e32 v2, v2, v13, vcc
	v_lshrrev_b32_e32 v13, 23, v0
	v_add3_u32 v29, v39, v2, v13
	v_add_u32_e32 v13, 6, v29
	v_and_b32_e32 v1, 0xfffff, v1
	v_add_u32_e32 v20, v1, v0
	v_cmp_ne_u32_e32 vcc, 0, v13
                                        ; implicit-def: $vgpr0_vgpr1
                                        ; implicit-def: $vgpr2
	s_and_saveexec_b64 s[28:29], vcc
	s_xor_b64 s[28:29], exec, s[28:29]
; %bb.5517:                             ;   in Loop: Header=BB6_3875 Depth=3
	v_cmp_lt_u64_e32 vcc, s[88:89], v[20:21]
	v_add_u32_e32 v0, 7, v29
	v_cndmask_b32_e32 v2, v13, v0, vcc
	v_cndmask_b32_e64 v0, 0, 1, vcc
	v_lshrrev_b64 v[0:1], v0, v[20:21]
; %bb.5518:                             ;   in Loop: Header=BB6_3875 Depth=3
	s_andn2_saveexec_b64 s[28:29], s[28:29]
; %bb.5519:                             ;   in Loop: Header=BB6_3875 Depth=3
	v_mov_b32_e32 v0, v20
	v_bfe_u32 v2, v20, 23, 1
	v_mov_b32_e32 v1, v21
; %bb.5520:                             ;   in Loop: Header=BB6_3875 Depth=3
	s_or_b64 exec, exec, s[28:29]
	v_lshrrev_b64 v[0:1], 20, v[0:1]
	v_cmp_gt_i32_e32 vcc, 16, v2
	v_cndmask_b32_e32 v1, 0, v1, vcc
	v_cndmask_b32_e32 v0, 7, v0, vcc
	v_cmp_eq_u64_e64 s[28:29], 0, v[0:1]
	v_min_i32_e32 v1, 15, v2
	v_lshlrev_b32_e32 v1, 3, v1
	v_cmp_eq_u32_e32 vcc, 0, v2
	v_and_b32_e32 v1, 0xf8, v1
	v_and_or_b32 v0, v0, 7, v1
	s_and_b64 s[28:29], vcc, s[28:29]
	v_cndmask_b32_e64 v0, v0, 0, s[28:29]
	v_or_b32_e32 v13, v0, v38
.LBB6_5521:                             ;   in Loop: Header=BB6_3875 Depth=3
	s_or_b64 exec, exec, s[36:37]
                                        ; implicit-def: $vgpr38
.LBB6_5522:                             ;   in Loop: Header=BB6_3875 Depth=3
	s_andn2_saveexec_b64 s[28:29], s[34:35]
; %bb.5523:                             ;   in Loop: Header=BB6_3875 Depth=3
	v_or_b32_e32 v13, 0x7e, v38
; %bb.5524:                             ;   in Loop: Header=BB6_3875 Depth=3
	s_or_b64 exec, exec, s[28:29]
                                        ; implicit-def: $vgpr0
.LBB6_5525:                             ;   in Loop: Header=BB6_3875 Depth=3
	s_andn2_saveexec_b64 s[28:29], s[30:31]
; %bb.5526:                             ;   in Loop: Header=BB6_3875 Depth=3
	v_or_b32_sdwa v13, v0, s81 dst_sel:DWORD dst_unused:UNUSED_PAD src0_sel:BYTE_3 src1_sel:DWORD
; %bb.5527:                             ;   in Loop: Header=BB6_3875 Depth=3
	s_or_b64 exec, exec, s[28:29]
	v_cmp_lt_u32_e32 vcc, s57, v14
	v_mov_b32_e32 v1, 0
	v_mov_b32_e32 v2, 0
	s_and_saveexec_b64 s[28:29], vcc
	s_cbranch_execz .LBB6_5533
; %bb.5528:                             ;   in Loop: Header=BB6_3875 Depth=3
	v_lshrrev_b32_e32 v0, 24, v14
	v_cmp_ne_u32_e32 vcc, s80, v0
	v_bfrev_b32_e32 v2, 1
	s_and_saveexec_b64 s[30:31], vcc
	s_cbranch_execz .LBB6_5532
; %bb.5529:                             ;   in Loop: Header=BB6_3875 Depth=3
	v_bfe_u32 v20, v14, 24, 7
	v_cmp_ne_u32_e32 vcc, s81, v20
	v_mov_b32_e32 v2, 0x7f800001
	s_and_saveexec_b64 s[34:35], vcc
	s_cbranch_execz .LBB6_5531
; %bb.5530:                             ;   in Loop: Header=BB6_3875 Depth=3
	v_and_b32_e32 v2, 7, v0
	v_lshrrev_b32_e32 v24, 3, v20
	v_cmp_gt_u32_e32 vcc, 8, v20
	v_ffbh_u32_e32 v20, v2
	v_min_u32_e32 v20, 32, v20
	v_subrev_u32_e32 v25, 28, v20
	v_lshlrev_b64 v[38:39], v25, v[0:1]
	v_sub_u32_e32 v20, 29, v20
	v_and_b32_e32 v25, 7, v38
	v_cndmask_b32_e32 v20, v24, v20, vcc
	v_cndmask_b32_e32 v2, v2, v25, vcc
	v_lshlrev_b32_e32 v0, 24, v0
	v_bfrev_b32_e32 v24, 60
	v_lshlrev_b32_e32 v2, 20, v2
	v_and_b32_e32 v0, 0x80000000, v0
	v_lshl_add_u32 v20, v20, 23, v24
	v_or3_b32 v2, v0, v20, v2
.LBB6_5531:                             ;   in Loop: Header=BB6_3875 Depth=3
	s_or_b64 exec, exec, s[34:35]
.LBB6_5532:                             ;   in Loop: Header=BB6_3875 Depth=3
	s_or_b64 exec, exec, s[30:31]
.LBB6_5533:                             ;   in Loop: Header=BB6_3875 Depth=3
	s_or_b64 exec, exec, s[28:29]
	v_cmp_lt_u32_e32 vcc, s57, v10
	s_and_saveexec_b64 s[28:29], vcc
	s_cbranch_execz .LBB6_5539
; %bb.5534:                             ;   in Loop: Header=BB6_3875 Depth=3
	v_lshrrev_b32_e32 v0, 24, v10
	v_cmp_ne_u32_e32 vcc, s80, v0
	v_bfrev_b32_e32 v1, 1
	s_and_saveexec_b64 s[30:31], vcc
	s_cbranch_execz .LBB6_5538
; %bb.5535:                             ;   in Loop: Header=BB6_3875 Depth=3
	v_bfe_u32 v20, v10, 24, 7
	v_cmp_ne_u32_e32 vcc, s81, v20
	v_mov_b32_e32 v1, 0x7f800001
	s_and_saveexec_b64 s[34:35], vcc
	s_cbranch_execz .LBB6_5537
; %bb.5536:                             ;   in Loop: Header=BB6_3875 Depth=3
	v_and_b32_e32 v1, 7, v0
	v_lshrrev_b32_e32 v24, 3, v20
	v_cmp_gt_u32_e32 vcc, 8, v20
	v_ffbh_u32_e32 v20, v1
	v_min_u32_e32 v20, 32, v20
	v_subrev_u32_e32 v25, 28, v20
	v_lshlrev_b64 v[38:39], v25, v[0:1]
	v_sub_u32_e32 v20, 29, v20
	v_and_b32_e32 v25, 7, v38
	v_cndmask_b32_e32 v20, v24, v20, vcc
	v_cndmask_b32_e32 v1, v1, v25, vcc
	v_lshlrev_b32_e32 v0, 24, v0
	v_bfrev_b32_e32 v24, 60
	v_lshlrev_b32_e32 v1, 20, v1
	v_and_b32_e32 v0, 0x80000000, v0
	v_lshl_add_u32 v20, v20, 23, v24
	v_or3_b32 v1, v0, v20, v1
.LBB6_5537:                             ;   in Loop: Header=BB6_3875 Depth=3
	s_or_b64 exec, exec, s[34:35]
.LBB6_5538:                             ;   in Loop: Header=BB6_3875 Depth=3
	s_or_b64 exec, exec, s[30:31]
.LBB6_5539:                             ;   in Loop: Header=BB6_3875 Depth=3
	s_or_b64 exec, exec, s[28:29]
	v_mul_f32_e32 v0, v2, v1
	v_and_b32_e32 v20, 0x7f800000, v0
	v_cmp_ne_u64_e32 vcc, s[62:63], v[20:21]
                                        ; implicit-def: $vgpr38
	s_and_saveexec_b64 s[28:29], vcc
	s_xor_b64 s[30:31], exec, s[28:29]
	s_cbranch_execz .LBB6_5553
; %bb.5540:                             ;   in Loop: Header=BB6_3875 Depth=3
	v_and_b32_e32 v20, 0x7fffffff, v0
	v_cmp_gt_u64_e32 vcc, s[78:79], v[20:21]
	v_and_b32_sdwa v39, v0, s80 dst_sel:DWORD dst_unused:UNUSED_PAD src0_sel:BYTE_3 src1_sel:DWORD
                                        ; implicit-def: $vgpr38
	s_and_saveexec_b64 s[28:29], vcc
	s_xor_b64 s[34:35], exec, s[28:29]
	s_cbranch_execz .LBB6_5550
; %bb.5541:                             ;   in Loop: Header=BB6_3875 Depth=3
	v_mov_b32_e32 v38, 0
	v_cmp_ne_u32_e32 vcc, 0, v0
	s_and_saveexec_b64 s[36:37], vcc
	s_cbranch_execz .LBB6_5549
; %bb.5542:                             ;   in Loop: Header=BB6_3875 Depth=3
	v_bfe_u32 v38, v0, 23, 8
	v_and_b32_e32 v1, 0x7fffff, v0
	v_cmp_gt_u32_e64 s[28:29], s47, v38
	v_sub_u32_e32 v0, 0x79, v38
	v_cmp_eq_u32_e32 vcc, 0, v38
	v_cndmask_b32_e64 v0, 0, v0, s[28:29]
	v_mov_b32_e32 v20, 0x78
	v_cndmask_b32_e32 v50, v0, v20, vcc
	v_or_b32_e32 v2, 0x800000, v1
	v_add_u32_e32 v0, 20, v50
	v_cndmask_b32_e32 v20, v2, v1, vcc
	v_lshlrev_b64 v[0:1], v0, -1
	v_add_u32_e32 v2, 19, v50
	v_mov_b32_e32 v24, v52
	v_lshlrev_b64 v[51:52], v2, 1
	v_bfi_b32 v1, v1, 0, 0
	v_bfi_b32 v0, v0, 0, v20
	v_cmp_eq_u64_e64 s[28:29], v[0:1], v[51:52]
	v_lshrrev_b64 v[0:1], v50, v[20:21]
	v_mov_b32_e32 v2, v1
	v_mov_b32_e32 v1, v0
	s_and_saveexec_b64 s[38:39], s[28:29]
; %bb.5543:                             ;   in Loop: Header=BB6_3875 Depth=3
	v_bfe_u32 v1, v0, 20, 1
	v_add_co_u32_e64 v1, s[28:29], v0, v1
	v_add_co_u32_e64 v1, s[28:29], -1, v1
; %bb.5544:                             ;   in Loop: Header=BB6_3875 Depth=3
	s_or_b64 exec, exec, s[38:39]
	v_add_u32_e32 v2, 0xffffff81, v38
	v_mov_b32_e32 v20, 0xffffff82
	v_cndmask_b32_e32 v2, v2, v20, vcc
	v_lshrrev_b32_e32 v20, 23, v0
	v_add3_u32 v38, v50, v2, v20
	v_add_u32_e32 v29, 6, v38
	v_and_b32_e32 v1, 0xfffff, v1
	v_add_u32_e32 v20, v1, v0
	v_cmp_ne_u32_e32 vcc, 0, v29
                                        ; implicit-def: $vgpr0_vgpr1
                                        ; implicit-def: $vgpr2
	s_and_saveexec_b64 s[28:29], vcc
	s_xor_b64 s[28:29], exec, s[28:29]
; %bb.5545:                             ;   in Loop: Header=BB6_3875 Depth=3
	v_cmp_lt_u64_e32 vcc, s[88:89], v[20:21]
	v_add_u32_e32 v0, 7, v38
	v_cndmask_b32_e32 v2, v29, v0, vcc
	v_cndmask_b32_e64 v0, 0, 1, vcc
	v_lshrrev_b64 v[0:1], v0, v[20:21]
; %bb.5546:                             ;   in Loop: Header=BB6_3875 Depth=3
	s_or_saveexec_b64 s[28:29], s[28:29]
	v_mov_b32_e32 v52, v24
	s_xor_b64 exec, exec, s[28:29]
; %bb.5547:                             ;   in Loop: Header=BB6_3875 Depth=3
	v_mov_b32_e32 v0, v20
	v_bfe_u32 v2, v20, 23, 1
	v_mov_b32_e32 v1, v21
; %bb.5548:                             ;   in Loop: Header=BB6_3875 Depth=3
	s_or_b64 exec, exec, s[28:29]
	v_lshrrev_b64 v[0:1], 20, v[0:1]
	v_cmp_gt_i32_e32 vcc, 16, v2
	v_cndmask_b32_e32 v1, 0, v1, vcc
	v_cndmask_b32_e32 v0, 7, v0, vcc
	v_cmp_eq_u64_e64 s[28:29], 0, v[0:1]
	v_min_i32_e32 v1, 15, v2
	v_lshlrev_b32_e32 v1, 3, v1
	v_cmp_eq_u32_e32 vcc, 0, v2
	v_and_b32_e32 v1, 0xf8, v1
	v_and_or_b32 v0, v0, 7, v1
	s_and_b64 s[28:29], vcc, s[28:29]
	v_cndmask_b32_e64 v0, v0, 0, s[28:29]
	v_or_b32_e32 v38, v0, v39
.LBB6_5549:                             ;   in Loop: Header=BB6_3875 Depth=3
	s_or_b64 exec, exec, s[36:37]
                                        ; implicit-def: $vgpr39
.LBB6_5550:                             ;   in Loop: Header=BB6_3875 Depth=3
	s_andn2_saveexec_b64 s[28:29], s[34:35]
; %bb.5551:                             ;   in Loop: Header=BB6_3875 Depth=3
	v_or_b32_e32 v38, 0x7e, v39
; %bb.5552:                             ;   in Loop: Header=BB6_3875 Depth=3
	s_or_b64 exec, exec, s[28:29]
                                        ; implicit-def: $vgpr0
.LBB6_5553:                             ;   in Loop: Header=BB6_3875 Depth=3
	s_andn2_saveexec_b64 s[28:29], s[30:31]
; %bb.5554:                             ;   in Loop: Header=BB6_3875 Depth=3
	v_or_b32_sdwa v38, v0, s81 dst_sel:DWORD dst_unused:UNUSED_PAD src0_sel:BYTE_3 src1_sel:DWORD
; %bb.5555:                             ;   in Loop: Header=BB6_3875 Depth=3
	s_or_b64 exec, exec, s[28:29]
	v_mov_b32_e32 v20, v15
	v_cmp_ne_u16_sdwa vcc, v15, v21 src0_sel:BYTE_0 src1_sel:DWORD
	v_mov_b32_e32 v1, 0
	v_mov_b32_e32 v0, 0
	s_and_saveexec_b64 s[28:29], vcc
	s_cbranch_execz .LBB6_5561
; %bb.5556:                             ;   in Loop: Header=BB6_3875 Depth=3
	v_cmp_ne_u16_sdwa vcc, v15, s80 src0_sel:BYTE_0 src1_sel:DWORD
	v_bfrev_b32_e32 v0, 1
	s_and_saveexec_b64 s[30:31], vcc
	s_cbranch_execz .LBB6_5560
; %bb.5557:                             ;   in Loop: Header=BB6_3875 Depth=3
	v_and_b32_e32 v2, 0x7f, v15
	v_cmp_ne_u32_e32 vcc, s81, v2
	v_mov_b32_e32 v0, 0x7f800001
	s_and_saveexec_b64 s[34:35], vcc
	s_cbranch_execz .LBB6_5559
; %bb.5558:                             ;   in Loop: Header=BB6_3875 Depth=3
	v_and_b32_e32 v0, 7, v15
	v_ffbh_u32_e32 v0, v0
	v_min_u32_e32 v0, 32, v0
	v_lshrrev_b32_e32 v24, 3, v2
	v_cmp_gt_u32_e32 vcc, 8, v2
	v_subrev_u32_e32 v2, 28, v0
	v_cndmask_b32_e32 v2, 0, v2, vcc
	v_lshlrev_b64 v[50:51], v2, v[20:21]
	v_sub_u32_e32 v0, 29, v0
	v_cndmask_b32_e32 v0, v24, v0, vcc
	v_lshlrev_b32_e32 v2, 20, v50
	v_lshlrev_b32_e32 v24, 24, v20
	v_bfrev_b32_e32 v25, 60
	v_and_b32_e32 v2, 0x700000, v2
	v_and_b32_e32 v24, 0x80000000, v24
	v_lshl_add_u32 v0, v0, 23, v25
	v_or3_b32 v0, v24, v0, v2
.LBB6_5559:                             ;   in Loop: Header=BB6_3875 Depth=3
	s_or_b64 exec, exec, s[34:35]
.LBB6_5560:                             ;   in Loop: Header=BB6_3875 Depth=3
	s_or_b64 exec, exec, s[30:31]
.LBB6_5561:                             ;   in Loop: Header=BB6_3875 Depth=3
	s_or_b64 exec, exec, s[28:29]
	v_cmp_ne_u16_sdwa vcc, v11, v21 src0_sel:BYTE_0 src1_sel:DWORD
	s_and_saveexec_b64 s[28:29], vcc
	s_cbranch_execz .LBB6_5567
; %bb.5562:                             ;   in Loop: Header=BB6_3875 Depth=3
	v_cmp_ne_u16_sdwa vcc, v11, s80 src0_sel:BYTE_0 src1_sel:DWORD
	v_bfrev_b32_e32 v1, 1
	s_and_saveexec_b64 s[30:31], vcc
	s_cbranch_execz .LBB6_5566
; %bb.5563:                             ;   in Loop: Header=BB6_3875 Depth=3
	v_and_b32_e32 v2, 0x7f, v11
	v_cmp_ne_u32_e32 vcc, s81, v2
	v_mov_b32_e32 v1, 0x7f800001
	s_and_saveexec_b64 s[34:35], vcc
	s_cbranch_execz .LBB6_5565
; %bb.5564:                             ;   in Loop: Header=BB6_3875 Depth=3
	v_and_b32_e32 v1, 7, v11
	v_ffbh_u32_e32 v1, v1
	v_min_u32_e32 v1, 32, v1
	v_lshrrev_b32_e32 v24, 3, v2
	v_cmp_gt_u32_e32 vcc, 8, v2
	v_subrev_u32_e32 v2, 28, v1
	v_sub_u32_e32 v1, 29, v1
	v_mov_b32_e32 v50, v11
	v_mov_b32_e32 v51, v21
	v_cndmask_b32_e32 v24, v24, v1, vcc
	v_cndmask_b32_e32 v1, 0, v2, vcc
	v_lshlrev_b64 v[1:2], v1, v[50:51]
	v_lshlrev_b32_e32 v2, 24, v50
	v_lshlrev_b32_e32 v1, 20, v1
	v_bfrev_b32_e32 v25, 60
	v_and_b32_e32 v1, 0x700000, v1
	v_and_b32_e32 v2, 0x80000000, v2
	v_lshl_add_u32 v24, v24, 23, v25
	v_or3_b32 v1, v2, v24, v1
.LBB6_5565:                             ;   in Loop: Header=BB6_3875 Depth=3
	s_or_b64 exec, exec, s[34:35]
.LBB6_5566:                             ;   in Loop: Header=BB6_3875 Depth=3
	s_or_b64 exec, exec, s[30:31]
.LBB6_5567:                             ;   in Loop: Header=BB6_3875 Depth=3
	s_or_b64 exec, exec, s[28:29]
	v_mul_f32_e32 v0, v0, v1
	v_and_b32_e32 v1, 0x7f800000, v0
	v_mov_b32_e32 v2, v21
	v_cmp_ne_u64_e32 vcc, s[62:63], v[1:2]
                                        ; implicit-def: $vgpr39
	s_and_saveexec_b64 s[28:29], vcc
	s_xor_b64 s[30:31], exec, s[28:29]
	s_cbranch_execz .LBB6_5581
; %bb.5568:                             ;   in Loop: Header=BB6_3875 Depth=3
	v_and_b32_e32 v1, 0x7fffffff, v0
	v_mov_b32_e32 v2, v21
	v_cmp_gt_u64_e32 vcc, s[78:79], v[1:2]
	v_and_b32_sdwa v50, v0, s80 dst_sel:DWORD dst_unused:UNUSED_PAD src0_sel:BYTE_3 src1_sel:DWORD
                                        ; implicit-def: $vgpr39
	s_and_saveexec_b64 s[28:29], vcc
	s_xor_b64 s[34:35], exec, s[28:29]
	s_cbranch_execz .LBB6_5578
; %bb.5569:                             ;   in Loop: Header=BB6_3875 Depth=3
	v_mov_b32_e32 v39, 0
	v_cmp_ne_u32_e32 vcc, 0, v0
	s_and_saveexec_b64 s[36:37], vcc
	s_cbranch_execz .LBB6_5577
; %bb.5570:                             ;   in Loop: Header=BB6_3875 Depth=3
	v_bfe_u32 v39, v0, 23, 8
	v_and_b32_e32 v1, 0x7fffff, v0
	v_cmp_gt_u32_e64 s[28:29], s47, v39
	v_sub_u32_e32 v0, 0x79, v39
	v_cmp_eq_u32_e32 vcc, 0, v39
	v_cndmask_b32_e64 v0, 0, v0, s[28:29]
	v_mov_b32_e32 v24, 0x78
	v_or_b32_e32 v2, 0x800000, v1
	v_cndmask_b32_e32 v51, v0, v24, vcc
	v_cndmask_b32_e32 v0, v2, v1, vcc
	v_add_u32_e32 v2, 20, v51
	v_mov_b32_e32 v32, v52
	v_mov_b32_e32 v57, v53
	v_lshlrev_b64 v[52:53], v2, -1
	v_mov_b32_e32 v1, v21
	v_add_u32_e32 v2, 19, v51
	v_bfi_b32 v52, v52, 0, v0
	v_lshlrev_b64 v[24:25], v2, 1
	v_lshrrev_b64 v[0:1], v51, v[0:1]
	v_bfi_b32 v53, v53, 0, 0
	v_cmp_eq_u64_e64 s[28:29], v[52:53], v[24:25]
	v_mov_b32_e32 v2, v1
	v_mov_b32_e32 v1, v0
	s_and_saveexec_b64 s[38:39], s[28:29]
; %bb.5571:                             ;   in Loop: Header=BB6_3875 Depth=3
	v_bfe_u32 v1, v0, 20, 1
	v_add_co_u32_e64 v1, s[28:29], v0, v1
	v_add_co_u32_e64 v1, s[28:29], -1, v1
; %bb.5572:                             ;   in Loop: Header=BB6_3875 Depth=3
	s_or_b64 exec, exec, s[38:39]
	v_add_u32_e32 v2, 0xffffff81, v39
	v_mov_b32_e32 v24, 0xffffff82
	v_cndmask_b32_e32 v2, v2, v24, vcc
	v_lshrrev_b32_e32 v24, 23, v0
	v_add3_u32 v39, v51, v2, v24
	v_add_u32_e32 v29, 6, v39
	v_and_b32_e32 v1, 0xfffff, v1
	v_add_u32_e32 v0, v1, v0
	v_mov_b32_e32 v1, v21
	v_cmp_ne_u32_e32 vcc, 0, v29
                                        ; implicit-def: $vgpr2
	s_and_saveexec_b64 s[28:29], vcc
	s_xor_b64 s[28:29], exec, s[28:29]
; %bb.5573:                             ;   in Loop: Header=BB6_3875 Depth=3
	v_cmp_lt_u64_e32 vcc, s[88:89], v[0:1]
	v_add_u32_e32 v2, 7, v39
	v_cndmask_b32_e64 v24, 0, 1, vcc
	v_lshrrev_b64 v[0:1], v24, v[0:1]
	v_cndmask_b32_e32 v2, v29, v2, vcc
; %bb.5574:                             ;   in Loop: Header=BB6_3875 Depth=3
	s_or_saveexec_b64 s[28:29], s[28:29]
	v_mov_b32_e32 v53, v57
	v_mov_b32_e32 v52, v32
	s_xor_b64 exec, exec, s[28:29]
; %bb.5575:                             ;   in Loop: Header=BB6_3875 Depth=3
	v_bfe_u32 v2, v0, 23, 1
; %bb.5576:                             ;   in Loop: Header=BB6_3875 Depth=3
	s_or_b64 exec, exec, s[28:29]
	v_lshrrev_b64 v[0:1], 20, v[0:1]
	v_cmp_gt_i32_e32 vcc, 16, v2
	v_cndmask_b32_e32 v1, 0, v1, vcc
	v_cndmask_b32_e32 v0, 7, v0, vcc
	v_cmp_eq_u64_e64 s[28:29], 0, v[0:1]
	v_min_i32_e32 v1, 15, v2
	v_lshlrev_b32_e32 v1, 3, v1
	v_cmp_eq_u32_e32 vcc, 0, v2
	v_and_b32_e32 v1, 0xf8, v1
	v_and_or_b32 v0, v0, 7, v1
	s_and_b64 s[28:29], vcc, s[28:29]
	v_cndmask_b32_e64 v0, v0, 0, s[28:29]
	v_or_b32_e32 v39, v0, v50
.LBB6_5577:                             ;   in Loop: Header=BB6_3875 Depth=3
	s_or_b64 exec, exec, s[36:37]
                                        ; implicit-def: $vgpr50
.LBB6_5578:                             ;   in Loop: Header=BB6_3875 Depth=3
	s_andn2_saveexec_b64 s[28:29], s[34:35]
; %bb.5579:                             ;   in Loop: Header=BB6_3875 Depth=3
	v_or_b32_e32 v39, 0x7e, v50
; %bb.5580:                             ;   in Loop: Header=BB6_3875 Depth=3
	s_or_b64 exec, exec, s[28:29]
                                        ; implicit-def: $vgpr0
.LBB6_5581:                             ;   in Loop: Header=BB6_3875 Depth=3
	s_andn2_saveexec_b64 s[28:29], s[30:31]
; %bb.5582:                             ;   in Loop: Header=BB6_3875 Depth=3
	v_or_b32_sdwa v39, v0, s81 dst_sel:DWORD dst_unused:UNUSED_PAD src0_sel:BYTE_3 src1_sel:DWORD
; %bb.5583:                             ;   in Loop: Header=BB6_3875 Depth=3
	s_or_b64 exec, exec, s[28:29]
	v_lshrrev_b16_e32 v0, 8, v20
	v_cmp_ne_u16_e32 vcc, 0, v0
	v_mov_b32_e32 v1, 0
	v_mov_b32_e32 v2, 0
	s_and_saveexec_b64 s[28:29], vcc
	s_cbranch_execz .LBB6_5589
; %bb.5584:                             ;   in Loop: Header=BB6_3875 Depth=3
	v_cmp_ne_u16_e32 vcc, s80, v0
	v_bfrev_b32_e32 v2, 1
	s_and_saveexec_b64 s[30:31], vcc
	s_cbranch_execz .LBB6_5588
; %bb.5585:                             ;   in Loop: Header=BB6_3875 Depth=3
	v_and_b32_e32 v29, 0x7f, v0
	v_cmp_ne_u32_e32 vcc, s81, v29
	v_mov_b32_e32 v2, 0x7f800001
	s_and_saveexec_b64 s[34:35], vcc
	s_cbranch_execz .LBB6_5587
; %bb.5586:                             ;   in Loop: Header=BB6_3875 Depth=3
	v_and_b32_e32 v2, 7, v0
	v_ffbh_u32_e32 v24, v2
	v_lshrrev_b32_e32 v50, 3, v29
	v_cmp_gt_u32_e32 vcc, 8, v29
	v_min_u32_e32 v29, 32, v24
	v_subrev_u32_e32 v24, 28, v29
	v_lshlrev_b64 v[24:25], v24, v[0:1]
	v_sub_u32_e32 v0, 29, v29
	v_and_b32_e32 v24, 7, v24
	v_cndmask_b32_e32 v0, v50, v0, vcc
	v_cndmask_b32_e32 v2, v2, v24, vcc
	v_lshlrev_b32_e32 v20, 16, v20
	v_bfrev_b32_e32 v24, 60
	v_lshlrev_b32_e32 v2, 20, v2
	v_and_b32_e32 v20, 0x80000000, v20
	v_lshl_add_u32 v0, v0, 23, v24
	v_or3_b32 v2, v20, v0, v2
.LBB6_5587:                             ;   in Loop: Header=BB6_3875 Depth=3
	s_or_b64 exec, exec, s[34:35]
.LBB6_5588:                             ;   in Loop: Header=BB6_3875 Depth=3
	s_or_b64 exec, exec, s[30:31]
.LBB6_5589:                             ;   in Loop: Header=BB6_3875 Depth=3
	s_or_b64 exec, exec, s[28:29]
	v_lshrrev_b16_e32 v0, 8, v11
	v_cmp_ne_u16_e32 vcc, 0, v0
	s_and_saveexec_b64 s[28:29], vcc
	s_cbranch_execz .LBB6_5595
; %bb.5590:                             ;   in Loop: Header=BB6_3875 Depth=3
	v_cmp_ne_u16_e32 vcc, s80, v0
	v_bfrev_b32_e32 v1, 1
	s_and_saveexec_b64 s[30:31], vcc
	s_cbranch_execz .LBB6_5594
; %bb.5591:                             ;   in Loop: Header=BB6_3875 Depth=3
	v_and_b32_e32 v20, 0x7f, v0
	v_cmp_ne_u32_e32 vcc, s81, v20
	v_mov_b32_e32 v1, 0x7f800001
	s_and_saveexec_b64 s[34:35], vcc
	s_cbranch_execz .LBB6_5593
; %bb.5592:                             ;   in Loop: Header=BB6_3875 Depth=3
	v_and_b32_e32 v24, 7, v0
	v_ffbh_u32_e32 v1, v24
	v_lshrrev_b32_e32 v25, 3, v20
	v_cmp_gt_u32_e32 vcc, 8, v20
	v_min_u32_e32 v20, 32, v1
	v_subrev_u32_e32 v1, 28, v20
	v_lshlrev_b64 v[0:1], v1, v[0:1]
	v_sub_u32_e32 v1, 29, v20
	v_and_b32_e32 v0, 7, v0
	v_cndmask_b32_e32 v1, v25, v1, vcc
	v_cndmask_b32_e32 v0, v24, v0, vcc
	v_lshlrev_b32_e32 v20, 16, v11
	v_bfrev_b32_e32 v24, 60
	v_lshlrev_b32_e32 v0, 20, v0
	v_and_b32_e32 v20, 0x80000000, v20
	v_lshl_add_u32 v1, v1, 23, v24
	v_or3_b32 v1, v20, v1, v0
.LBB6_5593:                             ;   in Loop: Header=BB6_3875 Depth=3
	s_or_b64 exec, exec, s[34:35]
.LBB6_5594:                             ;   in Loop: Header=BB6_3875 Depth=3
	s_or_b64 exec, exec, s[30:31]
.LBB6_5595:                             ;   in Loop: Header=BB6_3875 Depth=3
	s_or_b64 exec, exec, s[28:29]
	v_mul_f32_e32 v0, v2, v1
	v_and_b32_e32 v20, 0x7f800000, v0
	v_cmp_ne_u64_e32 vcc, s[62:63], v[20:21]
                                        ; implicit-def: $vgpr50
	s_and_saveexec_b64 s[28:29], vcc
	s_xor_b64 s[30:31], exec, s[28:29]
	s_cbranch_execz .LBB6_5609
; %bb.5596:                             ;   in Loop: Header=BB6_3875 Depth=3
	v_and_b32_e32 v20, 0x7fffffff, v0
	v_cmp_gt_u64_e32 vcc, s[78:79], v[20:21]
	v_and_b32_sdwa v51, v0, s80 dst_sel:DWORD dst_unused:UNUSED_PAD src0_sel:BYTE_3 src1_sel:DWORD
                                        ; implicit-def: $vgpr50
	s_and_saveexec_b64 s[28:29], vcc
	s_xor_b64 s[34:35], exec, s[28:29]
	s_cbranch_execz .LBB6_5606
; %bb.5597:                             ;   in Loop: Header=BB6_3875 Depth=3
	v_mov_b32_e32 v50, 0
	v_cmp_ne_u32_e32 vcc, 0, v0
	s_and_saveexec_b64 s[36:37], vcc
	s_cbranch_execz .LBB6_5605
; %bb.5598:                             ;   in Loop: Header=BB6_3875 Depth=3
	v_bfe_u32 v50, v0, 23, 8
	v_and_b32_e32 v1, 0x7fffff, v0
	v_cmp_gt_u32_e64 s[28:29], s47, v50
	v_sub_u32_e32 v0, 0x79, v50
	v_cmp_eq_u32_e32 vcc, 0, v50
	v_cndmask_b32_e64 v0, 0, v0, s[28:29]
	v_mov_b32_e32 v20, 0x78
	v_cndmask_b32_e32 v57, v0, v20, vcc
	v_or_b32_e32 v2, 0x800000, v1
	v_add_u32_e32 v0, 20, v57
	v_cndmask_b32_e32 v20, v2, v1, vcc
	v_lshlrev_b64 v[0:1], v0, -1
	v_add_u32_e32 v2, 19, v57
	v_lshlrev_b64 v[24:25], v2, 1
	v_bfi_b32 v1, v1, 0, 0
	v_bfi_b32 v0, v0, 0, v20
	v_cmp_eq_u64_e64 s[28:29], v[0:1], v[24:25]
	v_lshrrev_b64 v[0:1], v57, v[20:21]
	v_mov_b32_e32 v2, v1
	v_mov_b32_e32 v1, v0
	s_and_saveexec_b64 s[38:39], s[28:29]
; %bb.5599:                             ;   in Loop: Header=BB6_3875 Depth=3
	v_bfe_u32 v1, v0, 20, 1
	v_add_co_u32_e64 v1, s[28:29], v0, v1
	v_add_co_u32_e64 v1, s[28:29], -1, v1
; %bb.5600:                             ;   in Loop: Header=BB6_3875 Depth=3
	s_or_b64 exec, exec, s[38:39]
	v_add_u32_e32 v2, 0xffffff81, v50
	v_mov_b32_e32 v20, 0xffffff82
	v_cndmask_b32_e32 v2, v2, v20, vcc
	v_lshrrev_b32_e32 v20, 23, v0
	v_add3_u32 v50, v57, v2, v20
	v_add_u32_e32 v29, 6, v50
	v_and_b32_e32 v1, 0xfffff, v1
	v_add_u32_e32 v20, v1, v0
	v_cmp_ne_u32_e32 vcc, 0, v29
                                        ; implicit-def: $vgpr0_vgpr1
                                        ; implicit-def: $vgpr2
	s_and_saveexec_b64 s[28:29], vcc
	s_xor_b64 s[28:29], exec, s[28:29]
; %bb.5601:                             ;   in Loop: Header=BB6_3875 Depth=3
	v_cmp_lt_u64_e32 vcc, s[88:89], v[20:21]
	v_add_u32_e32 v0, 7, v50
	v_cndmask_b32_e32 v2, v29, v0, vcc
	v_cndmask_b32_e64 v0, 0, 1, vcc
	v_lshrrev_b64 v[0:1], v0, v[20:21]
; %bb.5602:                             ;   in Loop: Header=BB6_3875 Depth=3
	s_andn2_saveexec_b64 s[28:29], s[28:29]
; %bb.5603:                             ;   in Loop: Header=BB6_3875 Depth=3
	v_mov_b32_e32 v0, v20
	v_bfe_u32 v2, v20, 23, 1
	v_mov_b32_e32 v1, v21
; %bb.5604:                             ;   in Loop: Header=BB6_3875 Depth=3
	s_or_b64 exec, exec, s[28:29]
	v_lshrrev_b64 v[0:1], 20, v[0:1]
	v_cmp_gt_i32_e32 vcc, 16, v2
	v_cndmask_b32_e32 v1, 0, v1, vcc
	v_cndmask_b32_e32 v0, 7, v0, vcc
	v_cmp_eq_u64_e64 s[28:29], 0, v[0:1]
	v_min_i32_e32 v1, 15, v2
	v_lshlrev_b32_e32 v1, 3, v1
	v_cmp_eq_u32_e32 vcc, 0, v2
	v_and_b32_e32 v1, 0xf8, v1
	v_and_or_b32 v0, v0, 7, v1
	s_and_b64 s[28:29], vcc, s[28:29]
	v_cndmask_b32_e64 v0, v0, 0, s[28:29]
	v_or_b32_e32 v50, v0, v51
.LBB6_5605:                             ;   in Loop: Header=BB6_3875 Depth=3
	s_or_b64 exec, exec, s[36:37]
                                        ; implicit-def: $vgpr51
.LBB6_5606:                             ;   in Loop: Header=BB6_3875 Depth=3
	s_andn2_saveexec_b64 s[28:29], s[34:35]
; %bb.5607:                             ;   in Loop: Header=BB6_3875 Depth=3
	v_or_b32_e32 v50, 0x7e, v51
; %bb.5608:                             ;   in Loop: Header=BB6_3875 Depth=3
	s_or_b64 exec, exec, s[28:29]
                                        ; implicit-def: $vgpr0
.LBB6_5609:                             ;   in Loop: Header=BB6_3875 Depth=3
	s_andn2_saveexec_b64 s[28:29], s[30:31]
; %bb.5610:                             ;   in Loop: Header=BB6_3875 Depth=3
	v_or_b32_sdwa v50, v0, s81 dst_sel:DWORD dst_unused:UNUSED_PAD src0_sel:BYTE_3 src1_sel:DWORD
; %bb.5611:                             ;   in Loop: Header=BB6_3875 Depth=3
	s_or_b64 exec, exec, s[28:29]
	v_lshrrev_b32_e32 v0, 16, v15
	v_cmp_ne_u16_sdwa vcc, v0, v21 src0_sel:BYTE_0 src1_sel:DWORD
	v_mov_b32_e32 v1, 0
	v_mov_b32_e32 v2, 0
	s_and_saveexec_b64 s[28:29], vcc
	s_cbranch_execz .LBB6_5617
; %bb.5612:                             ;   in Loop: Header=BB6_3875 Depth=3
	v_cmp_ne_u16_sdwa vcc, v0, s80 src0_sel:BYTE_0 src1_sel:DWORD
	v_bfrev_b32_e32 v2, 1
	s_and_saveexec_b64 s[30:31], vcc
	s_cbranch_execz .LBB6_5616
; %bb.5613:                             ;   in Loop: Header=BB6_3875 Depth=3
	v_bfe_u32 v20, v15, 16, 7
	v_cmp_ne_u32_e32 vcc, s81, v20
	v_mov_b32_e32 v2, 0x7f800001
	s_and_saveexec_b64 s[34:35], vcc
	s_cbranch_execz .LBB6_5615
; %bb.5614:                             ;   in Loop: Header=BB6_3875 Depth=3
	v_and_b32_e32 v2, 7, v0
	v_lshrrev_b32_e32 v29, 3, v20
	v_cmp_gt_u32_e32 vcc, 8, v20
	v_ffbh_u32_e32 v20, v2
	v_min_u32_e32 v20, 32, v20
	v_subrev_u32_e32 v24, 28, v20
	v_lshlrev_b64 v[24:25], v24, v[0:1]
	v_sub_u32_e32 v20, 29, v20
	v_and_b32_e32 v24, 7, v24
	v_cndmask_b32_e32 v20, v29, v20, vcc
	v_cndmask_b32_e32 v2, v2, v24, vcc
	v_lshlrev_b32_e32 v0, 24, v0
	v_bfrev_b32_e32 v24, 60
	v_lshlrev_b32_e32 v2, 20, v2
	v_and_b32_e32 v0, 0x80000000, v0
	v_lshl_add_u32 v20, v20, 23, v24
	v_or3_b32 v2, v0, v20, v2
.LBB6_5615:                             ;   in Loop: Header=BB6_3875 Depth=3
	s_or_b64 exec, exec, s[34:35]
.LBB6_5616:                             ;   in Loop: Header=BB6_3875 Depth=3
	s_or_b64 exec, exec, s[30:31]
.LBB6_5617:                             ;   in Loop: Header=BB6_3875 Depth=3
	s_or_b64 exec, exec, s[28:29]
	v_lshrrev_b32_e32 v0, 16, v11
	v_cmp_ne_u16_sdwa vcc, v0, v21 src0_sel:BYTE_0 src1_sel:DWORD
	s_and_saveexec_b64 s[28:29], vcc
	s_cbranch_execz .LBB6_5623
; %bb.5618:                             ;   in Loop: Header=BB6_3875 Depth=3
	v_cmp_ne_u16_sdwa vcc, v0, s80 src0_sel:BYTE_0 src1_sel:DWORD
	v_bfrev_b32_e32 v1, 1
	s_and_saveexec_b64 s[30:31], vcc
	s_cbranch_execz .LBB6_5622
; %bb.5619:                             ;   in Loop: Header=BB6_3875 Depth=3
	v_bfe_u32 v20, v11, 16, 7
	v_cmp_ne_u32_e32 vcc, s81, v20
	v_mov_b32_e32 v1, 0x7f800001
	s_and_saveexec_b64 s[34:35], vcc
	s_cbranch_execz .LBB6_5621
; %bb.5620:                             ;   in Loop: Header=BB6_3875 Depth=3
	v_and_b32_e32 v24, 7, v0
	v_ffbh_u32_e32 v1, v24
	v_lshrrev_b32_e32 v25, 3, v20
	v_cmp_gt_u32_e32 vcc, 8, v20
	v_min_u32_e32 v20, 32, v1
	v_subrev_u32_e32 v1, 28, v20
	v_lshlrev_b64 v[0:1], v1, v[0:1]
	v_sub_u32_e32 v1, 29, v20
	v_and_b32_e32 v0, 7, v0
	v_cndmask_b32_e32 v1, v25, v1, vcc
	v_cndmask_b32_e32 v0, v24, v0, vcc
	v_lshlrev_b32_e32 v20, 8, v11
	v_bfrev_b32_e32 v24, 60
	v_lshlrev_b32_e32 v0, 20, v0
	v_and_b32_e32 v20, 0x80000000, v20
	v_lshl_add_u32 v1, v1, 23, v24
	v_or3_b32 v1, v20, v1, v0
.LBB6_5621:                             ;   in Loop: Header=BB6_3875 Depth=3
	s_or_b64 exec, exec, s[34:35]
.LBB6_5622:                             ;   in Loop: Header=BB6_3875 Depth=3
	s_or_b64 exec, exec, s[30:31]
.LBB6_5623:                             ;   in Loop: Header=BB6_3875 Depth=3
	s_or_b64 exec, exec, s[28:29]
	v_mul_f32_e32 v0, v2, v1
	v_and_b32_e32 v20, 0x7f800000, v0
	v_cmp_ne_u64_e32 vcc, s[62:63], v[20:21]
                                        ; implicit-def: $vgpr51
	s_and_saveexec_b64 s[28:29], vcc
	s_xor_b64 s[30:31], exec, s[28:29]
	s_cbranch_execz .LBB6_5637
; %bb.5624:                             ;   in Loop: Header=BB6_3875 Depth=3
	v_and_b32_e32 v20, 0x7fffffff, v0
	v_cmp_gt_u64_e32 vcc, s[78:79], v[20:21]
	v_and_b32_sdwa v57, v0, s80 dst_sel:DWORD dst_unused:UNUSED_PAD src0_sel:BYTE_3 src1_sel:DWORD
                                        ; implicit-def: $vgpr51
	s_and_saveexec_b64 s[28:29], vcc
	s_xor_b64 s[34:35], exec, s[28:29]
	s_cbranch_execz .LBB6_5634
; %bb.5625:                             ;   in Loop: Header=BB6_3875 Depth=3
	v_mov_b32_e32 v51, 0
	v_cmp_ne_u32_e32 vcc, 0, v0
	s_and_saveexec_b64 s[36:37], vcc
	s_cbranch_execz .LBB6_5633
; %bb.5626:                             ;   in Loop: Header=BB6_3875 Depth=3
	v_bfe_u32 v51, v0, 23, 8
	v_and_b32_e32 v1, 0x7fffff, v0
	v_cmp_gt_u32_e64 s[28:29], s47, v51
	v_sub_u32_e32 v0, 0x79, v51
	v_cmp_eq_u32_e32 vcc, 0, v51
	v_cndmask_b32_e64 v0, 0, v0, s[28:29]
	v_mov_b32_e32 v20, 0x78
	v_cndmask_b32_e32 v29, v0, v20, vcc
	v_or_b32_e32 v2, 0x800000, v1
	v_add_u32_e32 v0, 20, v29
	v_cndmask_b32_e32 v20, v2, v1, vcc
	v_lshlrev_b64 v[0:1], v0, -1
	v_add_u32_e32 v2, 19, v29
	v_lshlrev_b64 v[24:25], v2, 1
	v_bfi_b32 v1, v1, 0, 0
	v_bfi_b32 v0, v0, 0, v20
	v_cmp_eq_u64_e64 s[28:29], v[0:1], v[24:25]
	v_lshrrev_b64 v[0:1], v29, v[20:21]
	v_mov_b32_e32 v2, v1
	v_mov_b32_e32 v1, v0
	s_and_saveexec_b64 s[38:39], s[28:29]
; %bb.5627:                             ;   in Loop: Header=BB6_3875 Depth=3
	v_bfe_u32 v1, v0, 20, 1
	v_add_co_u32_e64 v1, s[28:29], v0, v1
	v_add_co_u32_e64 v1, s[28:29], -1, v1
; %bb.5628:                             ;   in Loop: Header=BB6_3875 Depth=3
	s_or_b64 exec, exec, s[38:39]
	v_add_u32_e32 v2, 0xffffff81, v51
	v_mov_b32_e32 v20, 0xffffff82
	v_cndmask_b32_e32 v2, v2, v20, vcc
	v_lshrrev_b32_e32 v20, 23, v0
	v_add3_u32 v51, v29, v2, v20
	v_add_u32_e32 v29, 6, v51
	v_and_b32_e32 v1, 0xfffff, v1
	v_add_u32_e32 v20, v1, v0
	v_cmp_ne_u32_e32 vcc, 0, v29
                                        ; implicit-def: $vgpr0_vgpr1
                                        ; implicit-def: $vgpr2
	s_and_saveexec_b64 s[28:29], vcc
	s_xor_b64 s[28:29], exec, s[28:29]
; %bb.5629:                             ;   in Loop: Header=BB6_3875 Depth=3
	v_cmp_lt_u64_e32 vcc, s[88:89], v[20:21]
	v_add_u32_e32 v0, 7, v51
	v_cndmask_b32_e32 v2, v29, v0, vcc
	v_cndmask_b32_e64 v0, 0, 1, vcc
	v_lshrrev_b64 v[0:1], v0, v[20:21]
; %bb.5630:                             ;   in Loop: Header=BB6_3875 Depth=3
	s_andn2_saveexec_b64 s[28:29], s[28:29]
; %bb.5631:                             ;   in Loop: Header=BB6_3875 Depth=3
	v_mov_b32_e32 v0, v20
	v_bfe_u32 v2, v20, 23, 1
	v_mov_b32_e32 v1, v21
; %bb.5632:                             ;   in Loop: Header=BB6_3875 Depth=3
	s_or_b64 exec, exec, s[28:29]
	v_lshrrev_b64 v[0:1], 20, v[0:1]
	v_cmp_gt_i32_e32 vcc, 16, v2
	v_cndmask_b32_e32 v1, 0, v1, vcc
	v_cndmask_b32_e32 v0, 7, v0, vcc
	v_cmp_eq_u64_e64 s[28:29], 0, v[0:1]
	v_min_i32_e32 v1, 15, v2
	v_lshlrev_b32_e32 v1, 3, v1
	v_cmp_eq_u32_e32 vcc, 0, v2
	v_and_b32_e32 v1, 0xf8, v1
	v_and_or_b32 v0, v0, 7, v1
	s_and_b64 s[28:29], vcc, s[28:29]
	v_cndmask_b32_e64 v0, v0, 0, s[28:29]
	v_or_b32_e32 v51, v0, v57
.LBB6_5633:                             ;   in Loop: Header=BB6_3875 Depth=3
	s_or_b64 exec, exec, s[36:37]
                                        ; implicit-def: $vgpr57
.LBB6_5634:                             ;   in Loop: Header=BB6_3875 Depth=3
	s_andn2_saveexec_b64 s[28:29], s[34:35]
; %bb.5635:                             ;   in Loop: Header=BB6_3875 Depth=3
	v_or_b32_e32 v51, 0x7e, v57
; %bb.5636:                             ;   in Loop: Header=BB6_3875 Depth=3
	s_or_b64 exec, exec, s[28:29]
                                        ; implicit-def: $vgpr0
.LBB6_5637:                             ;   in Loop: Header=BB6_3875 Depth=3
	s_andn2_saveexec_b64 s[28:29], s[30:31]
; %bb.5638:                             ;   in Loop: Header=BB6_3875 Depth=3
	v_or_b32_sdwa v51, v0, s81 dst_sel:DWORD dst_unused:UNUSED_PAD src0_sel:BYTE_3 src1_sel:DWORD
; %bb.5639:                             ;   in Loop: Header=BB6_3875 Depth=3
	s_or_b64 exec, exec, s[28:29]
	v_cmp_lt_u64_e32 vcc, s[56:57], v[14:15]
	v_mov_b32_e32 v1, 0
	v_mov_b32_e32 v2, 0
	s_and_saveexec_b64 s[28:29], vcc
	s_cbranch_execz .LBB6_5645
; %bb.5640:                             ;   in Loop: Header=BB6_3875 Depth=3
	v_lshrrev_b32_e32 v0, 24, v15
	v_cmp_ne_u32_e32 vcc, s80, v0
	v_bfrev_b32_e32 v2, 1
	s_and_saveexec_b64 s[30:31], vcc
	s_cbranch_execz .LBB6_5644
; %bb.5641:                             ;   in Loop: Header=BB6_3875 Depth=3
	v_bfe_u32 v14, v15, 24, 7
	v_cmp_ne_u32_e32 vcc, s81, v14
	v_mov_b32_e32 v2, 0x7f800001
	s_and_saveexec_b64 s[34:35], vcc
	s_cbranch_execz .LBB6_5643
; %bb.5642:                             ;   in Loop: Header=BB6_3875 Depth=3
	v_and_b32_e32 v2, 7, v0
	v_lshrrev_b32_e32 v20, 3, v14
	v_cmp_gt_u32_e32 vcc, 8, v14
	v_ffbh_u32_e32 v14, v2
	v_min_u32_e32 v24, 32, v14
	v_subrev_u32_e32 v14, 28, v24
	v_lshlrev_b64 v[14:15], v14, v[0:1]
	v_sub_u32_e32 v15, 29, v24
	v_and_b32_e32 v14, 7, v14
	v_cndmask_b32_e32 v15, v20, v15, vcc
	v_cndmask_b32_e32 v2, v2, v14, vcc
	v_lshlrev_b32_e32 v0, 24, v0
	v_bfrev_b32_e32 v14, 60
	v_lshlrev_b32_e32 v2, 20, v2
	v_and_b32_e32 v0, 0x80000000, v0
	v_lshl_add_u32 v14, v15, 23, v14
	v_or3_b32 v2, v0, v14, v2
.LBB6_5643:                             ;   in Loop: Header=BB6_3875 Depth=3
	s_or_b64 exec, exec, s[34:35]
.LBB6_5644:                             ;   in Loop: Header=BB6_3875 Depth=3
	s_or_b64 exec, exec, s[30:31]
.LBB6_5645:                             ;   in Loop: Header=BB6_3875 Depth=3
	s_or_b64 exec, exec, s[28:29]
	v_cmp_lt_u64_e32 vcc, s[56:57], v[10:11]
	s_and_saveexec_b64 s[28:29], vcc
	s_cbranch_execz .LBB6_5651
; %bb.5646:                             ;   in Loop: Header=BB6_3875 Depth=3
	v_lshrrev_b32_e32 v0, 24, v11
	v_cmp_ne_u32_e32 vcc, s80, v0
	v_bfrev_b32_e32 v1, 1
	s_and_saveexec_b64 s[30:31], vcc
	s_cbranch_execz .LBB6_5650
; %bb.5647:                             ;   in Loop: Header=BB6_3875 Depth=3
	v_bfe_u32 v10, v11, 24, 7
	v_cmp_ne_u32_e32 vcc, s81, v10
	v_mov_b32_e32 v1, 0x7f800001
	s_and_saveexec_b64 s[34:35], vcc
	s_cbranch_execz .LBB6_5649
; %bb.5648:                             ;   in Loop: Header=BB6_3875 Depth=3
	v_and_b32_e32 v1, 7, v0
	v_lshrrev_b32_e32 v14, 3, v10
	v_cmp_gt_u32_e32 vcc, 8, v10
	v_ffbh_u32_e32 v10, v1
	v_min_u32_e32 v15, 32, v10
	v_subrev_u32_e32 v10, 28, v15
	v_lshlrev_b64 v[10:11], v10, v[0:1]
	v_sub_u32_e32 v11, 29, v15
	v_and_b32_e32 v10, 7, v10
	v_cndmask_b32_e32 v11, v14, v11, vcc
	v_cndmask_b32_e32 v1, v1, v10, vcc
	v_lshlrev_b32_e32 v0, 24, v0
	v_bfrev_b32_e32 v10, 60
	v_lshlrev_b32_e32 v1, 20, v1
	v_and_b32_e32 v0, 0x80000000, v0
	v_lshl_add_u32 v10, v11, 23, v10
	v_or3_b32 v1, v0, v10, v1
.LBB6_5649:                             ;   in Loop: Header=BB6_3875 Depth=3
	s_or_b64 exec, exec, s[34:35]
.LBB6_5650:                             ;   in Loop: Header=BB6_3875 Depth=3
	s_or_b64 exec, exec, s[30:31]
.LBB6_5651:                             ;   in Loop: Header=BB6_3875 Depth=3
	s_or_b64 exec, exec, s[28:29]
	v_mul_f32_e32 v1, v2, v1
	v_and_b32_e32 v20, 0x7f800000, v1
	v_cmp_ne_u64_e32 vcc, s[62:63], v[20:21]
                                        ; implicit-def: $vgpr0
	s_and_saveexec_b64 s[28:29], vcc
	s_xor_b64 s[30:31], exec, s[28:29]
	s_cbranch_execz .LBB6_5665
; %bb.5652:                             ;   in Loop: Header=BB6_3875 Depth=3
	v_and_b32_e32 v20, 0x7fffffff, v1
	v_cmp_gt_u64_e32 vcc, s[78:79], v[20:21]
	v_and_b32_sdwa v10, v1, s80 dst_sel:DWORD dst_unused:UNUSED_PAD src0_sel:BYTE_3 src1_sel:DWORD
                                        ; implicit-def: $vgpr0
	s_and_saveexec_b64 s[28:29], vcc
	s_xor_b64 s[34:35], exec, s[28:29]
	s_cbranch_execz .LBB6_5662
; %bb.5653:                             ;   in Loop: Header=BB6_3875 Depth=3
	v_mov_b32_e32 v0, 0
	v_cmp_ne_u32_e32 vcc, 0, v1
	s_and_saveexec_b64 s[36:37], vcc
	s_cbranch_execz .LBB6_5661
; %bb.5654:                             ;   in Loop: Header=BB6_3875 Depth=3
	v_bfe_u32 v11, v1, 23, 8
	v_and_b32_e32 v0, 0x7fffff, v1
	v_cmp_gt_u32_e64 s[28:29], s47, v11
	v_sub_u32_e32 v1, 0x79, v11
	v_cmp_eq_u32_e32 vcc, 0, v11
	v_cndmask_b32_e64 v1, 0, v1, s[28:29]
	v_mov_b32_e32 v14, 0x78
	v_or_b32_e32 v2, 0x800000, v0
	v_cndmask_b32_e32 v14, v1, v14, vcc
	v_cndmask_b32_e32 v20, v2, v0, vcc
	v_add_u32_e32 v0, 20, v14
	v_lshlrev_b64 v[0:1], v0, -1
	v_add_u32_e32 v2, 19, v14
	v_lshlrev_b64 v[24:25], v2, 1
	v_bfi_b32 v1, v1, 0, 0
	v_bfi_b32 v0, v0, 0, v20
	v_cmp_eq_u64_e64 s[28:29], v[0:1], v[24:25]
	v_lshrrev_b64 v[0:1], v14, v[20:21]
	v_mov_b32_e32 v2, v1
	v_mov_b32_e32 v1, v0
	s_and_saveexec_b64 s[38:39], s[28:29]
; %bb.5655:                             ;   in Loop: Header=BB6_3875 Depth=3
	v_bfe_u32 v1, v0, 20, 1
	v_add_co_u32_e64 v1, s[28:29], v0, v1
	v_add_co_u32_e64 v1, s[28:29], -1, v1
; %bb.5656:                             ;   in Loop: Header=BB6_3875 Depth=3
	s_or_b64 exec, exec, s[38:39]
	v_add_u32_e32 v2, 0xffffff81, v11
	v_mov_b32_e32 v11, 0xffffff82
	v_cndmask_b32_e32 v2, v2, v11, vcc
	v_lshrrev_b32_e32 v11, 23, v0
	v_add3_u32 v14, v14, v2, v11
	v_add_u32_e32 v11, 6, v14
	v_and_b32_e32 v1, 0xfffff, v1
	v_add_u32_e32 v20, v1, v0
	v_cmp_ne_u32_e32 vcc, 0, v11
                                        ; implicit-def: $vgpr0_vgpr1
                                        ; implicit-def: $vgpr2
	s_and_saveexec_b64 s[28:29], vcc
	s_xor_b64 s[28:29], exec, s[28:29]
; %bb.5657:                             ;   in Loop: Header=BB6_3875 Depth=3
	v_cmp_lt_u64_e32 vcc, s[88:89], v[20:21]
	v_add_u32_e32 v0, 7, v14
	v_cndmask_b32_e32 v2, v11, v0, vcc
	v_cndmask_b32_e64 v0, 0, 1, vcc
	v_lshrrev_b64 v[0:1], v0, v[20:21]
; %bb.5658:                             ;   in Loop: Header=BB6_3875 Depth=3
	s_andn2_saveexec_b64 s[28:29], s[28:29]
; %bb.5659:                             ;   in Loop: Header=BB6_3875 Depth=3
	v_mov_b32_e32 v0, v20
	v_bfe_u32 v2, v20, 23, 1
	v_mov_b32_e32 v1, v21
; %bb.5660:                             ;   in Loop: Header=BB6_3875 Depth=3
	s_or_b64 exec, exec, s[28:29]
	v_lshrrev_b64 v[0:1], 20, v[0:1]
	v_cmp_gt_i32_e32 vcc, 16, v2
	v_cndmask_b32_e32 v1, 0, v1, vcc
	v_cndmask_b32_e32 v0, 7, v0, vcc
	v_cmp_eq_u64_e64 s[28:29], 0, v[0:1]
	v_min_i32_e32 v1, 15, v2
	v_lshlrev_b32_e32 v1, 3, v1
	v_cmp_eq_u32_e32 vcc, 0, v2
	v_and_b32_e32 v1, 0xf8, v1
	v_and_or_b32 v0, v0, 7, v1
	s_and_b64 s[28:29], vcc, s[28:29]
	v_cndmask_b32_e64 v0, v0, 0, s[28:29]
	v_or_b32_e32 v0, v0, v10
.LBB6_5661:                             ;   in Loop: Header=BB6_3875 Depth=3
	s_or_b64 exec, exec, s[36:37]
                                        ; implicit-def: $vgpr10
.LBB6_5662:                             ;   in Loop: Header=BB6_3875 Depth=3
	s_andn2_saveexec_b64 s[28:29], s[34:35]
; %bb.5663:                             ;   in Loop: Header=BB6_3875 Depth=3
	v_or_b32_e32 v0, 0x7e, v10
; %bb.5664:                             ;   in Loop: Header=BB6_3875 Depth=3
	s_or_b64 exec, exec, s[28:29]
                                        ; implicit-def: $vgpr1
.LBB6_5665:                             ;   in Loop: Header=BB6_3875 Depth=3
	s_andn2_saveexec_b64 s[28:29], s[30:31]
	s_cbranch_execz .LBB6_3874
; %bb.5666:                             ;   in Loop: Header=BB6_3875 Depth=3
	v_or_b32_sdwa v0, v1, s81 dst_sel:DWORD dst_unused:UNUSED_PAD src0_sel:BYTE_3 src1_sel:DWORD
	s_branch .LBB6_3874
.LBB6_5667:                             ;   in Loop: Header=BB6_3791 Depth=2
	s_or_b64 exec, exec, s[42:43]
	buffer_load_dword v56, off, s[0:3], s33 offset:200 ; 4-byte Folded Reload
	buffer_load_dword v58, off, s[0:3], s33 offset:396 ; 4-byte Folded Reload
	;; [unrolled: 1-line block ×4, first 2 shown]
.LBB6_5668:                             ;   in Loop: Header=BB6_3791 Depth=2
	s_or_b64 exec, exec, s[40:41]
	buffer_load_dword v0, off, s[0:3], s33 offset:324 ; 4-byte Folded Reload
	s_waitcnt vmcnt(1)
	v_lshlrev_b32_e32 v6, 12, v1
	s_mov_b64 s[28:29], 0
	v_mov_b32_e32 v8, 0
                                        ; implicit-def: $vgpr3
                                        ; implicit-def: $vgpr2
	s_waitcnt vmcnt(0)
	v_cmp_ne_u32_e32 vcc, v0, v6
                                        ; implicit-def: $vgpr0
	s_and_saveexec_b64 s[30:31], vcc
	s_cbranch_execz .LBB6_6126
; %bb.5669:                             ;   in Loop: Header=BB6_3791 Depth=2
	buffer_load_dword v0, off, s[0:3], s33 offset:324 ; 4-byte Folded Reload
	buffer_load_dword v2, off, s[0:3], s33 offset:332 ; 4-byte Folded Reload
	s_waitcnt vmcnt(1)
	v_sub_u32_e32 v1, v0, v6
	v_lshlrev_b32_e32 v0, 6, v31
	s_waitcnt vmcnt(0)
	v_sub_u32_e32 v0, v2, v0
	v_ashrrev_i32_e32 v2, 31, v0
	v_lshrrev_b32_e32 v2, 26, v2
	v_add_u32_e32 v2, v0, v2
	v_ashrrev_i32_e32 v3, 6, v2
	v_and_b32_e32 v2, 0xffffffc0, v2
	v_sub_u32_e32 v7, v0, v2
	v_ashrrev_i32_e32 v2, 31, v1
	v_lshrrev_b32_e32 v2, 22, v2
	v_add_u32_e32 v2, v1, v2
	v_and_b32_e32 v22, 0xfffffc00, v2
	v_lshlrev_b32_e32 v0, 4, v7
	v_sub_u32_e32 v24, v1, v22
	v_lshl_add_u32 v0, v3, 10, v0
	v_ashrrev_i32_e32 v4, 10, v2
	v_cmp_lt_i32_e64 s[28:29], 15, v24
	v_sub_u32_e32 v25, v1, v0
	v_addc_co_u32_e64 v1, vcc, 0, v4, s[28:29]
	v_sub_u32_e32 v23, v1, v3
	v_cmp_lt_i32_e32 vcc, 15, v25
	s_and_saveexec_b64 s[34:35], vcc
	s_cbranch_execz .LBB6_6123
; %bb.5670:                             ;   in Loop: Header=BB6_3791 Depth=2
	v_add_u32_e32 v2, v0, v6
	buffer_load_dword v0, off, s[0:3], s33 offset:344 ; 4-byte Folded Reload
	buffer_load_dword v1, off, s[0:3], s33 offset:348 ; 4-byte Folded Reload
	v_ashrrev_i32_e32 v3, 31, v2
	s_trap 2
	s_mov_b64 s[36:37], 0
	s_waitcnt vmcnt(1)
	v_add_co_u32_e32 v26, vcc, v2, v0
	s_waitcnt vmcnt(0)
	v_addc_co_u32_e32 v27, vcc, v3, v1, vcc
	ds_read_b64 v[0:1], v0
	buffer_load_dword v4, off, s[0:3], s33 offset:336 ; 4-byte Folded Reload
	buffer_load_dword v5, off, s[0:3], s33 offset:340 ; 4-byte Folded Reload
	v_add_co_u32_e32 v28, vcc, v2, v58
	v_addc_co_u32_e32 v29, vcc, v3, v59, vcc
	s_waitcnt vmcnt(1)
	v_add_co_u32_e32 v4, vcc, v2, v4
	s_waitcnt vmcnt(0)
	v_addc_co_u32_e32 v5, vcc, v3, v5, vcc
	s_waitcnt lgkmcnt(0)
	v_add_co_u32_e32 v16, vcc, v0, v2
	v_addc_co_u32_e32 v17, vcc, v1, v3, vcc
.LBB6_5671:                             ;   Parent Loop BB6_47 Depth=1
                                        ;     Parent Loop BB6_3791 Depth=2
                                        ; =>    This Loop Header: Depth=3
                                        ;         Child Loop BB6_6100 Depth 4
	global_load_dwordx4 v[12:15], v[4:5], off glc slc
	global_load_dwordx4 v[8:11], v[16:17], off glc slc
	v_mov_b32_e32 v0, 0
	s_waitcnt vmcnt(1)
	v_cmp_ne_u16_sdwa s[42:43], v12, v21 src0_sel:BYTE_0 src1_sel:DWORD
	s_and_saveexec_b64 s[40:41], s[42:43]
	s_cbranch_execz .LBB6_5677
; %bb.5672:                             ;   in Loop: Header=BB6_5671 Depth=3
	v_cmp_ne_u16_sdwa vcc, v12, s80 src0_sel:BYTE_0 src1_sel:DWORD
	v_bfrev_b32_e32 v0, 1
	s_and_saveexec_b64 s[42:43], vcc
	s_cbranch_execz .LBB6_5676
; %bb.5673:                             ;   in Loop: Header=BB6_5671 Depth=3
	v_and_b32_e32 v1, 0x7f, v12
	v_cmp_ne_u32_e32 vcc, s81, v1
	v_mov_b32_e32 v0, 0x7f800001
	s_and_saveexec_b64 s[38:39], vcc
	s_cbranch_execz .LBB6_5675
; %bb.5674:                             ;   in Loop: Header=BB6_5671 Depth=3
	v_and_b32_e32 v0, 7, v12
	v_ffbh_u32_e32 v0, v0
	v_min_u32_e32 v0, 32, v0
	v_lshrrev_b32_e32 v2, 3, v1
	v_cmp_gt_u32_e32 vcc, 8, v1
	v_subrev_u32_e32 v1, 28, v0
	v_sub_u32_e32 v0, 29, v0
	v_cndmask_b32_e32 v2, v2, v0, vcc
	v_cndmask_b32_e32 v0, 0, v1, vcc
	v_lshlrev_b64 v[0:1], v0, v[12:13]
	v_lshlrev_b32_e32 v1, 24, v12
	v_lshlrev_b32_e32 v0, 20, v0
	v_bfrev_b32_e32 v3, 60
	v_and_b32_e32 v0, 0x700000, v0
	v_and_b32_e32 v1, 0x80000000, v1
	v_lshl_add_u32 v2, v2, 23, v3
	v_or3_b32 v0, v1, v2, v0
.LBB6_5675:                             ;   in Loop: Header=BB6_5671 Depth=3
	s_or_b64 exec, exec, s[38:39]
.LBB6_5676:                             ;   in Loop: Header=BB6_5671 Depth=3
	s_or_b64 exec, exec, s[42:43]
.LBB6_5677:                             ;   in Loop: Header=BB6_5671 Depth=3
	s_or_b64 exec, exec, s[40:41]
	s_waitcnt vmcnt(0)
	v_cmp_gt_i16_sdwa s[42:43], v8, s81 src0_sel:BYTE_0 src1_sel:DWORD
	s_mov_b64 s[40:41], 0
	s_and_saveexec_b64 vcc, s[42:43]
	s_xor_b64 s[42:43], exec, vcc
	s_cbranch_execz .LBB6_6102
; %bb.5678:                             ;   in Loop: Header=BB6_5671 Depth=3
	v_cmp_eq_u16_sdwa s[38:39], v8, s80 src0_sel:BYTE_0 src1_sel:DWORD
	s_mov_b64 s[40:41], -1
	s_and_saveexec_b64 vcc, s[38:39]
; %bb.5679:                             ;   in Loop: Header=BB6_5671 Depth=3
	s_xor_b64 s[40:41], exec, -1
; %bb.5680:                             ;   in Loop: Header=BB6_5671 Depth=3
	s_or_b64 exec, exec, vcc
	s_and_b64 s[40:41], s[40:41], exec
	s_or_saveexec_b64 s[42:43], s[42:43]
	v_bfrev_b32_e32 v1, 1
	s_xor_b64 exec, exec, s[42:43]
	s_cbranch_execnz .LBB6_6103
.LBB6_5681:                             ;   in Loop: Header=BB6_5671 Depth=3
	s_or_b64 exec, exec, s[42:43]
	s_and_saveexec_b64 s[42:43], s[40:41]
	s_cbranch_execz .LBB6_5683
.LBB6_5682:                             ;   in Loop: Header=BB6_5671 Depth=3
	v_and_b32_e32 v1, 7, v8
	v_ffbh_u32_e32 v1, v1
	v_and_b32_e32 v3, 0x7f, v8
	v_min_u32_e32 v1, 32, v1
	v_bfe_u32 v2, v8, 3, 4
	v_subrev_u32_e32 v18, 28, v1
	v_sub_u32_e32 v1, 29, v1
	v_cmp_gt_u32_e32 vcc, 8, v3
	v_cndmask_b32_e32 v19, v2, v1, vcc
	v_cndmask_b32_e32 v1, 0, v18, vcc
	v_lshlrev_b64 v[1:2], v1, v[8:9]
	v_lshlrev_b32_e32 v2, 24, v8
	v_lshlrev_b32_e32 v1, 20, v1
	v_bfrev_b32_e32 v18, 60
	v_and_b32_e32 v1, 0x700000, v1
	v_and_b32_e32 v2, 0x80000000, v2
	v_lshl_add_u32 v18, v19, 23, v18
	v_or3_b32 v1, v2, v18, v1
	v_cmp_ne_u32_e32 vcc, s81, v3
	v_mov_b32_e32 v2, 0x7f800001
	v_cndmask_b32_e32 v1, v2, v1, vcc
.LBB6_5683:                             ;   in Loop: Header=BB6_5671 Depth=3
	s_or_b64 exec, exec, s[42:43]
	v_mul_f32_e32 v0, v0, v1
	v_and_b32_e32 v20, 0x7f800000, v0
	v_cmp_ne_u64_e32 vcc, s[62:63], v[20:21]
                                        ; implicit-def: $vgpr30
	s_and_saveexec_b64 s[40:41], vcc
	s_xor_b64 s[42:43], exec, s[40:41]
	s_cbranch_execz .LBB6_5697
; %bb.5684:                             ;   in Loop: Header=BB6_5671 Depth=3
	v_and_b32_e32 v20, 0x7fffffff, v0
	v_cmp_gt_u64_e32 vcc, s[78:79], v[20:21]
	v_and_b32_sdwa v3, v0, s80 dst_sel:DWORD dst_unused:UNUSED_PAD src0_sel:BYTE_3 src1_sel:DWORD
                                        ; implicit-def: $vgpr30
	s_and_saveexec_b64 s[40:41], vcc
	s_xor_b64 s[38:39], exec, s[40:41]
	s_cbranch_execz .LBB6_5694
; %bb.5685:                             ;   in Loop: Header=BB6_5671 Depth=3
	v_mov_b32_e32 v30, 0
	v_cmp_ne_u32_e32 vcc, 0, v0
	s_and_saveexec_b64 s[48:49], vcc
	s_cbranch_execz .LBB6_5693
; %bb.5686:                             ;   in Loop: Header=BB6_5671 Depth=3
	v_bfe_u32 v18, v0, 23, 8
	v_and_b32_e32 v1, 0x7fffff, v0
	v_cmp_gt_u32_e64 s[40:41], s47, v18
	v_sub_u32_e32 v0, 0x79, v18
	v_cmp_eq_u32_e32 vcc, 0, v18
	v_cndmask_b32_e64 v0, 0, v0, s[40:41]
	v_mov_b32_e32 v19, 0x78
	v_cndmask_b32_e32 v19, v0, v19, vcc
	v_or_b32_e32 v2, 0x800000, v1
	v_add_u32_e32 v0, 20, v19
	v_cndmask_b32_e32 v20, v2, v1, vcc
	v_lshlrev_b64 v[0:1], v0, -1
	v_add_u32_e32 v2, 19, v19
	v_lshlrev_b64 v[30:31], v2, 1
	v_bfi_b32 v1, v1, 0, 0
	v_bfi_b32 v0, v0, 0, v20
	v_cmp_eq_u64_e64 s[40:41], v[0:1], v[30:31]
	v_lshrrev_b64 v[0:1], v19, v[20:21]
	v_mov_b32_e32 v2, v1
	v_mov_b32_e32 v1, v0
	s_and_saveexec_b64 s[50:51], s[40:41]
; %bb.5687:                             ;   in Loop: Header=BB6_5671 Depth=3
	v_bfe_u32 v1, v0, 20, 1
	v_add_co_u32_e64 v1, s[40:41], v0, v1
	v_add_co_u32_e64 v1, s[40:41], -1, v1
; %bb.5688:                             ;   in Loop: Header=BB6_5671 Depth=3
	s_or_b64 exec, exec, s[50:51]
	v_add_u32_e32 v2, 0xffffff81, v18
	v_mov_b32_e32 v18, 0xffffff82
	v_cndmask_b32_e32 v2, v2, v18, vcc
	v_lshrrev_b32_e32 v18, 23, v0
	v_add3_u32 v19, v19, v2, v18
	v_add_u32_e32 v18, 6, v19
	v_and_b32_e32 v1, 0xfffff, v1
	v_add_u32_e32 v20, v1, v0
	v_cmp_ne_u32_e32 vcc, 0, v18
                                        ; implicit-def: $vgpr0_vgpr1
                                        ; implicit-def: $vgpr2
	s_and_saveexec_b64 s[40:41], vcc
	s_xor_b64 s[40:41], exec, s[40:41]
; %bb.5689:                             ;   in Loop: Header=BB6_5671 Depth=3
	v_cmp_lt_u64_e32 vcc, s[88:89], v[20:21]
	v_add_u32_e32 v0, 7, v19
	v_cndmask_b32_e32 v2, v18, v0, vcc
	v_cndmask_b32_e64 v0, 0, 1, vcc
	v_lshrrev_b64 v[0:1], v0, v[20:21]
; %bb.5690:                             ;   in Loop: Header=BB6_5671 Depth=3
	s_andn2_saveexec_b64 s[40:41], s[40:41]
; %bb.5691:                             ;   in Loop: Header=BB6_5671 Depth=3
	v_mov_b32_e32 v0, v20
	v_bfe_u32 v2, v20, 23, 1
	v_mov_b32_e32 v1, v21
; %bb.5692:                             ;   in Loop: Header=BB6_5671 Depth=3
	s_or_b64 exec, exec, s[40:41]
	v_lshrrev_b64 v[0:1], 20, v[0:1]
	v_cmp_gt_i32_e32 vcc, 16, v2
	v_cndmask_b32_e32 v1, 0, v1, vcc
	v_cndmask_b32_e32 v0, 7, v0, vcc
	v_cmp_eq_u64_e64 s[40:41], 0, v[0:1]
	v_min_i32_e32 v1, 15, v2
	v_lshlrev_b32_e32 v1, 3, v1
	v_cmp_eq_u32_e32 vcc, 0, v2
	v_and_b32_e32 v1, 0xf8, v1
	v_and_or_b32 v0, v0, 7, v1
	s_and_b64 s[40:41], vcc, s[40:41]
	v_cndmask_b32_e64 v0, v0, 0, s[40:41]
	v_or_b32_e32 v30, v0, v3
.LBB6_5693:                             ;   in Loop: Header=BB6_5671 Depth=3
	s_or_b64 exec, exec, s[48:49]
                                        ; implicit-def: $vgpr3
.LBB6_5694:                             ;   in Loop: Header=BB6_5671 Depth=3
	s_andn2_saveexec_b64 s[40:41], s[38:39]
; %bb.5695:                             ;   in Loop: Header=BB6_5671 Depth=3
	v_or_b32_e32 v30, 0x7e, v3
; %bb.5696:                             ;   in Loop: Header=BB6_5671 Depth=3
	s_or_b64 exec, exec, s[40:41]
                                        ; implicit-def: $vgpr0
.LBB6_5697:                             ;   in Loop: Header=BB6_5671 Depth=3
	s_andn2_saveexec_b64 s[40:41], s[42:43]
; %bb.5698:                             ;   in Loop: Header=BB6_5671 Depth=3
	v_or_b32_sdwa v30, v0, s81 dst_sel:DWORD dst_unused:UNUSED_PAD src0_sel:BYTE_3 src1_sel:DWORD
; %bb.5699:                             ;   in Loop: Header=BB6_5671 Depth=3
	s_or_b64 exec, exec, s[40:41]
	v_lshrrev_b16_e32 v0, 8, v12
	v_cmp_ne_u16_e32 vcc, 0, v0
	v_mov_b32_e32 v1, 0
	s_and_saveexec_b64 s[40:41], vcc
	s_cbranch_execz .LBB6_5705
; %bb.5700:                             ;   in Loop: Header=BB6_5671 Depth=3
	v_cmp_ne_u16_e32 vcc, s80, v0
	v_bfrev_b32_e32 v1, 1
	s_and_saveexec_b64 s[42:43], vcc
	s_cbranch_execz .LBB6_5704
; %bb.5701:                             ;   in Loop: Header=BB6_5671 Depth=3
	v_and_b32_e32 v2, 0x7f, v0
	v_cmp_ne_u32_e32 vcc, s81, v2
	v_mov_b32_e32 v1, 0x7f800001
	s_and_saveexec_b64 s[38:39], vcc
	s_cbranch_execz .LBB6_5703
; %bb.5702:                             ;   in Loop: Header=BB6_5671 Depth=3
	v_and_b32_e32 v3, 7, v0
	v_ffbh_u32_e32 v1, v3
	v_lshrrev_b32_e32 v18, 3, v2
	v_cmp_gt_u32_e32 vcc, 8, v2
	v_min_u32_e32 v2, 32, v1
	v_subrev_u32_e32 v1, 28, v2
	v_lshlrev_b64 v[0:1], v1, v[0:1]
	v_sub_u32_e32 v1, 29, v2
	v_and_b32_e32 v0, 7, v0
	v_cndmask_b32_e32 v1, v18, v1, vcc
	v_cndmask_b32_e32 v0, v3, v0, vcc
	v_lshlrev_b32_e32 v2, 16, v12
	v_bfrev_b32_e32 v3, 60
	v_lshlrev_b32_e32 v0, 20, v0
	v_and_b32_e32 v2, 0x80000000, v2
	v_lshl_add_u32 v1, v1, 23, v3
	v_or3_b32 v1, v2, v1, v0
.LBB6_5703:                             ;   in Loop: Header=BB6_5671 Depth=3
	s_or_b64 exec, exec, s[38:39]
.LBB6_5704:                             ;   in Loop: Header=BB6_5671 Depth=3
	s_or_b64 exec, exec, s[42:43]
.LBB6_5705:                             ;   in Loop: Header=BB6_5671 Depth=3
	s_or_b64 exec, exec, s[40:41]
	v_lshrrev_b16_e32 v20, 8, v8
	v_cmp_lt_i16_e32 vcc, s81, v20
	s_mov_b64 s[40:41], 0
	s_and_saveexec_b64 s[42:43], vcc
	s_xor_b64 s[42:43], exec, s[42:43]
	s_cbranch_execz .LBB6_6104
; %bb.5706:                             ;   in Loop: Header=BB6_5671 Depth=3
	v_cmp_eq_u16_e32 vcc, s80, v20
	s_mov_b64 s[40:41], -1
	s_and_saveexec_b64 s[38:39], vcc
; %bb.5707:                             ;   in Loop: Header=BB6_5671 Depth=3
	s_xor_b64 s[40:41], exec, -1
; %bb.5708:                             ;   in Loop: Header=BB6_5671 Depth=3
	s_or_b64 exec, exec, s[38:39]
	s_and_b64 s[40:41], s[40:41], exec
	s_or_saveexec_b64 s[42:43], s[42:43]
	v_bfrev_b32_e32 v0, 1
	s_xor_b64 exec, exec, s[42:43]
	s_cbranch_execnz .LBB6_6105
.LBB6_5709:                             ;   in Loop: Header=BB6_5671 Depth=3
	s_or_b64 exec, exec, s[42:43]
	s_and_saveexec_b64 s[42:43], s[40:41]
	s_cbranch_execz .LBB6_5711
.LBB6_5710:                             ;   in Loop: Header=BB6_5671 Depth=3
	v_and_b32_e32 v0, 7, v20
	v_ffbh_u32_e32 v2, v0
	v_min_u32_e32 v31, 32, v2
	v_subrev_u32_e32 v2, 28, v31
	v_lshlrev_b64 v[2:3], v2, v[20:21]
	v_and_b32_e32 v18, 0x7f, v20
	v_bfe_u32 v19, v20, 3, 4
	v_sub_u32_e32 v3, 29, v31
	v_and_b32_e32 v2, 7, v2
	v_cmp_gt_u32_e32 vcc, 8, v18
	v_cndmask_b32_e32 v3, v19, v3, vcc
	v_cndmask_b32_e32 v0, v0, v2, vcc
	v_lshlrev_b32_e32 v2, 24, v20
	v_bfrev_b32_e32 v19, 60
	v_lshlrev_b32_e32 v0, 20, v0
	v_and_b32_e32 v2, 0x80000000, v2
	v_lshl_add_u32 v3, v3, 23, v19
	v_or3_b32 v0, v2, v3, v0
	v_cmp_ne_u32_e32 vcc, s81, v18
	v_mov_b32_e32 v2, 0x7f800001
	v_cndmask_b32_e32 v0, v2, v0, vcc
.LBB6_5711:                             ;   in Loop: Header=BB6_5671 Depth=3
	s_or_b64 exec, exec, s[42:43]
	v_mul_f32_e32 v0, v1, v0
	v_and_b32_e32 v20, 0x7f800000, v0
	v_cmp_ne_u64_e32 vcc, s[62:63], v[20:21]
                                        ; implicit-def: $vgpr31
	s_and_saveexec_b64 s[40:41], vcc
	s_xor_b64 s[42:43], exec, s[40:41]
	s_cbranch_execz .LBB6_5725
; %bb.5712:                             ;   in Loop: Header=BB6_5671 Depth=3
	v_and_b32_e32 v20, 0x7fffffff, v0
	v_cmp_gt_u64_e32 vcc, s[78:79], v[20:21]
	v_and_b32_sdwa v3, v0, s80 dst_sel:DWORD dst_unused:UNUSED_PAD src0_sel:BYTE_3 src1_sel:DWORD
                                        ; implicit-def: $vgpr31
	s_and_saveexec_b64 s[40:41], vcc
	s_xor_b64 s[38:39], exec, s[40:41]
	s_cbranch_execz .LBB6_5722
; %bb.5713:                             ;   in Loop: Header=BB6_5671 Depth=3
	v_mov_b32_e32 v31, 0
	v_cmp_ne_u32_e32 vcc, 0, v0
	s_and_saveexec_b64 s[48:49], vcc
	s_cbranch_execz .LBB6_5721
; %bb.5714:                             ;   in Loop: Header=BB6_5671 Depth=3
	v_bfe_u32 v18, v0, 23, 8
	v_and_b32_e32 v1, 0x7fffff, v0
	v_cmp_gt_u32_e64 s[40:41], s47, v18
	v_sub_u32_e32 v0, 0x79, v18
	v_cmp_eq_u32_e32 vcc, 0, v18
	v_cndmask_b32_e64 v0, 0, v0, s[40:41]
	v_mov_b32_e32 v19, 0x78
	v_cndmask_b32_e32 v19, v0, v19, vcc
	v_or_b32_e32 v2, 0x800000, v1
	v_add_u32_e32 v0, 20, v19
	v_cndmask_b32_e32 v20, v2, v1, vcc
	v_lshlrev_b64 v[0:1], v0, -1
	v_add_u32_e32 v2, 19, v19
	v_lshlrev_b64 v[31:32], v2, 1
	v_bfi_b32 v1, v1, 0, 0
	v_bfi_b32 v0, v0, 0, v20
	v_cmp_eq_u64_e64 s[40:41], v[0:1], v[31:32]
	v_lshrrev_b64 v[0:1], v19, v[20:21]
	v_mov_b32_e32 v2, v1
	v_mov_b32_e32 v1, v0
	s_and_saveexec_b64 s[50:51], s[40:41]
; %bb.5715:                             ;   in Loop: Header=BB6_5671 Depth=3
	v_bfe_u32 v1, v0, 20, 1
	v_add_co_u32_e64 v1, s[40:41], v0, v1
	v_add_co_u32_e64 v1, s[40:41], -1, v1
; %bb.5716:                             ;   in Loop: Header=BB6_5671 Depth=3
	s_or_b64 exec, exec, s[50:51]
	v_add_u32_e32 v2, 0xffffff81, v18
	v_mov_b32_e32 v18, 0xffffff82
	v_cndmask_b32_e32 v2, v2, v18, vcc
	v_lshrrev_b32_e32 v18, 23, v0
	v_add3_u32 v19, v19, v2, v18
	v_add_u32_e32 v18, 6, v19
	v_and_b32_e32 v1, 0xfffff, v1
	v_add_u32_e32 v20, v1, v0
	v_cmp_ne_u32_e32 vcc, 0, v18
                                        ; implicit-def: $vgpr0_vgpr1
                                        ; implicit-def: $vgpr2
	s_and_saveexec_b64 s[40:41], vcc
	s_xor_b64 s[40:41], exec, s[40:41]
; %bb.5717:                             ;   in Loop: Header=BB6_5671 Depth=3
	v_cmp_lt_u64_e32 vcc, s[88:89], v[20:21]
	v_add_u32_e32 v0, 7, v19
	v_cndmask_b32_e32 v2, v18, v0, vcc
	v_cndmask_b32_e64 v0, 0, 1, vcc
	v_lshrrev_b64 v[0:1], v0, v[20:21]
; %bb.5718:                             ;   in Loop: Header=BB6_5671 Depth=3
	s_andn2_saveexec_b64 s[40:41], s[40:41]
; %bb.5719:                             ;   in Loop: Header=BB6_5671 Depth=3
	v_mov_b32_e32 v0, v20
	v_bfe_u32 v2, v20, 23, 1
	v_mov_b32_e32 v1, v21
; %bb.5720:                             ;   in Loop: Header=BB6_5671 Depth=3
	s_or_b64 exec, exec, s[40:41]
	v_lshrrev_b64 v[0:1], 20, v[0:1]
	v_cmp_gt_i32_e32 vcc, 16, v2
	v_cndmask_b32_e32 v1, 0, v1, vcc
	v_cndmask_b32_e32 v0, 7, v0, vcc
	v_cmp_eq_u64_e64 s[40:41], 0, v[0:1]
	v_min_i32_e32 v1, 15, v2
	v_lshlrev_b32_e32 v1, 3, v1
	v_cmp_eq_u32_e32 vcc, 0, v2
	v_and_b32_e32 v1, 0xf8, v1
	v_and_or_b32 v0, v0, 7, v1
	s_and_b64 s[40:41], vcc, s[40:41]
	v_cndmask_b32_e64 v0, v0, 0, s[40:41]
	v_or_b32_e32 v31, v0, v3
.LBB6_5721:                             ;   in Loop: Header=BB6_5671 Depth=3
	s_or_b64 exec, exec, s[48:49]
                                        ; implicit-def: $vgpr3
.LBB6_5722:                             ;   in Loop: Header=BB6_5671 Depth=3
	s_andn2_saveexec_b64 s[40:41], s[38:39]
; %bb.5723:                             ;   in Loop: Header=BB6_5671 Depth=3
	v_or_b32_e32 v31, 0x7e, v3
; %bb.5724:                             ;   in Loop: Header=BB6_5671 Depth=3
	s_or_b64 exec, exec, s[40:41]
                                        ; implicit-def: $vgpr0
.LBB6_5725:                             ;   in Loop: Header=BB6_5671 Depth=3
	s_andn2_saveexec_b64 s[40:41], s[42:43]
; %bb.5726:                             ;   in Loop: Header=BB6_5671 Depth=3
	v_or_b32_sdwa v31, v0, s81 dst_sel:DWORD dst_unused:UNUSED_PAD src0_sel:BYTE_3 src1_sel:DWORD
; %bb.5727:                             ;   in Loop: Header=BB6_5671 Depth=3
	s_or_b64 exec, exec, s[40:41]
	v_lshrrev_b32_e32 v0, 16, v12
	v_cmp_ne_u16_sdwa s[42:43], v0, v21 src0_sel:BYTE_0 src1_sel:DWORD
	v_mov_b32_e32 v1, 0
	s_and_saveexec_b64 s[40:41], s[42:43]
	s_cbranch_execz .LBB6_5733
; %bb.5728:                             ;   in Loop: Header=BB6_5671 Depth=3
	v_cmp_ne_u16_sdwa vcc, v0, s80 src0_sel:BYTE_0 src1_sel:DWORD
	v_bfrev_b32_e32 v1, 1
	s_and_saveexec_b64 s[42:43], vcc
	s_cbranch_execz .LBB6_5732
; %bb.5729:                             ;   in Loop: Header=BB6_5671 Depth=3
	v_bfe_u32 v2, v12, 16, 7
	v_cmp_ne_u32_e32 vcc, s81, v2
	v_mov_b32_e32 v1, 0x7f800001
	s_and_saveexec_b64 s[38:39], vcc
	s_cbranch_execz .LBB6_5731
; %bb.5730:                             ;   in Loop: Header=BB6_5671 Depth=3
	v_and_b32_e32 v3, 7, v0
	v_ffbh_u32_e32 v1, v3
	v_min_u32_e32 v19, 32, v1
	v_subrev_u32_e32 v1, 28, v19
	v_lshrrev_b32_e32 v18, 3, v2
	v_cmp_gt_u32_e32 vcc, 8, v2
	v_lshlrev_b64 v[1:2], v1, v[0:1]
	v_sub_u32_e32 v2, 29, v19
	v_and_b32_e32 v1, 7, v1
	v_cndmask_b32_e32 v2, v18, v2, vcc
	v_cndmask_b32_e32 v1, v3, v1, vcc
	v_lshlrev_b32_e32 v0, 24, v0
	v_bfrev_b32_e32 v3, 60
	v_lshlrev_b32_e32 v1, 20, v1
	v_and_b32_e32 v0, 0x80000000, v0
	v_lshl_add_u32 v2, v2, 23, v3
	v_or3_b32 v1, v0, v2, v1
.LBB6_5731:                             ;   in Loop: Header=BB6_5671 Depth=3
	s_or_b64 exec, exec, s[38:39]
.LBB6_5732:                             ;   in Loop: Header=BB6_5671 Depth=3
	s_or_b64 exec, exec, s[42:43]
.LBB6_5733:                             ;   in Loop: Header=BB6_5671 Depth=3
	s_or_b64 exec, exec, s[40:41]
	v_lshrrev_b32_e32 v2, 16, v8
	v_cmp_gt_i16_sdwa s[42:43], v2, s81 src0_sel:BYTE_0 src1_sel:DWORD
	s_mov_b64 s[40:41], 0
	s_and_saveexec_b64 vcc, s[42:43]
	s_xor_b64 s[42:43], exec, vcc
	s_cbranch_execz .LBB6_6106
; %bb.5734:                             ;   in Loop: Header=BB6_5671 Depth=3
	v_cmp_eq_u16_sdwa s[38:39], v2, s80 src0_sel:BYTE_0 src1_sel:DWORD
	s_mov_b64 s[40:41], -1
	s_and_saveexec_b64 vcc, s[38:39]
; %bb.5735:                             ;   in Loop: Header=BB6_5671 Depth=3
	s_xor_b64 s[40:41], exec, -1
; %bb.5736:                             ;   in Loop: Header=BB6_5671 Depth=3
	s_or_b64 exec, exec, vcc
	s_and_b64 s[40:41], s[40:41], exec
	s_or_saveexec_b64 s[42:43], s[42:43]
	v_bfrev_b32_e32 v0, 1
	s_xor_b64 exec, exec, s[42:43]
	s_cbranch_execnz .LBB6_6107
.LBB6_5737:                             ;   in Loop: Header=BB6_5671 Depth=3
	s_or_b64 exec, exec, s[42:43]
	s_and_saveexec_b64 s[42:43], s[40:41]
	s_cbranch_execz .LBB6_5739
.LBB6_5738:                             ;   in Loop: Header=BB6_5671 Depth=3
	v_and_b32_e32 v0, 7, v2
	v_ffbh_u32_e32 v18, v0
	v_min_u32_e32 v32, 32, v18
	v_and_b32_e32 v3, 0x7f, v2
	v_subrev_u32_e32 v18, 28, v32
	v_lshlrev_b64 v[18:19], v18, v[2:3]
	v_bfe_u32 v20, v2, 3, 4
	v_sub_u32_e32 v19, 29, v32
	v_and_b32_e32 v18, 7, v18
	v_cmp_gt_u32_e32 vcc, 8, v3
	v_cndmask_b32_e32 v19, v20, v19, vcc
	v_cndmask_b32_e32 v0, v0, v18, vcc
	v_lshlrev_b32_e32 v2, 24, v2
	v_bfrev_b32_e32 v18, 60
	v_lshlrev_b32_e32 v0, 20, v0
	v_and_b32_e32 v2, 0x80000000, v2
	v_lshl_add_u32 v18, v19, 23, v18
	v_or3_b32 v0, v2, v18, v0
	v_cmp_ne_u32_e32 vcc, s81, v3
	v_mov_b32_e32 v2, 0x7f800001
	v_cndmask_b32_e32 v0, v2, v0, vcc
.LBB6_5739:                             ;   in Loop: Header=BB6_5671 Depth=3
	s_or_b64 exec, exec, s[42:43]
	v_mul_f32_e32 v0, v1, v0
	v_and_b32_e32 v20, 0x7f800000, v0
	v_cmp_ne_u64_e32 vcc, s[62:63], v[20:21]
                                        ; implicit-def: $vgpr32
	s_and_saveexec_b64 s[40:41], vcc
	s_xor_b64 s[42:43], exec, s[40:41]
	s_cbranch_execz .LBB6_5753
; %bb.5740:                             ;   in Loop: Header=BB6_5671 Depth=3
	v_and_b32_e32 v20, 0x7fffffff, v0
	v_cmp_gt_u64_e32 vcc, s[78:79], v[20:21]
	v_and_b32_sdwa v3, v0, s80 dst_sel:DWORD dst_unused:UNUSED_PAD src0_sel:BYTE_3 src1_sel:DWORD
                                        ; implicit-def: $vgpr32
	s_and_saveexec_b64 s[40:41], vcc
	s_xor_b64 s[38:39], exec, s[40:41]
	s_cbranch_execz .LBB6_5750
; %bb.5741:                             ;   in Loop: Header=BB6_5671 Depth=3
	v_mov_b32_e32 v32, 0
	v_cmp_ne_u32_e32 vcc, 0, v0
	s_and_saveexec_b64 s[48:49], vcc
	s_cbranch_execz .LBB6_5749
; %bb.5742:                             ;   in Loop: Header=BB6_5671 Depth=3
	v_bfe_u32 v18, v0, 23, 8
	v_and_b32_e32 v1, 0x7fffff, v0
	v_cmp_gt_u32_e64 s[40:41], s47, v18
	v_sub_u32_e32 v0, 0x79, v18
	v_cmp_eq_u32_e32 vcc, 0, v18
	v_cndmask_b32_e64 v0, 0, v0, s[40:41]
	v_mov_b32_e32 v19, 0x78
	v_cndmask_b32_e32 v19, v0, v19, vcc
	v_or_b32_e32 v2, 0x800000, v1
	v_add_u32_e32 v0, 20, v19
	v_cndmask_b32_e32 v20, v2, v1, vcc
	v_lshlrev_b64 v[0:1], v0, -1
	v_add_u32_e32 v2, 19, v19
	v_lshlrev_b64 v[32:33], v2, 1
	v_bfi_b32 v1, v1, 0, 0
	v_bfi_b32 v0, v0, 0, v20
	v_cmp_eq_u64_e64 s[40:41], v[0:1], v[32:33]
	v_lshrrev_b64 v[0:1], v19, v[20:21]
	v_mov_b32_e32 v2, v1
	v_mov_b32_e32 v1, v0
	s_and_saveexec_b64 s[50:51], s[40:41]
; %bb.5743:                             ;   in Loop: Header=BB6_5671 Depth=3
	v_bfe_u32 v1, v0, 20, 1
	v_add_co_u32_e64 v1, s[40:41], v0, v1
	v_add_co_u32_e64 v1, s[40:41], -1, v1
; %bb.5744:                             ;   in Loop: Header=BB6_5671 Depth=3
	s_or_b64 exec, exec, s[50:51]
	v_add_u32_e32 v2, 0xffffff81, v18
	v_mov_b32_e32 v18, 0xffffff82
	v_cndmask_b32_e32 v2, v2, v18, vcc
	v_lshrrev_b32_e32 v18, 23, v0
	v_add3_u32 v19, v19, v2, v18
	v_add_u32_e32 v18, 6, v19
	v_and_b32_e32 v1, 0xfffff, v1
	v_add_u32_e32 v20, v1, v0
	v_cmp_ne_u32_e32 vcc, 0, v18
                                        ; implicit-def: $vgpr0_vgpr1
                                        ; implicit-def: $vgpr2
	s_and_saveexec_b64 s[40:41], vcc
	s_xor_b64 s[40:41], exec, s[40:41]
; %bb.5745:                             ;   in Loop: Header=BB6_5671 Depth=3
	v_cmp_lt_u64_e32 vcc, s[88:89], v[20:21]
	v_add_u32_e32 v0, 7, v19
	v_cndmask_b32_e32 v2, v18, v0, vcc
	v_cndmask_b32_e64 v0, 0, 1, vcc
	v_lshrrev_b64 v[0:1], v0, v[20:21]
; %bb.5746:                             ;   in Loop: Header=BB6_5671 Depth=3
	s_andn2_saveexec_b64 s[40:41], s[40:41]
; %bb.5747:                             ;   in Loop: Header=BB6_5671 Depth=3
	v_mov_b32_e32 v0, v20
	v_bfe_u32 v2, v20, 23, 1
	v_mov_b32_e32 v1, v21
; %bb.5748:                             ;   in Loop: Header=BB6_5671 Depth=3
	s_or_b64 exec, exec, s[40:41]
	v_lshrrev_b64 v[0:1], 20, v[0:1]
	v_cmp_gt_i32_e32 vcc, 16, v2
	v_cndmask_b32_e32 v1, 0, v1, vcc
	v_cndmask_b32_e32 v0, 7, v0, vcc
	v_cmp_eq_u64_e64 s[40:41], 0, v[0:1]
	v_min_i32_e32 v1, 15, v2
	v_lshlrev_b32_e32 v1, 3, v1
	v_cmp_eq_u32_e32 vcc, 0, v2
	v_and_b32_e32 v1, 0xf8, v1
	v_and_or_b32 v0, v0, 7, v1
	s_and_b64 s[40:41], vcc, s[40:41]
	v_cndmask_b32_e64 v0, v0, 0, s[40:41]
	v_or_b32_e32 v32, v0, v3
.LBB6_5749:                             ;   in Loop: Header=BB6_5671 Depth=3
	s_or_b64 exec, exec, s[48:49]
                                        ; implicit-def: $vgpr3
.LBB6_5750:                             ;   in Loop: Header=BB6_5671 Depth=3
	s_andn2_saveexec_b64 s[40:41], s[38:39]
; %bb.5751:                             ;   in Loop: Header=BB6_5671 Depth=3
	v_or_b32_e32 v32, 0x7e, v3
; %bb.5752:                             ;   in Loop: Header=BB6_5671 Depth=3
	s_or_b64 exec, exec, s[40:41]
                                        ; implicit-def: $vgpr0
.LBB6_5753:                             ;   in Loop: Header=BB6_5671 Depth=3
	s_andn2_saveexec_b64 s[40:41], s[42:43]
; %bb.5754:                             ;   in Loop: Header=BB6_5671 Depth=3
	v_or_b32_sdwa v32, v0, s81 dst_sel:DWORD dst_unused:UNUSED_PAD src0_sel:BYTE_3 src1_sel:DWORD
; %bb.5755:                             ;   in Loop: Header=BB6_5671 Depth=3
	s_or_b64 exec, exec, s[40:41]
	v_cmp_lt_u32_e32 vcc, s57, v12
	v_mov_b32_e32 v1, 0
	s_and_saveexec_b64 s[40:41], vcc
	s_cbranch_execz .LBB6_5761
; %bb.5756:                             ;   in Loop: Header=BB6_5671 Depth=3
	v_lshrrev_b32_e32 v0, 24, v12
	v_cmp_ne_u32_e32 vcc, s80, v0
	v_bfrev_b32_e32 v1, 1
	s_and_saveexec_b64 s[42:43], vcc
	s_cbranch_execz .LBB6_5760
; %bb.5757:                             ;   in Loop: Header=BB6_5671 Depth=3
	v_bfe_u32 v2, v12, 24, 7
	v_cmp_ne_u32_e32 vcc, s81, v2
	v_mov_b32_e32 v1, 0x7f800001
	s_and_saveexec_b64 s[38:39], vcc
	s_cbranch_execz .LBB6_5759
; %bb.5758:                             ;   in Loop: Header=BB6_5671 Depth=3
	v_and_b32_e32 v3, 7, v0
	v_ffbh_u32_e32 v1, v3
	v_min_u32_e32 v19, 32, v1
	v_subrev_u32_e32 v1, 28, v19
	v_lshrrev_b32_e32 v18, 3, v2
	v_cmp_gt_u32_e32 vcc, 8, v2
	v_lshlrev_b64 v[1:2], v1, v[0:1]
	v_sub_u32_e32 v2, 29, v19
	v_and_b32_e32 v1, 7, v1
	v_cndmask_b32_e32 v2, v18, v2, vcc
	v_cndmask_b32_e32 v1, v3, v1, vcc
	v_lshlrev_b32_e32 v0, 24, v0
	v_bfrev_b32_e32 v3, 60
	v_lshlrev_b32_e32 v1, 20, v1
	v_and_b32_e32 v0, 0x80000000, v0
	v_lshl_add_u32 v2, v2, 23, v3
	v_or3_b32 v1, v0, v2, v1
.LBB6_5759:                             ;   in Loop: Header=BB6_5671 Depth=3
	s_or_b64 exec, exec, s[38:39]
.LBB6_5760:                             ;   in Loop: Header=BB6_5671 Depth=3
	s_or_b64 exec, exec, s[42:43]
.LBB6_5761:                             ;   in Loop: Header=BB6_5671 Depth=3
	s_or_b64 exec, exec, s[40:41]
	v_bfe_u32 v18, v8, 24, 3
	v_ffbh_u32_e32 v2, v18
	v_min_u32_e32 v33, 32, v2
	v_lshrrev_b32_e32 v0, 24, v8
	v_subrev_u32_e32 v2, 28, v33
	v_lshlrev_b64 v[2:3], v2, v[0:1]
	v_bfe_u32 v19, v8, 24, 7
	v_bfe_u32 v20, v0, 3, 4
	v_sub_u32_e32 v3, 29, v33
	v_and_b32_e32 v2, 7, v2
	v_cmp_gt_u32_e32 vcc, 8, v19
	v_cndmask_b32_e32 v3, v20, v3, vcc
	v_cndmask_b32_e32 v2, v18, v2, vcc
	v_bfrev_b32_e32 v20, 60
	v_lshlrev_b32_e32 v2, 20, v2
	v_and_b32_e32 v18, 0x80000000, v8
	v_lshl_add_u32 v3, v3, 23, v20
	v_or3_b32 v2, v18, v3, v2
	v_cmp_ne_u32_e32 vcc, s81, v19
	v_mov_b32_e32 v3, 0x7f800001
	v_cndmask_b32_e32 v2, v3, v2, vcc
	v_cmp_ne_u32_e32 vcc, s80, v0
	v_bfrev_b32_e32 v0, 1
	v_cndmask_b32_e32 v0, v0, v2, vcc
	v_cmp_lt_u32_e32 vcc, s57, v8
	v_cndmask_b32_e32 v0, 0, v0, vcc
	v_mul_f32_e32 v0, v0, v1
	v_and_b32_e32 v20, 0x7f800000, v0
	v_cmp_ne_u64_e32 vcc, s[62:63], v[20:21]
                                        ; implicit-def: $vgpr33
	s_and_saveexec_b64 s[40:41], vcc
	s_xor_b64 s[42:43], exec, s[40:41]
	s_cbranch_execz .LBB6_5775
; %bb.5762:                             ;   in Loop: Header=BB6_5671 Depth=3
	v_and_b32_e32 v20, 0x7fffffff, v0
	v_cmp_gt_u64_e32 vcc, s[78:79], v[20:21]
	v_and_b32_sdwa v3, v0, s80 dst_sel:DWORD dst_unused:UNUSED_PAD src0_sel:BYTE_3 src1_sel:DWORD
                                        ; implicit-def: $vgpr33
	s_and_saveexec_b64 s[40:41], vcc
	s_xor_b64 s[38:39], exec, s[40:41]
	s_cbranch_execz .LBB6_5772
; %bb.5763:                             ;   in Loop: Header=BB6_5671 Depth=3
	v_mov_b32_e32 v33, 0
	v_cmp_ne_u32_e32 vcc, 0, v0
	s_and_saveexec_b64 s[48:49], vcc
	s_cbranch_execz .LBB6_5771
; %bb.5764:                             ;   in Loop: Header=BB6_5671 Depth=3
	v_bfe_u32 v18, v0, 23, 8
	v_and_b32_e32 v1, 0x7fffff, v0
	v_cmp_gt_u32_e64 s[40:41], s47, v18
	v_sub_u32_e32 v0, 0x79, v18
	v_cmp_eq_u32_e32 vcc, 0, v18
	v_cndmask_b32_e64 v0, 0, v0, s[40:41]
	v_mov_b32_e32 v19, 0x78
	v_cndmask_b32_e32 v19, v0, v19, vcc
	v_or_b32_e32 v2, 0x800000, v1
	v_add_u32_e32 v0, 20, v19
	v_cndmask_b32_e32 v20, v2, v1, vcc
	v_lshlrev_b64 v[0:1], v0, -1
	v_add_u32_e32 v2, 19, v19
	v_lshlrev_b64 v[33:34], v2, 1
	v_bfi_b32 v1, v1, 0, 0
	v_bfi_b32 v0, v0, 0, v20
	v_cmp_eq_u64_e64 s[40:41], v[0:1], v[33:34]
	v_lshrrev_b64 v[0:1], v19, v[20:21]
	v_mov_b32_e32 v2, v1
	v_mov_b32_e32 v1, v0
	s_and_saveexec_b64 s[50:51], s[40:41]
; %bb.5765:                             ;   in Loop: Header=BB6_5671 Depth=3
	v_bfe_u32 v1, v0, 20, 1
	v_add_co_u32_e64 v1, s[40:41], v0, v1
	v_add_co_u32_e64 v1, s[40:41], -1, v1
; %bb.5766:                             ;   in Loop: Header=BB6_5671 Depth=3
	s_or_b64 exec, exec, s[50:51]
	v_add_u32_e32 v2, 0xffffff81, v18
	v_mov_b32_e32 v18, 0xffffff82
	v_cndmask_b32_e32 v2, v2, v18, vcc
	v_lshrrev_b32_e32 v18, 23, v0
	v_add3_u32 v19, v19, v2, v18
	v_add_u32_e32 v18, 6, v19
	v_and_b32_e32 v1, 0xfffff, v1
	v_add_u32_e32 v20, v1, v0
	v_cmp_ne_u32_e32 vcc, 0, v18
                                        ; implicit-def: $vgpr0_vgpr1
                                        ; implicit-def: $vgpr2
	s_and_saveexec_b64 s[40:41], vcc
	s_xor_b64 s[40:41], exec, s[40:41]
; %bb.5767:                             ;   in Loop: Header=BB6_5671 Depth=3
	v_cmp_lt_u64_e32 vcc, s[88:89], v[20:21]
	v_add_u32_e32 v0, 7, v19
	v_cndmask_b32_e32 v2, v18, v0, vcc
	v_cndmask_b32_e64 v0, 0, 1, vcc
	v_lshrrev_b64 v[0:1], v0, v[20:21]
; %bb.5768:                             ;   in Loop: Header=BB6_5671 Depth=3
	s_andn2_saveexec_b64 s[40:41], s[40:41]
; %bb.5769:                             ;   in Loop: Header=BB6_5671 Depth=3
	v_mov_b32_e32 v0, v20
	v_bfe_u32 v2, v20, 23, 1
	v_mov_b32_e32 v1, v21
; %bb.5770:                             ;   in Loop: Header=BB6_5671 Depth=3
	s_or_b64 exec, exec, s[40:41]
	v_lshrrev_b64 v[0:1], 20, v[0:1]
	v_cmp_gt_i32_e32 vcc, 16, v2
	v_cndmask_b32_e32 v1, 0, v1, vcc
	v_cndmask_b32_e32 v0, 7, v0, vcc
	v_cmp_eq_u64_e64 s[40:41], 0, v[0:1]
	v_min_i32_e32 v1, 15, v2
	v_lshlrev_b32_e32 v1, 3, v1
	v_cmp_eq_u32_e32 vcc, 0, v2
	v_and_b32_e32 v1, 0xf8, v1
	v_and_or_b32 v0, v0, 7, v1
	s_and_b64 s[40:41], vcc, s[40:41]
	v_cndmask_b32_e64 v0, v0, 0, s[40:41]
	v_or_b32_e32 v33, v0, v3
.LBB6_5771:                             ;   in Loop: Header=BB6_5671 Depth=3
	s_or_b64 exec, exec, s[48:49]
                                        ; implicit-def: $vgpr3
.LBB6_5772:                             ;   in Loop: Header=BB6_5671 Depth=3
	s_andn2_saveexec_b64 s[40:41], s[38:39]
; %bb.5773:                             ;   in Loop: Header=BB6_5671 Depth=3
	v_or_b32_e32 v33, 0x7e, v3
; %bb.5774:                             ;   in Loop: Header=BB6_5671 Depth=3
	s_or_b64 exec, exec, s[40:41]
                                        ; implicit-def: $vgpr0
.LBB6_5775:                             ;   in Loop: Header=BB6_5671 Depth=3
	s_andn2_saveexec_b64 s[40:41], s[42:43]
; %bb.5776:                             ;   in Loop: Header=BB6_5671 Depth=3
	v_or_b32_sdwa v33, v0, s81 dst_sel:DWORD dst_unused:UNUSED_PAD src0_sel:BYTE_3 src1_sel:DWORD
; %bb.5777:                             ;   in Loop: Header=BB6_5671 Depth=3
	s_or_b64 exec, exec, s[40:41]
	v_mov_b32_e32 v20, v13
	v_cmp_ne_u16_sdwa s[42:43], v13, v21 src0_sel:BYTE_0 src1_sel:DWORD
	v_mov_b32_e32 v0, 0
	s_and_saveexec_b64 s[40:41], s[42:43]
	s_cbranch_execz .LBB6_5783
; %bb.5778:                             ;   in Loop: Header=BB6_5671 Depth=3
	v_cmp_ne_u16_sdwa vcc, v13, s80 src0_sel:BYTE_0 src1_sel:DWORD
	v_bfrev_b32_e32 v0, 1
	s_and_saveexec_b64 s[42:43], vcc
	s_cbranch_execz .LBB6_5782
; %bb.5779:                             ;   in Loop: Header=BB6_5671 Depth=3
	v_and_b32_e32 v1, 0x7f, v13
	v_cmp_ne_u32_e32 vcc, s81, v1
	v_mov_b32_e32 v0, 0x7f800001
	s_and_saveexec_b64 s[38:39], vcc
	s_cbranch_execz .LBB6_5781
; %bb.5780:                             ;   in Loop: Header=BB6_5671 Depth=3
	v_and_b32_e32 v0, 7, v13
	v_ffbh_u32_e32 v0, v0
	v_min_u32_e32 v0, 32, v0
	v_lshrrev_b32_e32 v2, 3, v1
	v_cmp_gt_u32_e32 vcc, 8, v1
	v_subrev_u32_e32 v1, 28, v0
	v_sub_u32_e32 v0, 29, v0
	v_cndmask_b32_e32 v2, v2, v0, vcc
	v_cndmask_b32_e32 v0, 0, v1, vcc
	v_lshlrev_b64 v[0:1], v0, v[20:21]
	v_lshlrev_b32_e32 v1, 24, v20
	v_lshlrev_b32_e32 v0, 20, v0
	v_bfrev_b32_e32 v3, 60
	v_and_b32_e32 v0, 0x700000, v0
	v_and_b32_e32 v1, 0x80000000, v1
	v_lshl_add_u32 v2, v2, 23, v3
	v_or3_b32 v0, v1, v2, v0
.LBB6_5781:                             ;   in Loop: Header=BB6_5671 Depth=3
	s_or_b64 exec, exec, s[38:39]
.LBB6_5782:                             ;   in Loop: Header=BB6_5671 Depth=3
	s_or_b64 exec, exec, s[42:43]
.LBB6_5783:                             ;   in Loop: Header=BB6_5671 Depth=3
	s_or_b64 exec, exec, s[40:41]
	v_cmp_gt_i16_sdwa s[42:43], v9, s81 src0_sel:BYTE_0 src1_sel:DWORD
	s_mov_b64 s[40:41], 0
	s_and_saveexec_b64 vcc, s[42:43]
	s_xor_b64 s[42:43], exec, vcc
	s_cbranch_execz .LBB6_5787
; %bb.5784:                             ;   in Loop: Header=BB6_5671 Depth=3
	v_cmp_eq_u16_sdwa s[38:39], v9, s80 src0_sel:BYTE_0 src1_sel:DWORD
	s_mov_b64 s[40:41], -1
	s_and_saveexec_b64 vcc, s[38:39]
; %bb.5785:                             ;   in Loop: Header=BB6_5671 Depth=3
	s_xor_b64 s[40:41], exec, -1
; %bb.5786:                             ;   in Loop: Header=BB6_5671 Depth=3
	s_or_b64 exec, exec, vcc
	s_and_b64 s[40:41], s[40:41], exec
.LBB6_5787:                             ;   in Loop: Header=BB6_5671 Depth=3
	s_or_saveexec_b64 s[42:43], s[42:43]
	v_bfrev_b32_e32 v1, 1
	s_xor_b64 exec, exec, s[42:43]
; %bb.5788:                             ;   in Loop: Header=BB6_5671 Depth=3
	v_cmp_ne_u16_sdwa vcc, v9, v21 src0_sel:BYTE_0 src1_sel:DWORD
	s_andn2_b64 s[40:41], s[40:41], exec
	s_and_b64 vcc, vcc, exec
	v_mov_b32_e32 v1, 0
	s_or_b64 s[40:41], s[40:41], vcc
; %bb.5789:                             ;   in Loop: Header=BB6_5671 Depth=3
	s_or_b64 exec, exec, s[42:43]
	v_mov_b32_e32 v18, v9
	v_mov_b32_e32 v19, v21
	s_and_saveexec_b64 s[42:43], s[40:41]
	s_cbranch_execz .LBB6_5791
; %bb.5790:                             ;   in Loop: Header=BB6_5671 Depth=3
	v_and_b32_e32 v1, 7, v9
	v_ffbh_u32_e32 v1, v1
	v_and_b32_e32 v3, 0x7f, v9
	v_min_u32_e32 v1, 32, v1
	v_bfe_u32 v2, v9, 3, 4
	v_subrev_u32_e32 v34, 28, v1
	v_sub_u32_e32 v1, 29, v1
	v_cmp_gt_u32_e32 vcc, 8, v3
	v_cndmask_b32_e32 v35, v2, v1, vcc
	v_cndmask_b32_e32 v1, 0, v34, vcc
	v_lshlrev_b64 v[1:2], v1, v[18:19]
	v_lshlrev_b32_e32 v2, 24, v18
	v_lshlrev_b32_e32 v1, 20, v1
	v_bfrev_b32_e32 v19, 60
	v_and_b32_e32 v1, 0x700000, v1
	v_and_b32_e32 v2, 0x80000000, v2
	v_lshl_add_u32 v19, v35, 23, v19
	v_or3_b32 v1, v2, v19, v1
	v_cmp_ne_u32_e32 vcc, s81, v3
	v_mov_b32_e32 v2, 0x7f800001
	v_cndmask_b32_e32 v1, v2, v1, vcc
.LBB6_5791:                             ;   in Loop: Header=BB6_5671 Depth=3
	s_or_b64 exec, exec, s[42:43]
	v_mul_f32_e32 v0, v0, v1
	v_and_b32_e32 v1, 0x7f800000, v0
	v_mov_b32_e32 v2, v21
	v_cmp_ne_u64_e32 vcc, s[62:63], v[1:2]
                                        ; implicit-def: $vgpr3
	s_and_saveexec_b64 s[40:41], vcc
	s_xor_b64 s[42:43], exec, s[40:41]
	s_cbranch_execz .LBB6_5805
; %bb.5792:                             ;   in Loop: Header=BB6_5671 Depth=3
	v_and_b32_e32 v1, 0x7fffffff, v0
	v_mov_b32_e32 v2, v21
	v_cmp_gt_u64_e32 vcc, s[78:79], v[1:2]
	v_and_b32_sdwa v19, v0, s80 dst_sel:DWORD dst_unused:UNUSED_PAD src0_sel:BYTE_3 src1_sel:DWORD
                                        ; implicit-def: $vgpr3
	s_and_saveexec_b64 s[40:41], vcc
	s_xor_b64 s[38:39], exec, s[40:41]
	s_cbranch_execz .LBB6_5802
; %bb.5793:                             ;   in Loop: Header=BB6_5671 Depth=3
	v_mov_b32_e32 v3, 0
	v_cmp_ne_u32_e32 vcc, 0, v0
	s_and_saveexec_b64 s[48:49], vcc
	s_cbranch_execz .LBB6_5801
; %bb.5794:                             ;   in Loop: Header=BB6_5671 Depth=3
	v_bfe_u32 v3, v0, 23, 8
	v_and_b32_e32 v1, 0x7fffff, v0
	v_cmp_gt_u32_e64 s[40:41], s47, v3
	v_sub_u32_e32 v0, 0x79, v3
	v_cmp_eq_u32_e32 vcc, 0, v3
	v_cndmask_b32_e64 v0, 0, v0, s[40:41]
	v_mov_b32_e32 v34, 0x78
	v_or_b32_e32 v2, 0x800000, v1
	v_cndmask_b32_e32 v34, v0, v34, vcc
	v_cndmask_b32_e32 v0, v2, v1, vcc
	v_add_u32_e32 v2, 20, v34
	v_lshlrev_b64 v[35:36], v2, -1
	v_mov_b32_e32 v1, v21
	v_add_u32_e32 v2, 19, v34
	v_bfi_b32 v35, v35, 0, v0
	v_lshlrev_b64 v[37:38], v2, 1
	v_lshrrev_b64 v[0:1], v34, v[0:1]
	v_bfi_b32 v36, v36, 0, 0
	v_cmp_eq_u64_e64 s[40:41], v[35:36], v[37:38]
	v_mov_b32_e32 v2, v1
	v_mov_b32_e32 v1, v0
	s_and_saveexec_b64 s[50:51], s[40:41]
; %bb.5795:                             ;   in Loop: Header=BB6_5671 Depth=3
	v_bfe_u32 v1, v0, 20, 1
	v_add_co_u32_e64 v1, s[40:41], v0, v1
	v_add_co_u32_e64 v1, s[40:41], -1, v1
; %bb.5796:                             ;   in Loop: Header=BB6_5671 Depth=3
	s_or_b64 exec, exec, s[50:51]
	v_add_u32_e32 v2, 0xffffff81, v3
	v_mov_b32_e32 v3, 0xffffff82
	v_cndmask_b32_e32 v2, v2, v3, vcc
	v_lshrrev_b32_e32 v3, 23, v0
	v_add3_u32 v35, v34, v2, v3
	v_add_u32_e32 v34, 6, v35
	v_and_b32_e32 v1, 0xfffff, v1
	v_add_u32_e32 v2, v1, v0
	v_mov_b32_e32 v3, v21
	v_cmp_ne_u32_e32 vcc, 0, v34
                                        ; implicit-def: $vgpr0
	s_and_saveexec_b64 s[40:41], vcc
	s_xor_b64 s[40:41], exec, s[40:41]
; %bb.5797:                             ;   in Loop: Header=BB6_5671 Depth=3
	v_cmp_lt_u64_e32 vcc, s[88:89], v[2:3]
	v_add_u32_e32 v0, 7, v35
	v_cndmask_b32_e64 v1, 0, 1, vcc
	v_cndmask_b32_e32 v0, v34, v0, vcc
	v_lshrrev_b64 v[2:3], v1, v[2:3]
; %bb.5798:                             ;   in Loop: Header=BB6_5671 Depth=3
	s_andn2_saveexec_b64 s[40:41], s[40:41]
; %bb.5799:                             ;   in Loop: Header=BB6_5671 Depth=3
	v_bfe_u32 v0, v2, 23, 1
; %bb.5800:                             ;   in Loop: Header=BB6_5671 Depth=3
	s_or_b64 exec, exec, s[40:41]
	v_lshrrev_b64 v[1:2], 20, v[2:3]
	v_cmp_gt_i32_e32 vcc, 16, v0
	v_cndmask_b32_e32 v2, 0, v2, vcc
	v_cndmask_b32_e32 v1, 7, v1, vcc
	v_cmp_eq_u32_e32 vcc, 0, v0
	v_min_i32_e32 v0, 15, v0
	v_cmp_eq_u64_e64 s[40:41], 0, v[1:2]
	v_lshlrev_b32_e32 v0, 3, v0
	v_and_b32_e32 v0, 0xf8, v0
	v_and_or_b32 v0, v1, 7, v0
	s_and_b64 s[40:41], vcc, s[40:41]
	v_cndmask_b32_e64 v0, v0, 0, s[40:41]
	v_or_b32_e32 v3, v0, v19
.LBB6_5801:                             ;   in Loop: Header=BB6_5671 Depth=3
	s_or_b64 exec, exec, s[48:49]
                                        ; implicit-def: $vgpr19
.LBB6_5802:                             ;   in Loop: Header=BB6_5671 Depth=3
	s_andn2_saveexec_b64 s[40:41], s[38:39]
; %bb.5803:                             ;   in Loop: Header=BB6_5671 Depth=3
	v_or_b32_e32 v3, 0x7e, v19
; %bb.5804:                             ;   in Loop: Header=BB6_5671 Depth=3
	s_or_b64 exec, exec, s[40:41]
                                        ; implicit-def: $vgpr0
.LBB6_5805:                             ;   in Loop: Header=BB6_5671 Depth=3
	s_andn2_saveexec_b64 s[40:41], s[42:43]
; %bb.5806:                             ;   in Loop: Header=BB6_5671 Depth=3
	v_or_b32_sdwa v3, v0, s81 dst_sel:DWORD dst_unused:UNUSED_PAD src0_sel:BYTE_3 src1_sel:DWORD
; %bb.5807:                             ;   in Loop: Header=BB6_5671 Depth=3
	s_or_b64 exec, exec, s[40:41]
	v_lshrrev_b16_e32 v0, 8, v20
	v_cmp_ne_u16_e32 vcc, 0, v0
	v_mov_b32_e32 v1, 0
	s_and_saveexec_b64 s[40:41], vcc
	s_cbranch_execz .LBB6_5813
; %bb.5808:                             ;   in Loop: Header=BB6_5671 Depth=3
	v_cmp_ne_u16_e32 vcc, s80, v0
	v_bfrev_b32_e32 v1, 1
	s_and_saveexec_b64 s[42:43], vcc
	s_cbranch_execz .LBB6_5812
; %bb.5809:                             ;   in Loop: Header=BB6_5671 Depth=3
	v_and_b32_e32 v2, 0x7f, v0
	v_cmp_ne_u32_e32 vcc, s81, v2
	v_mov_b32_e32 v1, 0x7f800001
	s_and_saveexec_b64 s[38:39], vcc
	s_cbranch_execz .LBB6_5811
; %bb.5810:                             ;   in Loop: Header=BB6_5671 Depth=3
	v_and_b32_e32 v19, 7, v0
	v_ffbh_u32_e32 v1, v19
	v_lshrrev_b32_e32 v34, 3, v2
	v_cmp_gt_u32_e32 vcc, 8, v2
	v_min_u32_e32 v2, 32, v1
	v_subrev_u32_e32 v1, 28, v2
	v_lshlrev_b64 v[0:1], v1, v[0:1]
	v_sub_u32_e32 v1, 29, v2
	v_and_b32_e32 v0, 7, v0
	v_cndmask_b32_e32 v1, v34, v1, vcc
	v_cndmask_b32_e32 v0, v19, v0, vcc
	v_lshlrev_b32_e32 v2, 16, v20
	v_bfrev_b32_e32 v19, 60
	v_lshlrev_b32_e32 v0, 20, v0
	v_and_b32_e32 v2, 0x80000000, v2
	v_lshl_add_u32 v1, v1, 23, v19
	v_or3_b32 v1, v2, v1, v0
.LBB6_5811:                             ;   in Loop: Header=BB6_5671 Depth=3
	s_or_b64 exec, exec, s[38:39]
.LBB6_5812:                             ;   in Loop: Header=BB6_5671 Depth=3
	s_or_b64 exec, exec, s[42:43]
.LBB6_5813:                             ;   in Loop: Header=BB6_5671 Depth=3
	s_or_b64 exec, exec, s[40:41]
	v_lshrrev_b16_e32 v20, 8, v18
	v_cmp_lt_i16_e32 vcc, s81, v20
	s_mov_b64 s[40:41], 0
	s_and_saveexec_b64 s[42:43], vcc
	s_xor_b64 s[42:43], exec, s[42:43]
	s_cbranch_execz .LBB6_6108
; %bb.5814:                             ;   in Loop: Header=BB6_5671 Depth=3
	v_cmp_eq_u16_e32 vcc, s80, v20
	s_mov_b64 s[40:41], -1
	s_and_saveexec_b64 s[38:39], vcc
; %bb.5815:                             ;   in Loop: Header=BB6_5671 Depth=3
	s_xor_b64 s[40:41], exec, -1
; %bb.5816:                             ;   in Loop: Header=BB6_5671 Depth=3
	s_or_b64 exec, exec, s[38:39]
	s_and_b64 s[40:41], s[40:41], exec
	s_or_saveexec_b64 s[42:43], s[42:43]
	v_bfrev_b32_e32 v0, 1
	s_xor_b64 exec, exec, s[42:43]
	s_cbranch_execnz .LBB6_6109
.LBB6_5817:                             ;   in Loop: Header=BB6_5671 Depth=3
	s_or_b64 exec, exec, s[42:43]
	s_and_saveexec_b64 s[42:43], s[40:41]
	s_cbranch_execz .LBB6_5819
.LBB6_5818:                             ;   in Loop: Header=BB6_5671 Depth=3
	v_and_b32_e32 v0, 7, v20
	v_ffbh_u32_e32 v18, v0
	v_min_u32_e32 v35, 32, v18
	v_subrev_u32_e32 v18, 28, v35
	v_lshlrev_b64 v[18:19], v18, v[20:21]
	v_and_b32_e32 v2, 0x7f, v20
	v_bfe_u32 v34, v20, 3, 4
	v_sub_u32_e32 v19, 29, v35
	v_and_b32_e32 v18, 7, v18
	v_cmp_gt_u32_e32 vcc, 8, v2
	v_cndmask_b32_e32 v19, v34, v19, vcc
	v_cndmask_b32_e32 v0, v0, v18, vcc
	v_lshlrev_b32_e32 v18, 24, v20
	v_bfrev_b32_e32 v20, 60
	v_lshlrev_b32_e32 v0, 20, v0
	v_and_b32_e32 v18, 0x80000000, v18
	v_lshl_add_u32 v19, v19, 23, v20
	v_or3_b32 v0, v18, v19, v0
	v_cmp_ne_u32_e32 vcc, s81, v2
	v_mov_b32_e32 v2, 0x7f800001
	v_cndmask_b32_e32 v0, v2, v0, vcc
.LBB6_5819:                             ;   in Loop: Header=BB6_5671 Depth=3
	s_or_b64 exec, exec, s[42:43]
	v_mul_f32_e32 v0, v1, v0
	v_and_b32_e32 v20, 0x7f800000, v0
	v_cmp_ne_u64_e32 vcc, s[62:63], v[20:21]
                                        ; implicit-def: $vgpr18
	s_and_saveexec_b64 s[40:41], vcc
	s_xor_b64 s[42:43], exec, s[40:41]
	s_cbranch_execz .LBB6_5833
; %bb.5820:                             ;   in Loop: Header=BB6_5671 Depth=3
	v_and_b32_e32 v20, 0x7fffffff, v0
	v_cmp_gt_u64_e32 vcc, s[78:79], v[20:21]
	v_and_b32_sdwa v19, v0, s80 dst_sel:DWORD dst_unused:UNUSED_PAD src0_sel:BYTE_3 src1_sel:DWORD
                                        ; implicit-def: $vgpr18
	s_and_saveexec_b64 s[40:41], vcc
	s_xor_b64 s[38:39], exec, s[40:41]
	s_cbranch_execz .LBB6_5830
; %bb.5821:                             ;   in Loop: Header=BB6_5671 Depth=3
	v_mov_b32_e32 v18, 0
	v_cmp_ne_u32_e32 vcc, 0, v0
	s_and_saveexec_b64 s[48:49], vcc
	s_cbranch_execz .LBB6_5829
; %bb.5822:                             ;   in Loop: Header=BB6_5671 Depth=3
	v_bfe_u32 v18, v0, 23, 8
	v_and_b32_e32 v1, 0x7fffff, v0
	v_cmp_gt_u32_e64 s[40:41], s47, v18
	v_sub_u32_e32 v0, 0x79, v18
	v_cmp_eq_u32_e32 vcc, 0, v18
	v_cndmask_b32_e64 v0, 0, v0, s[40:41]
	v_mov_b32_e32 v20, 0x78
	v_cndmask_b32_e32 v34, v0, v20, vcc
	v_or_b32_e32 v2, 0x800000, v1
	v_add_u32_e32 v0, 20, v34
	v_cndmask_b32_e32 v20, v2, v1, vcc
	v_lshlrev_b64 v[0:1], v0, -1
	v_add_u32_e32 v2, 19, v34
	v_lshlrev_b64 v[35:36], v2, 1
	v_bfi_b32 v1, v1, 0, 0
	v_bfi_b32 v0, v0, 0, v20
	v_cmp_eq_u64_e64 s[40:41], v[0:1], v[35:36]
	v_lshrrev_b64 v[0:1], v34, v[20:21]
	v_mov_b32_e32 v2, v1
	v_mov_b32_e32 v1, v0
	s_and_saveexec_b64 s[50:51], s[40:41]
; %bb.5823:                             ;   in Loop: Header=BB6_5671 Depth=3
	v_bfe_u32 v1, v0, 20, 1
	v_add_co_u32_e64 v1, s[40:41], v0, v1
	v_add_co_u32_e64 v1, s[40:41], -1, v1
; %bb.5824:                             ;   in Loop: Header=BB6_5671 Depth=3
	s_or_b64 exec, exec, s[50:51]
	v_add_u32_e32 v2, 0xffffff81, v18
	v_mov_b32_e32 v18, 0xffffff82
	v_cndmask_b32_e32 v2, v2, v18, vcc
	v_lshrrev_b32_e32 v18, 23, v0
	v_add3_u32 v34, v34, v2, v18
	v_add_u32_e32 v18, 6, v34
	v_and_b32_e32 v1, 0xfffff, v1
	v_add_u32_e32 v20, v1, v0
	v_cmp_ne_u32_e32 vcc, 0, v18
                                        ; implicit-def: $vgpr0_vgpr1
                                        ; implicit-def: $vgpr2
	s_and_saveexec_b64 s[40:41], vcc
	s_xor_b64 s[40:41], exec, s[40:41]
; %bb.5825:                             ;   in Loop: Header=BB6_5671 Depth=3
	v_cmp_lt_u64_e32 vcc, s[88:89], v[20:21]
	v_add_u32_e32 v0, 7, v34
	v_cndmask_b32_e32 v2, v18, v0, vcc
	v_cndmask_b32_e64 v0, 0, 1, vcc
	v_lshrrev_b64 v[0:1], v0, v[20:21]
; %bb.5826:                             ;   in Loop: Header=BB6_5671 Depth=3
	s_andn2_saveexec_b64 s[40:41], s[40:41]
; %bb.5827:                             ;   in Loop: Header=BB6_5671 Depth=3
	v_mov_b32_e32 v0, v20
	v_bfe_u32 v2, v20, 23, 1
	v_mov_b32_e32 v1, v21
; %bb.5828:                             ;   in Loop: Header=BB6_5671 Depth=3
	s_or_b64 exec, exec, s[40:41]
	v_lshrrev_b64 v[0:1], 20, v[0:1]
	v_cmp_gt_i32_e32 vcc, 16, v2
	v_cndmask_b32_e32 v1, 0, v1, vcc
	v_cndmask_b32_e32 v0, 7, v0, vcc
	v_cmp_eq_u64_e64 s[40:41], 0, v[0:1]
	v_min_i32_e32 v1, 15, v2
	v_lshlrev_b32_e32 v1, 3, v1
	v_cmp_eq_u32_e32 vcc, 0, v2
	v_and_b32_e32 v1, 0xf8, v1
	v_and_or_b32 v0, v0, 7, v1
	s_and_b64 s[40:41], vcc, s[40:41]
	v_cndmask_b32_e64 v0, v0, 0, s[40:41]
	v_or_b32_e32 v18, v0, v19
.LBB6_5829:                             ;   in Loop: Header=BB6_5671 Depth=3
	s_or_b64 exec, exec, s[48:49]
                                        ; implicit-def: $vgpr19
.LBB6_5830:                             ;   in Loop: Header=BB6_5671 Depth=3
	s_andn2_saveexec_b64 s[40:41], s[38:39]
; %bb.5831:                             ;   in Loop: Header=BB6_5671 Depth=3
	v_or_b32_e32 v18, 0x7e, v19
; %bb.5832:                             ;   in Loop: Header=BB6_5671 Depth=3
	s_or_b64 exec, exec, s[40:41]
                                        ; implicit-def: $vgpr0
.LBB6_5833:                             ;   in Loop: Header=BB6_5671 Depth=3
	s_andn2_saveexec_b64 s[40:41], s[42:43]
; %bb.5834:                             ;   in Loop: Header=BB6_5671 Depth=3
	v_or_b32_sdwa v18, v0, s81 dst_sel:DWORD dst_unused:UNUSED_PAD src0_sel:BYTE_3 src1_sel:DWORD
; %bb.5835:                             ;   in Loop: Header=BB6_5671 Depth=3
	s_or_b64 exec, exec, s[40:41]
	v_lshrrev_b32_e32 v0, 16, v13
	v_cmp_ne_u16_sdwa s[42:43], v0, v21 src0_sel:BYTE_0 src1_sel:DWORD
	v_mov_b32_e32 v1, 0
	s_and_saveexec_b64 s[40:41], s[42:43]
	s_cbranch_execz .LBB6_5841
; %bb.5836:                             ;   in Loop: Header=BB6_5671 Depth=3
	v_cmp_ne_u16_sdwa vcc, v0, s80 src0_sel:BYTE_0 src1_sel:DWORD
	v_bfrev_b32_e32 v1, 1
	s_and_saveexec_b64 s[42:43], vcc
	s_cbranch_execz .LBB6_5840
; %bb.5837:                             ;   in Loop: Header=BB6_5671 Depth=3
	v_bfe_u32 v2, v13, 16, 7
	v_cmp_ne_u32_e32 vcc, s81, v2
	v_mov_b32_e32 v1, 0x7f800001
	s_and_saveexec_b64 s[38:39], vcc
	s_cbranch_execz .LBB6_5839
; %bb.5838:                             ;   in Loop: Header=BB6_5671 Depth=3
	v_and_b32_e32 v19, 7, v0
	v_ffbh_u32_e32 v1, v19
	v_min_u32_e32 v34, 32, v1
	v_subrev_u32_e32 v1, 28, v34
	v_lshrrev_b32_e32 v20, 3, v2
	v_cmp_gt_u32_e32 vcc, 8, v2
	v_lshlrev_b64 v[1:2], v1, v[0:1]
	v_sub_u32_e32 v2, 29, v34
	v_and_b32_e32 v1, 7, v1
	v_cndmask_b32_e32 v2, v20, v2, vcc
	v_cndmask_b32_e32 v1, v19, v1, vcc
	v_lshlrev_b32_e32 v0, 24, v0
	v_bfrev_b32_e32 v19, 60
	v_lshlrev_b32_e32 v1, 20, v1
	v_and_b32_e32 v0, 0x80000000, v0
	v_lshl_add_u32 v2, v2, 23, v19
	v_or3_b32 v1, v0, v2, v1
.LBB6_5839:                             ;   in Loop: Header=BB6_5671 Depth=3
	s_or_b64 exec, exec, s[38:39]
.LBB6_5840:                             ;   in Loop: Header=BB6_5671 Depth=3
	s_or_b64 exec, exec, s[42:43]
.LBB6_5841:                             ;   in Loop: Header=BB6_5671 Depth=3
	s_or_b64 exec, exec, s[40:41]
	v_lshrrev_b32_e32 v2, 16, v9
	v_cmp_gt_i16_sdwa s[42:43], v2, s81 src0_sel:BYTE_0 src1_sel:DWORD
	s_mov_b64 s[40:41], 0
	s_and_saveexec_b64 vcc, s[42:43]
	s_xor_b64 s[42:43], exec, vcc
	s_cbranch_execz .LBB6_6110
; %bb.5842:                             ;   in Loop: Header=BB6_5671 Depth=3
	v_cmp_eq_u16_sdwa s[38:39], v2, s80 src0_sel:BYTE_0 src1_sel:DWORD
	s_mov_b64 s[40:41], -1
	s_and_saveexec_b64 vcc, s[38:39]
; %bb.5843:                             ;   in Loop: Header=BB6_5671 Depth=3
	s_xor_b64 s[40:41], exec, -1
; %bb.5844:                             ;   in Loop: Header=BB6_5671 Depth=3
	s_or_b64 exec, exec, vcc
	s_and_b64 s[40:41], s[40:41], exec
	s_or_saveexec_b64 s[42:43], s[42:43]
	v_bfrev_b32_e32 v0, 1
	s_xor_b64 exec, exec, s[42:43]
	s_cbranch_execnz .LBB6_6111
.LBB6_5845:                             ;   in Loop: Header=BB6_5671 Depth=3
	s_or_b64 exec, exec, s[42:43]
	s_and_saveexec_b64 s[42:43], s[40:41]
	s_cbranch_execz .LBB6_5847
.LBB6_5846:                             ;   in Loop: Header=BB6_5671 Depth=3
	v_and_b32_e32 v0, 7, v2
	v_ffbh_u32_e32 v19, v0
	v_min_u32_e32 v36, 32, v19
	v_subrev_u32_e32 v19, 28, v36
	v_lshlrev_b64 v[19:20], v19, v[2:3]
	v_and_b32_e32 v34, 0x7f, v2
	v_bfe_u32 v35, v2, 3, 4
	v_sub_u32_e32 v20, 29, v36
	v_and_b32_e32 v19, 7, v19
	v_cmp_gt_u32_e32 vcc, 8, v34
	v_cndmask_b32_e32 v20, v35, v20, vcc
	v_cndmask_b32_e32 v0, v0, v19, vcc
	v_lshlrev_b32_e32 v2, 24, v2
	v_bfrev_b32_e32 v19, 60
	v_lshlrev_b32_e32 v0, 20, v0
	v_and_b32_e32 v2, 0x80000000, v2
	v_lshl_add_u32 v19, v20, 23, v19
	v_or3_b32 v0, v2, v19, v0
	v_cmp_ne_u32_e32 vcc, s81, v34
	v_mov_b32_e32 v2, 0x7f800001
	v_cndmask_b32_e32 v0, v2, v0, vcc
.LBB6_5847:                             ;   in Loop: Header=BB6_5671 Depth=3
	s_or_b64 exec, exec, s[42:43]
	v_mul_f32_e32 v0, v1, v0
	v_and_b32_e32 v20, 0x7f800000, v0
	v_cmp_ne_u64_e32 vcc, s[62:63], v[20:21]
                                        ; implicit-def: $vgpr19
	s_and_saveexec_b64 s[40:41], vcc
	s_xor_b64 s[42:43], exec, s[40:41]
	s_cbranch_execz .LBB6_5861
; %bb.5848:                             ;   in Loop: Header=BB6_5671 Depth=3
	v_and_b32_e32 v20, 0x7fffffff, v0
	v_cmp_gt_u64_e32 vcc, s[78:79], v[20:21]
	v_and_b32_sdwa v34, v0, s80 dst_sel:DWORD dst_unused:UNUSED_PAD src0_sel:BYTE_3 src1_sel:DWORD
                                        ; implicit-def: $vgpr19
	s_and_saveexec_b64 s[40:41], vcc
	s_xor_b64 s[38:39], exec, s[40:41]
	s_cbranch_execz .LBB6_5858
; %bb.5849:                             ;   in Loop: Header=BB6_5671 Depth=3
	v_mov_b32_e32 v19, 0
	v_cmp_ne_u32_e32 vcc, 0, v0
	s_and_saveexec_b64 s[48:49], vcc
	s_cbranch_execz .LBB6_5857
; %bb.5850:                             ;   in Loop: Header=BB6_5671 Depth=3
	v_bfe_u32 v19, v0, 23, 8
	v_and_b32_e32 v1, 0x7fffff, v0
	v_cmp_gt_u32_e64 s[40:41], s47, v19
	v_sub_u32_e32 v0, 0x79, v19
	v_cmp_eq_u32_e32 vcc, 0, v19
	v_cndmask_b32_e64 v0, 0, v0, s[40:41]
	v_mov_b32_e32 v20, 0x78
	v_cndmask_b32_e32 v35, v0, v20, vcc
	v_or_b32_e32 v2, 0x800000, v1
	v_add_u32_e32 v0, 20, v35
	v_cndmask_b32_e32 v20, v2, v1, vcc
	v_lshlrev_b64 v[0:1], v0, -1
	v_add_u32_e32 v2, 19, v35
	v_lshlrev_b64 v[36:37], v2, 1
	v_bfi_b32 v1, v1, 0, 0
	v_bfi_b32 v0, v0, 0, v20
	v_cmp_eq_u64_e64 s[40:41], v[0:1], v[36:37]
	v_lshrrev_b64 v[0:1], v35, v[20:21]
	v_mov_b32_e32 v2, v1
	v_mov_b32_e32 v1, v0
	s_and_saveexec_b64 s[50:51], s[40:41]
; %bb.5851:                             ;   in Loop: Header=BB6_5671 Depth=3
	v_bfe_u32 v1, v0, 20, 1
	v_add_co_u32_e64 v1, s[40:41], v0, v1
	v_add_co_u32_e64 v1, s[40:41], -1, v1
; %bb.5852:                             ;   in Loop: Header=BB6_5671 Depth=3
	s_or_b64 exec, exec, s[50:51]
	v_add_u32_e32 v2, 0xffffff81, v19
	v_mov_b32_e32 v19, 0xffffff82
	v_cndmask_b32_e32 v2, v2, v19, vcc
	v_lshrrev_b32_e32 v19, 23, v0
	v_add3_u32 v35, v35, v2, v19
	v_add_u32_e32 v19, 6, v35
	v_and_b32_e32 v1, 0xfffff, v1
	v_add_u32_e32 v20, v1, v0
	v_cmp_ne_u32_e32 vcc, 0, v19
                                        ; implicit-def: $vgpr0_vgpr1
                                        ; implicit-def: $vgpr2
	s_and_saveexec_b64 s[40:41], vcc
	s_xor_b64 s[40:41], exec, s[40:41]
; %bb.5853:                             ;   in Loop: Header=BB6_5671 Depth=3
	v_cmp_lt_u64_e32 vcc, s[88:89], v[20:21]
	v_add_u32_e32 v0, 7, v35
	v_cndmask_b32_e32 v2, v19, v0, vcc
	v_cndmask_b32_e64 v0, 0, 1, vcc
	v_lshrrev_b64 v[0:1], v0, v[20:21]
; %bb.5854:                             ;   in Loop: Header=BB6_5671 Depth=3
	s_andn2_saveexec_b64 s[40:41], s[40:41]
; %bb.5855:                             ;   in Loop: Header=BB6_5671 Depth=3
	v_mov_b32_e32 v0, v20
	v_bfe_u32 v2, v20, 23, 1
	v_mov_b32_e32 v1, v21
; %bb.5856:                             ;   in Loop: Header=BB6_5671 Depth=3
	s_or_b64 exec, exec, s[40:41]
	v_lshrrev_b64 v[0:1], 20, v[0:1]
	v_cmp_gt_i32_e32 vcc, 16, v2
	v_cndmask_b32_e32 v1, 0, v1, vcc
	v_cndmask_b32_e32 v0, 7, v0, vcc
	v_cmp_eq_u64_e64 s[40:41], 0, v[0:1]
	v_min_i32_e32 v1, 15, v2
	v_lshlrev_b32_e32 v1, 3, v1
	v_cmp_eq_u32_e32 vcc, 0, v2
	v_and_b32_e32 v1, 0xf8, v1
	v_and_or_b32 v0, v0, 7, v1
	s_and_b64 s[40:41], vcc, s[40:41]
	v_cndmask_b32_e64 v0, v0, 0, s[40:41]
	v_or_b32_e32 v19, v0, v34
.LBB6_5857:                             ;   in Loop: Header=BB6_5671 Depth=3
	s_or_b64 exec, exec, s[48:49]
                                        ; implicit-def: $vgpr34
.LBB6_5858:                             ;   in Loop: Header=BB6_5671 Depth=3
	s_andn2_saveexec_b64 s[40:41], s[38:39]
; %bb.5859:                             ;   in Loop: Header=BB6_5671 Depth=3
	v_or_b32_e32 v19, 0x7e, v34
; %bb.5860:                             ;   in Loop: Header=BB6_5671 Depth=3
	s_or_b64 exec, exec, s[40:41]
                                        ; implicit-def: $vgpr0
.LBB6_5861:                             ;   in Loop: Header=BB6_5671 Depth=3
	s_andn2_saveexec_b64 s[40:41], s[42:43]
; %bb.5862:                             ;   in Loop: Header=BB6_5671 Depth=3
	v_or_b32_sdwa v19, v0, s81 dst_sel:DWORD dst_unused:UNUSED_PAD src0_sel:BYTE_3 src1_sel:DWORD
; %bb.5863:                             ;   in Loop: Header=BB6_5671 Depth=3
	s_or_b64 exec, exec, s[40:41]
	v_cmp_lt_u64_e32 vcc, s[56:57], v[12:13]
	v_mov_b32_e32 v1, 0
	s_and_saveexec_b64 s[40:41], vcc
	s_cbranch_execz .LBB6_5869
; %bb.5864:                             ;   in Loop: Header=BB6_5671 Depth=3
	v_lshrrev_b32_e32 v0, 24, v13
	v_cmp_ne_u32_e32 vcc, s80, v0
	v_bfrev_b32_e32 v1, 1
	s_and_saveexec_b64 s[42:43], vcc
	s_cbranch_execz .LBB6_5868
; %bb.5865:                             ;   in Loop: Header=BB6_5671 Depth=3
	v_bfe_u32 v2, v13, 24, 7
	v_cmp_ne_u32_e32 vcc, s81, v2
	v_mov_b32_e32 v1, 0x7f800001
	s_and_saveexec_b64 s[38:39], vcc
	s_cbranch_execz .LBB6_5867
; %bb.5866:                             ;   in Loop: Header=BB6_5671 Depth=3
	v_and_b32_e32 v12, 7, v0
	v_ffbh_u32_e32 v1, v12
	v_min_u32_e32 v20, 32, v1
	v_subrev_u32_e32 v1, 28, v20
	v_lshrrev_b32_e32 v13, 3, v2
	v_cmp_gt_u32_e32 vcc, 8, v2
	v_lshlrev_b64 v[1:2], v1, v[0:1]
	v_sub_u32_e32 v2, 29, v20
	v_and_b32_e32 v1, 7, v1
	v_cndmask_b32_e32 v2, v13, v2, vcc
	v_cndmask_b32_e32 v1, v12, v1, vcc
	v_lshlrev_b32_e32 v0, 24, v0
	v_bfrev_b32_e32 v12, 60
	v_lshlrev_b32_e32 v1, 20, v1
	v_and_b32_e32 v0, 0x80000000, v0
	v_lshl_add_u32 v2, v2, 23, v12
	v_or3_b32 v1, v0, v2, v1
.LBB6_5867:                             ;   in Loop: Header=BB6_5671 Depth=3
	s_or_b64 exec, exec, s[38:39]
.LBB6_5868:                             ;   in Loop: Header=BB6_5671 Depth=3
	s_or_b64 exec, exec, s[42:43]
.LBB6_5869:                             ;   in Loop: Header=BB6_5671 Depth=3
	s_or_b64 exec, exec, s[40:41]
	v_bfe_u32 v2, v9, 24, 3
	v_ffbh_u32_e32 v12, v2
	v_min_u32_e32 v35, 32, v12
	v_lshrrev_b32_e32 v0, 24, v9
	v_subrev_u32_e32 v12, 28, v35
	v_lshlrev_b64 v[12:13], v12, v[0:1]
	v_bfe_u32 v20, v9, 24, 7
	v_bfe_u32 v34, v0, 3, 4
	v_sub_u32_e32 v13, 29, v35
	v_and_b32_e32 v12, 7, v12
	v_cmp_gt_u32_e32 vcc, 8, v20
	v_cndmask_b32_e32 v13, v34, v13, vcc
	v_cndmask_b32_e32 v2, v2, v12, vcc
	v_bfrev_b32_e32 v34, 60
	v_lshlrev_b32_e32 v2, 20, v2
	v_and_b32_e32 v12, 0x80000000, v9
	v_lshl_add_u32 v13, v13, 23, v34
	v_or3_b32 v2, v12, v13, v2
	v_cmp_ne_u32_e32 vcc, s81, v20
	v_mov_b32_e32 v12, 0x7f800001
	v_cndmask_b32_e32 v2, v12, v2, vcc
	v_cmp_ne_u32_e32 vcc, s80, v0
	v_bfrev_b32_e32 v0, 1
	v_cndmask_b32_e32 v0, v0, v2, vcc
	v_cmp_lt_u64_e32 vcc, s[56:57], v[8:9]
                                        ; implicit-def: $vgpr34
	v_cndmask_b32_e32 v0, 0, v0, vcc
	v_mul_f32_e32 v0, v0, v1
	v_and_b32_e32 v20, 0x7f800000, v0
	v_cmp_ne_u64_e32 vcc, s[62:63], v[20:21]
	s_and_saveexec_b64 s[40:41], vcc
	s_xor_b64 s[42:43], exec, s[40:41]
	s_cbranch_execz .LBB6_5883
; %bb.5870:                             ;   in Loop: Header=BB6_5671 Depth=3
	v_and_b32_e32 v20, 0x7fffffff, v0
	v_cmp_gt_u64_e32 vcc, s[78:79], v[20:21]
	v_and_b32_sdwa v8, v0, s80 dst_sel:DWORD dst_unused:UNUSED_PAD src0_sel:BYTE_3 src1_sel:DWORD
                                        ; implicit-def: $vgpr34
	s_and_saveexec_b64 s[40:41], vcc
	s_xor_b64 s[38:39], exec, s[40:41]
	s_cbranch_execz .LBB6_5880
; %bb.5871:                             ;   in Loop: Header=BB6_5671 Depth=3
	v_mov_b32_e32 v34, 0
	v_cmp_ne_u32_e32 vcc, 0, v0
	s_and_saveexec_b64 s[48:49], vcc
	s_cbranch_execz .LBB6_5879
; %bb.5872:                             ;   in Loop: Header=BB6_5671 Depth=3
	v_bfe_u32 v9, v0, 23, 8
	v_and_b32_e32 v1, 0x7fffff, v0
	v_cmp_gt_u32_e64 s[40:41], s47, v9
	v_sub_u32_e32 v0, 0x79, v9
	v_cmp_eq_u32_e32 vcc, 0, v9
	v_cndmask_b32_e64 v0, 0, v0, s[40:41]
	v_mov_b32_e32 v12, 0x78
	v_cndmask_b32_e32 v12, v0, v12, vcc
	v_or_b32_e32 v2, 0x800000, v1
	v_add_u32_e32 v0, 20, v12
	v_cndmask_b32_e32 v20, v2, v1, vcc
	v_lshlrev_b64 v[0:1], v0, -1
	v_add_u32_e32 v2, 19, v12
	v_lshlrev_b64 v[34:35], v2, 1
	v_bfi_b32 v1, v1, 0, 0
	v_bfi_b32 v0, v0, 0, v20
	v_cmp_eq_u64_e64 s[40:41], v[0:1], v[34:35]
	v_lshrrev_b64 v[0:1], v12, v[20:21]
	v_mov_b32_e32 v2, v1
	v_mov_b32_e32 v1, v0
	s_and_saveexec_b64 s[50:51], s[40:41]
; %bb.5873:                             ;   in Loop: Header=BB6_5671 Depth=3
	v_bfe_u32 v1, v0, 20, 1
	v_add_co_u32_e64 v1, s[40:41], v0, v1
	v_add_co_u32_e64 v1, s[40:41], -1, v1
; %bb.5874:                             ;   in Loop: Header=BB6_5671 Depth=3
	s_or_b64 exec, exec, s[50:51]
	v_add_u32_e32 v2, 0xffffff81, v9
	v_mov_b32_e32 v9, 0xffffff82
	v_cndmask_b32_e32 v2, v2, v9, vcc
	v_lshrrev_b32_e32 v9, 23, v0
	v_add3_u32 v12, v12, v2, v9
	v_add_u32_e32 v9, 6, v12
	v_and_b32_e32 v1, 0xfffff, v1
	v_add_u32_e32 v20, v1, v0
	v_cmp_ne_u32_e32 vcc, 0, v9
                                        ; implicit-def: $vgpr0_vgpr1
                                        ; implicit-def: $vgpr2
	s_and_saveexec_b64 s[40:41], vcc
	s_xor_b64 s[40:41], exec, s[40:41]
; %bb.5875:                             ;   in Loop: Header=BB6_5671 Depth=3
	v_cmp_lt_u64_e32 vcc, s[88:89], v[20:21]
	v_add_u32_e32 v0, 7, v12
	v_cndmask_b32_e32 v2, v9, v0, vcc
	v_cndmask_b32_e64 v0, 0, 1, vcc
	v_lshrrev_b64 v[0:1], v0, v[20:21]
; %bb.5876:                             ;   in Loop: Header=BB6_5671 Depth=3
	s_andn2_saveexec_b64 s[40:41], s[40:41]
; %bb.5877:                             ;   in Loop: Header=BB6_5671 Depth=3
	v_mov_b32_e32 v0, v20
	v_bfe_u32 v2, v20, 23, 1
	v_mov_b32_e32 v1, v21
; %bb.5878:                             ;   in Loop: Header=BB6_5671 Depth=3
	s_or_b64 exec, exec, s[40:41]
	v_lshrrev_b64 v[0:1], 20, v[0:1]
	v_cmp_gt_i32_e32 vcc, 16, v2
	v_cndmask_b32_e32 v1, 0, v1, vcc
	v_cndmask_b32_e32 v0, 7, v0, vcc
	v_cmp_eq_u64_e64 s[40:41], 0, v[0:1]
	v_min_i32_e32 v1, 15, v2
	v_lshlrev_b32_e32 v1, 3, v1
	v_cmp_eq_u32_e32 vcc, 0, v2
	v_and_b32_e32 v1, 0xf8, v1
	v_and_or_b32 v0, v0, 7, v1
	s_and_b64 s[40:41], vcc, s[40:41]
	v_cndmask_b32_e64 v0, v0, 0, s[40:41]
	v_or_b32_e32 v34, v0, v8
.LBB6_5879:                             ;   in Loop: Header=BB6_5671 Depth=3
	s_or_b64 exec, exec, s[48:49]
                                        ; implicit-def: $vgpr8
.LBB6_5880:                             ;   in Loop: Header=BB6_5671 Depth=3
	s_andn2_saveexec_b64 s[40:41], s[38:39]
; %bb.5881:                             ;   in Loop: Header=BB6_5671 Depth=3
	v_or_b32_e32 v34, 0x7e, v8
; %bb.5882:                             ;   in Loop: Header=BB6_5671 Depth=3
	s_or_b64 exec, exec, s[40:41]
                                        ; implicit-def: $vgpr0
.LBB6_5883:                             ;   in Loop: Header=BB6_5671 Depth=3
	s_andn2_saveexec_b64 s[40:41], s[42:43]
; %bb.5884:                             ;   in Loop: Header=BB6_5671 Depth=3
	v_or_b32_sdwa v34, v0, s81 dst_sel:DWORD dst_unused:UNUSED_PAD src0_sel:BYTE_3 src1_sel:DWORD
; %bb.5885:                             ;   in Loop: Header=BB6_5671 Depth=3
	s_or_b64 exec, exec, s[40:41]
	v_cmp_ne_u16_sdwa s[42:43], v14, v21 src0_sel:BYTE_0 src1_sel:DWORD
	v_mov_b32_e32 v0, 0
	s_and_saveexec_b64 s[40:41], s[42:43]
	s_cbranch_execz .LBB6_5891
; %bb.5886:                             ;   in Loop: Header=BB6_5671 Depth=3
	v_cmp_ne_u16_sdwa vcc, v14, s80 src0_sel:BYTE_0 src1_sel:DWORD
	v_bfrev_b32_e32 v0, 1
	s_and_saveexec_b64 s[42:43], vcc
	s_cbranch_execz .LBB6_5890
; %bb.5887:                             ;   in Loop: Header=BB6_5671 Depth=3
	v_and_b32_e32 v1, 0x7f, v14
	v_cmp_ne_u32_e32 vcc, s81, v1
	v_mov_b32_e32 v0, 0x7f800001
	s_and_saveexec_b64 s[38:39], vcc
	s_cbranch_execz .LBB6_5889
; %bb.5888:                             ;   in Loop: Header=BB6_5671 Depth=3
	v_and_b32_e32 v0, 7, v14
	v_ffbh_u32_e32 v0, v0
	v_min_u32_e32 v0, 32, v0
	v_lshrrev_b32_e32 v2, 3, v1
	v_cmp_gt_u32_e32 vcc, 8, v1
	v_subrev_u32_e32 v1, 28, v0
	v_sub_u32_e32 v0, 29, v0
	v_cndmask_b32_e32 v2, v2, v0, vcc
	v_cndmask_b32_e32 v0, 0, v1, vcc
	v_lshlrev_b64 v[0:1], v0, v[14:15]
	v_lshlrev_b32_e32 v1, 24, v14
	v_lshlrev_b32_e32 v0, 20, v0
	v_bfrev_b32_e32 v8, 60
	v_and_b32_e32 v0, 0x700000, v0
	v_and_b32_e32 v1, 0x80000000, v1
	v_lshl_add_u32 v2, v2, 23, v8
	v_or3_b32 v0, v1, v2, v0
.LBB6_5889:                             ;   in Loop: Header=BB6_5671 Depth=3
	s_or_b64 exec, exec, s[38:39]
.LBB6_5890:                             ;   in Loop: Header=BB6_5671 Depth=3
	s_or_b64 exec, exec, s[42:43]
.LBB6_5891:                             ;   in Loop: Header=BB6_5671 Depth=3
	s_or_b64 exec, exec, s[40:41]
	v_cmp_gt_i16_sdwa s[42:43], v10, s81 src0_sel:BYTE_0 src1_sel:DWORD
	s_mov_b64 s[40:41], 0
	s_and_saveexec_b64 vcc, s[42:43]
	s_xor_b64 s[42:43], exec, vcc
	s_cbranch_execz .LBB6_6112
; %bb.5892:                             ;   in Loop: Header=BB6_5671 Depth=3
	v_cmp_eq_u16_sdwa s[38:39], v10, s80 src0_sel:BYTE_0 src1_sel:DWORD
	s_mov_b64 s[40:41], -1
	s_and_saveexec_b64 vcc, s[38:39]
; %bb.5893:                             ;   in Loop: Header=BB6_5671 Depth=3
	s_xor_b64 s[40:41], exec, -1
; %bb.5894:                             ;   in Loop: Header=BB6_5671 Depth=3
	s_or_b64 exec, exec, vcc
	s_and_b64 s[40:41], s[40:41], exec
	s_or_saveexec_b64 s[42:43], s[42:43]
	v_bfrev_b32_e32 v1, 1
	s_xor_b64 exec, exec, s[42:43]
	s_cbranch_execnz .LBB6_6113
.LBB6_5895:                             ;   in Loop: Header=BB6_5671 Depth=3
	s_or_b64 exec, exec, s[42:43]
	s_and_saveexec_b64 s[42:43], s[40:41]
	s_cbranch_execz .LBB6_5897
.LBB6_5896:                             ;   in Loop: Header=BB6_5671 Depth=3
	v_and_b32_e32 v1, 7, v10
	v_ffbh_u32_e32 v1, v1
	v_and_b32_e32 v8, 0x7f, v10
	v_min_u32_e32 v1, 32, v1
	v_bfe_u32 v2, v10, 3, 4
	v_subrev_u32_e32 v9, 28, v1
	v_sub_u32_e32 v1, 29, v1
	v_cmp_gt_u32_e32 vcc, 8, v8
	v_cndmask_b32_e32 v12, v2, v1, vcc
	v_cndmask_b32_e32 v1, 0, v9, vcc
	v_lshlrev_b64 v[1:2], v1, v[10:11]
	v_lshlrev_b32_e32 v2, 24, v10
	v_lshlrev_b32_e32 v1, 20, v1
	v_bfrev_b32_e32 v9, 60
	v_and_b32_e32 v1, 0x700000, v1
	v_and_b32_e32 v2, 0x80000000, v2
	v_lshl_add_u32 v9, v12, 23, v9
	v_or3_b32 v1, v2, v9, v1
	v_cmp_ne_u32_e32 vcc, s81, v8
	v_mov_b32_e32 v2, 0x7f800001
	v_cndmask_b32_e32 v1, v2, v1, vcc
.LBB6_5897:                             ;   in Loop: Header=BB6_5671 Depth=3
	s_or_b64 exec, exec, s[42:43]
	v_mul_f32_e32 v0, v0, v1
	v_and_b32_e32 v20, 0x7f800000, v0
	v_cmp_ne_u64_e32 vcc, s[62:63], v[20:21]
                                        ; implicit-def: $vgpr35
	s_and_saveexec_b64 s[40:41], vcc
	s_xor_b64 s[42:43], exec, s[40:41]
	s_cbranch_execz .LBB6_5911
; %bb.5898:                             ;   in Loop: Header=BB6_5671 Depth=3
	v_and_b32_e32 v20, 0x7fffffff, v0
	v_cmp_gt_u64_e32 vcc, s[78:79], v[20:21]
	v_and_b32_sdwa v8, v0, s80 dst_sel:DWORD dst_unused:UNUSED_PAD src0_sel:BYTE_3 src1_sel:DWORD
                                        ; implicit-def: $vgpr35
	s_and_saveexec_b64 s[40:41], vcc
	s_xor_b64 s[38:39], exec, s[40:41]
	s_cbranch_execz .LBB6_5908
; %bb.5899:                             ;   in Loop: Header=BB6_5671 Depth=3
	v_mov_b32_e32 v35, 0
	v_cmp_ne_u32_e32 vcc, 0, v0
	s_and_saveexec_b64 s[48:49], vcc
	s_cbranch_execz .LBB6_5907
; %bb.5900:                             ;   in Loop: Header=BB6_5671 Depth=3
	v_bfe_u32 v9, v0, 23, 8
	v_and_b32_e32 v1, 0x7fffff, v0
	v_cmp_gt_u32_e64 s[40:41], s47, v9
	v_sub_u32_e32 v0, 0x79, v9
	v_cmp_eq_u32_e32 vcc, 0, v9
	v_cndmask_b32_e64 v0, 0, v0, s[40:41]
	v_mov_b32_e32 v12, 0x78
	v_cndmask_b32_e32 v12, v0, v12, vcc
	v_or_b32_e32 v2, 0x800000, v1
	v_add_u32_e32 v0, 20, v12
	v_cndmask_b32_e32 v20, v2, v1, vcc
	v_lshlrev_b64 v[0:1], v0, -1
	v_add_u32_e32 v2, 19, v12
	v_lshlrev_b64 v[35:36], v2, 1
	v_bfi_b32 v1, v1, 0, 0
	v_bfi_b32 v0, v0, 0, v20
	v_cmp_eq_u64_e64 s[40:41], v[0:1], v[35:36]
	v_lshrrev_b64 v[0:1], v12, v[20:21]
	v_mov_b32_e32 v2, v1
	v_mov_b32_e32 v1, v0
	s_and_saveexec_b64 s[50:51], s[40:41]
; %bb.5901:                             ;   in Loop: Header=BB6_5671 Depth=3
	v_bfe_u32 v1, v0, 20, 1
	v_add_co_u32_e64 v1, s[40:41], v0, v1
	v_add_co_u32_e64 v1, s[40:41], -1, v1
; %bb.5902:                             ;   in Loop: Header=BB6_5671 Depth=3
	s_or_b64 exec, exec, s[50:51]
	v_add_u32_e32 v2, 0xffffff81, v9
	v_mov_b32_e32 v9, 0xffffff82
	v_cndmask_b32_e32 v2, v2, v9, vcc
	v_lshrrev_b32_e32 v9, 23, v0
	v_add3_u32 v12, v12, v2, v9
	v_add_u32_e32 v9, 6, v12
	v_and_b32_e32 v1, 0xfffff, v1
	v_add_u32_e32 v20, v1, v0
	v_cmp_ne_u32_e32 vcc, 0, v9
                                        ; implicit-def: $vgpr0_vgpr1
                                        ; implicit-def: $vgpr2
	s_and_saveexec_b64 s[40:41], vcc
	s_xor_b64 s[40:41], exec, s[40:41]
; %bb.5903:                             ;   in Loop: Header=BB6_5671 Depth=3
	v_cmp_lt_u64_e32 vcc, s[88:89], v[20:21]
	v_add_u32_e32 v0, 7, v12
	v_cndmask_b32_e32 v2, v9, v0, vcc
	v_cndmask_b32_e64 v0, 0, 1, vcc
	v_lshrrev_b64 v[0:1], v0, v[20:21]
; %bb.5904:                             ;   in Loop: Header=BB6_5671 Depth=3
	s_andn2_saveexec_b64 s[40:41], s[40:41]
; %bb.5905:                             ;   in Loop: Header=BB6_5671 Depth=3
	v_mov_b32_e32 v0, v20
	v_bfe_u32 v2, v20, 23, 1
	v_mov_b32_e32 v1, v21
; %bb.5906:                             ;   in Loop: Header=BB6_5671 Depth=3
	s_or_b64 exec, exec, s[40:41]
	v_lshrrev_b64 v[0:1], 20, v[0:1]
	v_cmp_gt_i32_e32 vcc, 16, v2
	v_cndmask_b32_e32 v1, 0, v1, vcc
	v_cndmask_b32_e32 v0, 7, v0, vcc
	v_cmp_eq_u64_e64 s[40:41], 0, v[0:1]
	v_min_i32_e32 v1, 15, v2
	v_lshlrev_b32_e32 v1, 3, v1
	v_cmp_eq_u32_e32 vcc, 0, v2
	v_and_b32_e32 v1, 0xf8, v1
	v_and_or_b32 v0, v0, 7, v1
	s_and_b64 s[40:41], vcc, s[40:41]
	v_cndmask_b32_e64 v0, v0, 0, s[40:41]
	v_or_b32_e32 v35, v0, v8
.LBB6_5907:                             ;   in Loop: Header=BB6_5671 Depth=3
	s_or_b64 exec, exec, s[48:49]
                                        ; implicit-def: $vgpr8
.LBB6_5908:                             ;   in Loop: Header=BB6_5671 Depth=3
	s_andn2_saveexec_b64 s[40:41], s[38:39]
; %bb.5909:                             ;   in Loop: Header=BB6_5671 Depth=3
	v_or_b32_e32 v35, 0x7e, v8
; %bb.5910:                             ;   in Loop: Header=BB6_5671 Depth=3
	s_or_b64 exec, exec, s[40:41]
                                        ; implicit-def: $vgpr0
.LBB6_5911:                             ;   in Loop: Header=BB6_5671 Depth=3
	s_andn2_saveexec_b64 s[40:41], s[42:43]
; %bb.5912:                             ;   in Loop: Header=BB6_5671 Depth=3
	v_or_b32_sdwa v35, v0, s81 dst_sel:DWORD dst_unused:UNUSED_PAD src0_sel:BYTE_3 src1_sel:DWORD
; %bb.5913:                             ;   in Loop: Header=BB6_5671 Depth=3
	s_or_b64 exec, exec, s[40:41]
	v_lshrrev_b16_e32 v0, 8, v14
	v_cmp_ne_u16_e32 vcc, 0, v0
	v_mov_b32_e32 v1, 0
	s_and_saveexec_b64 s[40:41], vcc
	s_cbranch_execz .LBB6_5919
; %bb.5914:                             ;   in Loop: Header=BB6_5671 Depth=3
	v_cmp_ne_u16_e32 vcc, s80, v0
	v_bfrev_b32_e32 v1, 1
	s_and_saveexec_b64 s[42:43], vcc
	s_cbranch_execz .LBB6_5918
; %bb.5915:                             ;   in Loop: Header=BB6_5671 Depth=3
	v_and_b32_e32 v2, 0x7f, v0
	v_cmp_ne_u32_e32 vcc, s81, v2
	v_mov_b32_e32 v1, 0x7f800001
	s_and_saveexec_b64 s[38:39], vcc
	s_cbranch_execz .LBB6_5917
; %bb.5916:                             ;   in Loop: Header=BB6_5671 Depth=3
	v_and_b32_e32 v8, 7, v0
	v_ffbh_u32_e32 v1, v8
	v_lshrrev_b32_e32 v9, 3, v2
	v_cmp_gt_u32_e32 vcc, 8, v2
	v_min_u32_e32 v2, 32, v1
	v_subrev_u32_e32 v1, 28, v2
	v_lshlrev_b64 v[0:1], v1, v[0:1]
	v_sub_u32_e32 v1, 29, v2
	v_and_b32_e32 v0, 7, v0
	v_cndmask_b32_e32 v1, v9, v1, vcc
	v_cndmask_b32_e32 v0, v8, v0, vcc
	v_lshlrev_b32_e32 v2, 16, v14
	v_bfrev_b32_e32 v8, 60
	v_lshlrev_b32_e32 v0, 20, v0
	v_and_b32_e32 v2, 0x80000000, v2
	v_lshl_add_u32 v1, v1, 23, v8
	v_or3_b32 v1, v2, v1, v0
.LBB6_5917:                             ;   in Loop: Header=BB6_5671 Depth=3
	s_or_b64 exec, exec, s[38:39]
.LBB6_5918:                             ;   in Loop: Header=BB6_5671 Depth=3
	s_or_b64 exec, exec, s[42:43]
.LBB6_5919:                             ;   in Loop: Header=BB6_5671 Depth=3
	s_or_b64 exec, exec, s[40:41]
	v_lshrrev_b16_e32 v20, 8, v10
	v_cmp_lt_i16_e32 vcc, s81, v20
	s_mov_b64 s[40:41], 0
	s_and_saveexec_b64 s[42:43], vcc
	s_xor_b64 s[42:43], exec, s[42:43]
	s_cbranch_execz .LBB6_6114
; %bb.5920:                             ;   in Loop: Header=BB6_5671 Depth=3
	v_cmp_eq_u16_e32 vcc, s80, v20
	s_mov_b64 s[40:41], -1
	s_and_saveexec_b64 s[38:39], vcc
; %bb.5921:                             ;   in Loop: Header=BB6_5671 Depth=3
	s_xor_b64 s[40:41], exec, -1
; %bb.5922:                             ;   in Loop: Header=BB6_5671 Depth=3
	s_or_b64 exec, exec, s[38:39]
	s_and_b64 s[40:41], s[40:41], exec
	s_or_saveexec_b64 s[42:43], s[42:43]
	v_bfrev_b32_e32 v0, 1
	s_xor_b64 exec, exec, s[42:43]
	s_cbranch_execnz .LBB6_6115
.LBB6_5923:                             ;   in Loop: Header=BB6_5671 Depth=3
	s_or_b64 exec, exec, s[42:43]
	s_and_saveexec_b64 s[42:43], s[40:41]
	s_cbranch_execz .LBB6_5925
.LBB6_5924:                             ;   in Loop: Header=BB6_5671 Depth=3
	v_and_b32_e32 v0, 7, v20
	v_ffbh_u32_e32 v8, v0
	v_min_u32_e32 v13, 32, v8
	v_subrev_u32_e32 v8, 28, v13
	v_lshlrev_b64 v[8:9], v8, v[20:21]
	v_and_b32_e32 v2, 0x7f, v20
	v_bfe_u32 v12, v20, 3, 4
	v_sub_u32_e32 v9, 29, v13
	v_and_b32_e32 v8, 7, v8
	v_cmp_gt_u32_e32 vcc, 8, v2
	v_cndmask_b32_e32 v9, v12, v9, vcc
	v_cndmask_b32_e32 v0, v0, v8, vcc
	v_lshlrev_b32_e32 v8, 24, v20
	v_bfrev_b32_e32 v12, 60
	v_lshlrev_b32_e32 v0, 20, v0
	v_and_b32_e32 v8, 0x80000000, v8
	v_lshl_add_u32 v9, v9, 23, v12
	v_or3_b32 v0, v8, v9, v0
	v_cmp_ne_u32_e32 vcc, s81, v2
	v_mov_b32_e32 v2, 0x7f800001
	v_cndmask_b32_e32 v0, v2, v0, vcc
.LBB6_5925:                             ;   in Loop: Header=BB6_5671 Depth=3
	s_or_b64 exec, exec, s[42:43]
	v_mul_f32_e32 v0, v1, v0
	v_and_b32_e32 v20, 0x7f800000, v0
	v_cmp_ne_u64_e32 vcc, s[62:63], v[20:21]
                                        ; implicit-def: $vgpr36
	s_and_saveexec_b64 s[40:41], vcc
	s_xor_b64 s[42:43], exec, s[40:41]
	s_cbranch_execz .LBB6_5939
; %bb.5926:                             ;   in Loop: Header=BB6_5671 Depth=3
	v_and_b32_e32 v20, 0x7fffffff, v0
	v_cmp_gt_u64_e32 vcc, s[78:79], v[20:21]
	v_and_b32_sdwa v8, v0, s80 dst_sel:DWORD dst_unused:UNUSED_PAD src0_sel:BYTE_3 src1_sel:DWORD
                                        ; implicit-def: $vgpr36
	s_and_saveexec_b64 s[40:41], vcc
	s_xor_b64 s[38:39], exec, s[40:41]
	s_cbranch_execz .LBB6_5936
; %bb.5927:                             ;   in Loop: Header=BB6_5671 Depth=3
	v_mov_b32_e32 v36, 0
	v_cmp_ne_u32_e32 vcc, 0, v0
	s_and_saveexec_b64 s[48:49], vcc
	s_cbranch_execz .LBB6_5935
; %bb.5928:                             ;   in Loop: Header=BB6_5671 Depth=3
	v_bfe_u32 v9, v0, 23, 8
	v_and_b32_e32 v1, 0x7fffff, v0
	v_cmp_gt_u32_e64 s[40:41], s47, v9
	v_sub_u32_e32 v0, 0x79, v9
	v_cmp_eq_u32_e32 vcc, 0, v9
	v_cndmask_b32_e64 v0, 0, v0, s[40:41]
	v_mov_b32_e32 v12, 0x78
	v_cndmask_b32_e32 v12, v0, v12, vcc
	v_or_b32_e32 v2, 0x800000, v1
	v_add_u32_e32 v0, 20, v12
	v_cndmask_b32_e32 v20, v2, v1, vcc
	v_lshlrev_b64 v[0:1], v0, -1
	v_add_u32_e32 v2, 19, v12
	v_lshlrev_b64 v[36:37], v2, 1
	v_bfi_b32 v1, v1, 0, 0
	v_bfi_b32 v0, v0, 0, v20
	v_cmp_eq_u64_e64 s[40:41], v[0:1], v[36:37]
	v_lshrrev_b64 v[0:1], v12, v[20:21]
	v_mov_b32_e32 v2, v1
	v_mov_b32_e32 v1, v0
	s_and_saveexec_b64 s[50:51], s[40:41]
; %bb.5929:                             ;   in Loop: Header=BB6_5671 Depth=3
	v_bfe_u32 v1, v0, 20, 1
	v_add_co_u32_e64 v1, s[40:41], v0, v1
	v_add_co_u32_e64 v1, s[40:41], -1, v1
; %bb.5930:                             ;   in Loop: Header=BB6_5671 Depth=3
	s_or_b64 exec, exec, s[50:51]
	v_add_u32_e32 v2, 0xffffff81, v9
	v_mov_b32_e32 v9, 0xffffff82
	v_cndmask_b32_e32 v2, v2, v9, vcc
	v_lshrrev_b32_e32 v9, 23, v0
	v_add3_u32 v12, v12, v2, v9
	v_add_u32_e32 v9, 6, v12
	v_and_b32_e32 v1, 0xfffff, v1
	v_add_u32_e32 v20, v1, v0
	v_cmp_ne_u32_e32 vcc, 0, v9
                                        ; implicit-def: $vgpr0_vgpr1
                                        ; implicit-def: $vgpr2
	s_and_saveexec_b64 s[40:41], vcc
	s_xor_b64 s[40:41], exec, s[40:41]
; %bb.5931:                             ;   in Loop: Header=BB6_5671 Depth=3
	v_cmp_lt_u64_e32 vcc, s[88:89], v[20:21]
	v_add_u32_e32 v0, 7, v12
	v_cndmask_b32_e32 v2, v9, v0, vcc
	v_cndmask_b32_e64 v0, 0, 1, vcc
	v_lshrrev_b64 v[0:1], v0, v[20:21]
; %bb.5932:                             ;   in Loop: Header=BB6_5671 Depth=3
	s_andn2_saveexec_b64 s[40:41], s[40:41]
; %bb.5933:                             ;   in Loop: Header=BB6_5671 Depth=3
	v_mov_b32_e32 v0, v20
	v_bfe_u32 v2, v20, 23, 1
	v_mov_b32_e32 v1, v21
; %bb.5934:                             ;   in Loop: Header=BB6_5671 Depth=3
	s_or_b64 exec, exec, s[40:41]
	v_lshrrev_b64 v[0:1], 20, v[0:1]
	v_cmp_gt_i32_e32 vcc, 16, v2
	v_cndmask_b32_e32 v1, 0, v1, vcc
	v_cndmask_b32_e32 v0, 7, v0, vcc
	v_cmp_eq_u64_e64 s[40:41], 0, v[0:1]
	v_min_i32_e32 v1, 15, v2
	v_lshlrev_b32_e32 v1, 3, v1
	v_cmp_eq_u32_e32 vcc, 0, v2
	v_and_b32_e32 v1, 0xf8, v1
	v_and_or_b32 v0, v0, 7, v1
	s_and_b64 s[40:41], vcc, s[40:41]
	v_cndmask_b32_e64 v0, v0, 0, s[40:41]
	v_or_b32_e32 v36, v0, v8
.LBB6_5935:                             ;   in Loop: Header=BB6_5671 Depth=3
	s_or_b64 exec, exec, s[48:49]
                                        ; implicit-def: $vgpr8
.LBB6_5936:                             ;   in Loop: Header=BB6_5671 Depth=3
	s_andn2_saveexec_b64 s[40:41], s[38:39]
; %bb.5937:                             ;   in Loop: Header=BB6_5671 Depth=3
	v_or_b32_e32 v36, 0x7e, v8
; %bb.5938:                             ;   in Loop: Header=BB6_5671 Depth=3
	s_or_b64 exec, exec, s[40:41]
                                        ; implicit-def: $vgpr0
.LBB6_5939:                             ;   in Loop: Header=BB6_5671 Depth=3
	s_andn2_saveexec_b64 s[40:41], s[42:43]
; %bb.5940:                             ;   in Loop: Header=BB6_5671 Depth=3
	v_or_b32_sdwa v36, v0, s81 dst_sel:DWORD dst_unused:UNUSED_PAD src0_sel:BYTE_3 src1_sel:DWORD
; %bb.5941:                             ;   in Loop: Header=BB6_5671 Depth=3
	s_or_b64 exec, exec, s[40:41]
	v_lshrrev_b32_e32 v0, 16, v14
	v_cmp_ne_u16_sdwa s[42:43], v0, v21 src0_sel:BYTE_0 src1_sel:DWORD
	v_mov_b32_e32 v1, 0
	s_and_saveexec_b64 s[40:41], s[42:43]
	s_cbranch_execz .LBB6_5947
; %bb.5942:                             ;   in Loop: Header=BB6_5671 Depth=3
	v_cmp_ne_u16_sdwa vcc, v0, s80 src0_sel:BYTE_0 src1_sel:DWORD
	v_bfrev_b32_e32 v1, 1
	s_and_saveexec_b64 s[42:43], vcc
	s_cbranch_execz .LBB6_5946
; %bb.5943:                             ;   in Loop: Header=BB6_5671 Depth=3
	v_bfe_u32 v2, v14, 16, 7
	v_cmp_ne_u32_e32 vcc, s81, v2
	v_mov_b32_e32 v1, 0x7f800001
	s_and_saveexec_b64 s[38:39], vcc
	s_cbranch_execz .LBB6_5945
; %bb.5944:                             ;   in Loop: Header=BB6_5671 Depth=3
	v_and_b32_e32 v8, 7, v0
	v_ffbh_u32_e32 v1, v8
	v_min_u32_e32 v12, 32, v1
	v_subrev_u32_e32 v1, 28, v12
	v_lshrrev_b32_e32 v9, 3, v2
	v_cmp_gt_u32_e32 vcc, 8, v2
	v_lshlrev_b64 v[1:2], v1, v[0:1]
	v_sub_u32_e32 v2, 29, v12
	v_and_b32_e32 v1, 7, v1
	v_cndmask_b32_e32 v2, v9, v2, vcc
	v_cndmask_b32_e32 v1, v8, v1, vcc
	v_lshlrev_b32_e32 v0, 24, v0
	v_bfrev_b32_e32 v8, 60
	v_lshlrev_b32_e32 v1, 20, v1
	v_and_b32_e32 v0, 0x80000000, v0
	v_lshl_add_u32 v2, v2, 23, v8
	v_or3_b32 v1, v0, v2, v1
.LBB6_5945:                             ;   in Loop: Header=BB6_5671 Depth=3
	s_or_b64 exec, exec, s[38:39]
.LBB6_5946:                             ;   in Loop: Header=BB6_5671 Depth=3
	s_or_b64 exec, exec, s[42:43]
.LBB6_5947:                             ;   in Loop: Header=BB6_5671 Depth=3
	s_or_b64 exec, exec, s[40:41]
	v_lshrrev_b32_e32 v2, 16, v10
	v_cmp_gt_i16_sdwa s[42:43], v2, s81 src0_sel:BYTE_0 src1_sel:DWORD
	s_mov_b64 s[40:41], 0
	s_and_saveexec_b64 vcc, s[42:43]
	s_xor_b64 s[42:43], exec, vcc
	s_cbranch_execz .LBB6_6116
; %bb.5948:                             ;   in Loop: Header=BB6_5671 Depth=3
	v_cmp_eq_u16_sdwa s[38:39], v2, s80 src0_sel:BYTE_0 src1_sel:DWORD
	s_mov_b64 s[40:41], -1
	s_and_saveexec_b64 vcc, s[38:39]
; %bb.5949:                             ;   in Loop: Header=BB6_5671 Depth=3
	s_xor_b64 s[40:41], exec, -1
; %bb.5950:                             ;   in Loop: Header=BB6_5671 Depth=3
	s_or_b64 exec, exec, vcc
	s_and_b64 s[40:41], s[40:41], exec
	s_or_saveexec_b64 s[42:43], s[42:43]
	v_bfrev_b32_e32 v0, 1
	s_xor_b64 exec, exec, s[42:43]
	s_cbranch_execnz .LBB6_6117
.LBB6_5951:                             ;   in Loop: Header=BB6_5671 Depth=3
	s_or_b64 exec, exec, s[42:43]
	s_and_saveexec_b64 s[42:43], s[40:41]
	s_cbranch_execz .LBB6_5953
.LBB6_5952:                             ;   in Loop: Header=BB6_5671 Depth=3
	v_and_b32_e32 v0, 7, v2
	v_ffbh_u32_e32 v8, v0
	v_min_u32_e32 v20, 32, v8
	v_subrev_u32_e32 v8, 28, v20
	v_lshlrev_b64 v[8:9], v8, v[2:3]
	v_and_b32_e32 v12, 0x7f, v2
	v_bfe_u32 v13, v2, 3, 4
	v_sub_u32_e32 v9, 29, v20
	v_and_b32_e32 v8, 7, v8
	v_cmp_gt_u32_e32 vcc, 8, v12
	v_cndmask_b32_e32 v9, v13, v9, vcc
	v_cndmask_b32_e32 v0, v0, v8, vcc
	v_lshlrev_b32_e32 v2, 24, v2
	v_bfrev_b32_e32 v8, 60
	v_lshlrev_b32_e32 v0, 20, v0
	v_and_b32_e32 v2, 0x80000000, v2
	v_lshl_add_u32 v8, v9, 23, v8
	v_or3_b32 v0, v2, v8, v0
	v_cmp_ne_u32_e32 vcc, s81, v12
	v_mov_b32_e32 v2, 0x7f800001
	v_cndmask_b32_e32 v0, v2, v0, vcc
.LBB6_5953:                             ;   in Loop: Header=BB6_5671 Depth=3
	s_or_b64 exec, exec, s[42:43]
	v_mul_f32_e32 v0, v1, v0
	v_and_b32_e32 v20, 0x7f800000, v0
	v_cmp_ne_u64_e32 vcc, s[62:63], v[20:21]
                                        ; implicit-def: $vgpr37
	s_and_saveexec_b64 s[40:41], vcc
	s_xor_b64 s[42:43], exec, s[40:41]
	s_cbranch_execz .LBB6_5967
; %bb.5954:                             ;   in Loop: Header=BB6_5671 Depth=3
	v_and_b32_e32 v20, 0x7fffffff, v0
	v_cmp_gt_u64_e32 vcc, s[78:79], v[20:21]
	v_and_b32_sdwa v8, v0, s80 dst_sel:DWORD dst_unused:UNUSED_PAD src0_sel:BYTE_3 src1_sel:DWORD
                                        ; implicit-def: $vgpr37
	s_and_saveexec_b64 s[40:41], vcc
	s_xor_b64 s[38:39], exec, s[40:41]
	s_cbranch_execz .LBB6_5964
; %bb.5955:                             ;   in Loop: Header=BB6_5671 Depth=3
	v_mov_b32_e32 v37, 0
	v_cmp_ne_u32_e32 vcc, 0, v0
	s_and_saveexec_b64 s[48:49], vcc
	s_cbranch_execz .LBB6_5963
; %bb.5956:                             ;   in Loop: Header=BB6_5671 Depth=3
	v_bfe_u32 v9, v0, 23, 8
	v_and_b32_e32 v1, 0x7fffff, v0
	v_cmp_gt_u32_e64 s[40:41], s47, v9
	v_sub_u32_e32 v0, 0x79, v9
	v_cmp_eq_u32_e32 vcc, 0, v9
	v_cndmask_b32_e64 v0, 0, v0, s[40:41]
	v_mov_b32_e32 v12, 0x78
	v_cndmask_b32_e32 v12, v0, v12, vcc
	v_or_b32_e32 v2, 0x800000, v1
	v_add_u32_e32 v0, 20, v12
	v_cndmask_b32_e32 v20, v2, v1, vcc
	v_lshlrev_b64 v[0:1], v0, -1
	v_add_u32_e32 v2, 19, v12
	v_lshlrev_b64 v[37:38], v2, 1
	v_bfi_b32 v1, v1, 0, 0
	v_bfi_b32 v0, v0, 0, v20
	v_cmp_eq_u64_e64 s[40:41], v[0:1], v[37:38]
	v_lshrrev_b64 v[0:1], v12, v[20:21]
	v_mov_b32_e32 v2, v1
	v_mov_b32_e32 v1, v0
	s_and_saveexec_b64 s[50:51], s[40:41]
; %bb.5957:                             ;   in Loop: Header=BB6_5671 Depth=3
	v_bfe_u32 v1, v0, 20, 1
	v_add_co_u32_e64 v1, s[40:41], v0, v1
	v_add_co_u32_e64 v1, s[40:41], -1, v1
; %bb.5958:                             ;   in Loop: Header=BB6_5671 Depth=3
	s_or_b64 exec, exec, s[50:51]
	v_add_u32_e32 v2, 0xffffff81, v9
	v_mov_b32_e32 v9, 0xffffff82
	v_cndmask_b32_e32 v2, v2, v9, vcc
	v_lshrrev_b32_e32 v9, 23, v0
	v_add3_u32 v12, v12, v2, v9
	v_add_u32_e32 v9, 6, v12
	v_and_b32_e32 v1, 0xfffff, v1
	v_add_u32_e32 v20, v1, v0
	v_cmp_ne_u32_e32 vcc, 0, v9
                                        ; implicit-def: $vgpr0_vgpr1
                                        ; implicit-def: $vgpr2
	s_and_saveexec_b64 s[40:41], vcc
	s_xor_b64 s[40:41], exec, s[40:41]
; %bb.5959:                             ;   in Loop: Header=BB6_5671 Depth=3
	v_cmp_lt_u64_e32 vcc, s[88:89], v[20:21]
	v_add_u32_e32 v0, 7, v12
	v_cndmask_b32_e32 v2, v9, v0, vcc
	v_cndmask_b32_e64 v0, 0, 1, vcc
	v_lshrrev_b64 v[0:1], v0, v[20:21]
; %bb.5960:                             ;   in Loop: Header=BB6_5671 Depth=3
	s_andn2_saveexec_b64 s[40:41], s[40:41]
; %bb.5961:                             ;   in Loop: Header=BB6_5671 Depth=3
	v_mov_b32_e32 v0, v20
	v_bfe_u32 v2, v20, 23, 1
	v_mov_b32_e32 v1, v21
; %bb.5962:                             ;   in Loop: Header=BB6_5671 Depth=3
	s_or_b64 exec, exec, s[40:41]
	v_lshrrev_b64 v[0:1], 20, v[0:1]
	v_cmp_gt_i32_e32 vcc, 16, v2
	v_cndmask_b32_e32 v1, 0, v1, vcc
	v_cndmask_b32_e32 v0, 7, v0, vcc
	v_cmp_eq_u64_e64 s[40:41], 0, v[0:1]
	v_min_i32_e32 v1, 15, v2
	v_lshlrev_b32_e32 v1, 3, v1
	v_cmp_eq_u32_e32 vcc, 0, v2
	v_and_b32_e32 v1, 0xf8, v1
	v_and_or_b32 v0, v0, 7, v1
	s_and_b64 s[40:41], vcc, s[40:41]
	v_cndmask_b32_e64 v0, v0, 0, s[40:41]
	v_or_b32_e32 v37, v0, v8
.LBB6_5963:                             ;   in Loop: Header=BB6_5671 Depth=3
	s_or_b64 exec, exec, s[48:49]
                                        ; implicit-def: $vgpr8
.LBB6_5964:                             ;   in Loop: Header=BB6_5671 Depth=3
	s_andn2_saveexec_b64 s[40:41], s[38:39]
; %bb.5965:                             ;   in Loop: Header=BB6_5671 Depth=3
	v_or_b32_e32 v37, 0x7e, v8
; %bb.5966:                             ;   in Loop: Header=BB6_5671 Depth=3
	s_or_b64 exec, exec, s[40:41]
                                        ; implicit-def: $vgpr0
.LBB6_5967:                             ;   in Loop: Header=BB6_5671 Depth=3
	s_andn2_saveexec_b64 s[40:41], s[42:43]
; %bb.5968:                             ;   in Loop: Header=BB6_5671 Depth=3
	v_or_b32_sdwa v37, v0, s81 dst_sel:DWORD dst_unused:UNUSED_PAD src0_sel:BYTE_3 src1_sel:DWORD
; %bb.5969:                             ;   in Loop: Header=BB6_5671 Depth=3
	s_or_b64 exec, exec, s[40:41]
	v_cmp_lt_u32_e32 vcc, s57, v14
	v_mov_b32_e32 v1, 0
	s_and_saveexec_b64 s[40:41], vcc
	s_cbranch_execz .LBB6_5975
; %bb.5970:                             ;   in Loop: Header=BB6_5671 Depth=3
	v_lshrrev_b32_e32 v0, 24, v14
	v_cmp_ne_u32_e32 vcc, s80, v0
	v_bfrev_b32_e32 v1, 1
	s_and_saveexec_b64 s[42:43], vcc
	s_cbranch_execz .LBB6_5974
; %bb.5971:                             ;   in Loop: Header=BB6_5671 Depth=3
	v_bfe_u32 v2, v14, 24, 7
	v_cmp_ne_u32_e32 vcc, s81, v2
	v_mov_b32_e32 v1, 0x7f800001
	s_and_saveexec_b64 s[38:39], vcc
	s_cbranch_execz .LBB6_5973
; %bb.5972:                             ;   in Loop: Header=BB6_5671 Depth=3
	v_and_b32_e32 v8, 7, v0
	v_ffbh_u32_e32 v1, v8
	v_min_u32_e32 v12, 32, v1
	v_subrev_u32_e32 v1, 28, v12
	v_lshrrev_b32_e32 v9, 3, v2
	v_cmp_gt_u32_e32 vcc, 8, v2
	v_lshlrev_b64 v[1:2], v1, v[0:1]
	v_sub_u32_e32 v2, 29, v12
	v_and_b32_e32 v1, 7, v1
	v_cndmask_b32_e32 v2, v9, v2, vcc
	v_cndmask_b32_e32 v1, v8, v1, vcc
	v_lshlrev_b32_e32 v0, 24, v0
	v_bfrev_b32_e32 v8, 60
	v_lshlrev_b32_e32 v1, 20, v1
	v_and_b32_e32 v0, 0x80000000, v0
	v_lshl_add_u32 v2, v2, 23, v8
	v_or3_b32 v1, v0, v2, v1
.LBB6_5973:                             ;   in Loop: Header=BB6_5671 Depth=3
	s_or_b64 exec, exec, s[38:39]
.LBB6_5974:                             ;   in Loop: Header=BB6_5671 Depth=3
	s_or_b64 exec, exec, s[42:43]
.LBB6_5975:                             ;   in Loop: Header=BB6_5671 Depth=3
	s_or_b64 exec, exec, s[40:41]
	v_bfe_u32 v2, v10, 24, 3
	v_ffbh_u32_e32 v8, v2
	v_min_u32_e32 v20, 32, v8
	v_lshrrev_b32_e32 v0, 24, v10
	v_subrev_u32_e32 v8, 28, v20
	v_lshlrev_b64 v[8:9], v8, v[0:1]
	v_bfe_u32 v12, v10, 24, 7
	v_bfe_u32 v13, v0, 3, 4
	v_sub_u32_e32 v9, 29, v20
	v_and_b32_e32 v8, 7, v8
	v_cmp_gt_u32_e32 vcc, 8, v12
	v_cndmask_b32_e32 v9, v13, v9, vcc
	v_cndmask_b32_e32 v2, v2, v8, vcc
	v_bfrev_b32_e32 v13, 60
	v_lshlrev_b32_e32 v2, 20, v2
	v_and_b32_e32 v8, 0x80000000, v10
	v_lshl_add_u32 v9, v9, 23, v13
	v_or3_b32 v2, v8, v9, v2
	v_cmp_ne_u32_e32 vcc, s81, v12
	v_mov_b32_e32 v8, 0x7f800001
	v_cndmask_b32_e32 v2, v8, v2, vcc
	v_cmp_ne_u32_e32 vcc, s80, v0
	v_bfrev_b32_e32 v0, 1
	v_cndmask_b32_e32 v0, v0, v2, vcc
	v_cmp_lt_u32_e32 vcc, s57, v10
	v_cndmask_b32_e32 v0, 0, v0, vcc
	v_mul_f32_e32 v0, v0, v1
	v_and_b32_e32 v20, 0x7f800000, v0
	v_cmp_ne_u64_e32 vcc, s[62:63], v[20:21]
                                        ; implicit-def: $vgpr38
	s_and_saveexec_b64 s[40:41], vcc
	s_xor_b64 s[42:43], exec, s[40:41]
	s_cbranch_execz .LBB6_5989
; %bb.5976:                             ;   in Loop: Header=BB6_5671 Depth=3
	v_and_b32_e32 v20, 0x7fffffff, v0
	v_cmp_gt_u64_e32 vcc, s[78:79], v[20:21]
	v_and_b32_sdwa v8, v0, s80 dst_sel:DWORD dst_unused:UNUSED_PAD src0_sel:BYTE_3 src1_sel:DWORD
                                        ; implicit-def: $vgpr38
	s_and_saveexec_b64 s[40:41], vcc
	s_xor_b64 s[38:39], exec, s[40:41]
	s_cbranch_execz .LBB6_5986
; %bb.5977:                             ;   in Loop: Header=BB6_5671 Depth=3
	v_mov_b32_e32 v38, 0
	v_cmp_ne_u32_e32 vcc, 0, v0
	s_and_saveexec_b64 s[48:49], vcc
	s_cbranch_execz .LBB6_5985
; %bb.5978:                             ;   in Loop: Header=BB6_5671 Depth=3
	v_bfe_u32 v9, v0, 23, 8
	v_and_b32_e32 v1, 0x7fffff, v0
	v_cmp_gt_u32_e64 s[40:41], s47, v9
	v_sub_u32_e32 v0, 0x79, v9
	v_cmp_eq_u32_e32 vcc, 0, v9
	v_cndmask_b32_e64 v0, 0, v0, s[40:41]
	v_mov_b32_e32 v12, 0x78
	v_cndmask_b32_e32 v12, v0, v12, vcc
	v_or_b32_e32 v2, 0x800000, v1
	v_add_u32_e32 v0, 20, v12
	v_cndmask_b32_e32 v20, v2, v1, vcc
	v_lshlrev_b64 v[0:1], v0, -1
	v_add_u32_e32 v2, 19, v12
	v_lshlrev_b64 v[38:39], v2, 1
	v_bfi_b32 v1, v1, 0, 0
	v_bfi_b32 v0, v0, 0, v20
	v_cmp_eq_u64_e64 s[40:41], v[0:1], v[38:39]
	v_lshrrev_b64 v[0:1], v12, v[20:21]
	v_mov_b32_e32 v2, v1
	v_mov_b32_e32 v1, v0
	s_and_saveexec_b64 s[50:51], s[40:41]
; %bb.5979:                             ;   in Loop: Header=BB6_5671 Depth=3
	v_bfe_u32 v1, v0, 20, 1
	v_add_co_u32_e64 v1, s[40:41], v0, v1
	v_add_co_u32_e64 v1, s[40:41], -1, v1
; %bb.5980:                             ;   in Loop: Header=BB6_5671 Depth=3
	s_or_b64 exec, exec, s[50:51]
	v_add_u32_e32 v2, 0xffffff81, v9
	v_mov_b32_e32 v9, 0xffffff82
	v_cndmask_b32_e32 v2, v2, v9, vcc
	v_lshrrev_b32_e32 v9, 23, v0
	v_add3_u32 v12, v12, v2, v9
	v_add_u32_e32 v9, 6, v12
	v_and_b32_e32 v1, 0xfffff, v1
	v_add_u32_e32 v20, v1, v0
	v_cmp_ne_u32_e32 vcc, 0, v9
                                        ; implicit-def: $vgpr0_vgpr1
                                        ; implicit-def: $vgpr2
	s_and_saveexec_b64 s[40:41], vcc
	s_xor_b64 s[40:41], exec, s[40:41]
; %bb.5981:                             ;   in Loop: Header=BB6_5671 Depth=3
	v_cmp_lt_u64_e32 vcc, s[88:89], v[20:21]
	v_add_u32_e32 v0, 7, v12
	v_cndmask_b32_e32 v2, v9, v0, vcc
	v_cndmask_b32_e64 v0, 0, 1, vcc
	v_lshrrev_b64 v[0:1], v0, v[20:21]
; %bb.5982:                             ;   in Loop: Header=BB6_5671 Depth=3
	s_andn2_saveexec_b64 s[40:41], s[40:41]
; %bb.5983:                             ;   in Loop: Header=BB6_5671 Depth=3
	v_mov_b32_e32 v0, v20
	v_bfe_u32 v2, v20, 23, 1
	v_mov_b32_e32 v1, v21
; %bb.5984:                             ;   in Loop: Header=BB6_5671 Depth=3
	s_or_b64 exec, exec, s[40:41]
	v_lshrrev_b64 v[0:1], 20, v[0:1]
	v_cmp_gt_i32_e32 vcc, 16, v2
	v_cndmask_b32_e32 v1, 0, v1, vcc
	v_cndmask_b32_e32 v0, 7, v0, vcc
	v_cmp_eq_u64_e64 s[40:41], 0, v[0:1]
	v_min_i32_e32 v1, 15, v2
	v_lshlrev_b32_e32 v1, 3, v1
	v_cmp_eq_u32_e32 vcc, 0, v2
	v_and_b32_e32 v1, 0xf8, v1
	v_and_or_b32 v0, v0, 7, v1
	s_and_b64 s[40:41], vcc, s[40:41]
	v_cndmask_b32_e64 v0, v0, 0, s[40:41]
	v_or_b32_e32 v38, v0, v8
.LBB6_5985:                             ;   in Loop: Header=BB6_5671 Depth=3
	s_or_b64 exec, exec, s[48:49]
                                        ; implicit-def: $vgpr8
.LBB6_5986:                             ;   in Loop: Header=BB6_5671 Depth=3
	s_andn2_saveexec_b64 s[40:41], s[38:39]
; %bb.5987:                             ;   in Loop: Header=BB6_5671 Depth=3
	v_or_b32_e32 v38, 0x7e, v8
; %bb.5988:                             ;   in Loop: Header=BB6_5671 Depth=3
	s_or_b64 exec, exec, s[40:41]
                                        ; implicit-def: $vgpr0
.LBB6_5989:                             ;   in Loop: Header=BB6_5671 Depth=3
	s_andn2_saveexec_b64 s[40:41], s[42:43]
; %bb.5990:                             ;   in Loop: Header=BB6_5671 Depth=3
	v_or_b32_sdwa v38, v0, s81 dst_sel:DWORD dst_unused:UNUSED_PAD src0_sel:BYTE_3 src1_sel:DWORD
; %bb.5991:                             ;   in Loop: Header=BB6_5671 Depth=3
	s_or_b64 exec, exec, s[40:41]
	v_mov_b32_e32 v20, v15
	v_cmp_ne_u16_sdwa s[42:43], v15, v21 src0_sel:BYTE_0 src1_sel:DWORD
	v_mov_b32_e32 v0, 0
	s_and_saveexec_b64 s[40:41], s[42:43]
	s_cbranch_execz .LBB6_5997
; %bb.5992:                             ;   in Loop: Header=BB6_5671 Depth=3
	v_cmp_ne_u16_sdwa vcc, v15, s80 src0_sel:BYTE_0 src1_sel:DWORD
	v_bfrev_b32_e32 v0, 1
	s_and_saveexec_b64 s[42:43], vcc
	s_cbranch_execz .LBB6_5996
; %bb.5993:                             ;   in Loop: Header=BB6_5671 Depth=3
	v_and_b32_e32 v1, 0x7f, v15
	v_cmp_ne_u32_e32 vcc, s81, v1
	v_mov_b32_e32 v0, 0x7f800001
	s_and_saveexec_b64 s[38:39], vcc
	s_cbranch_execz .LBB6_5995
; %bb.5994:                             ;   in Loop: Header=BB6_5671 Depth=3
	v_and_b32_e32 v0, 7, v15
	v_ffbh_u32_e32 v0, v0
	v_min_u32_e32 v0, 32, v0
	v_lshrrev_b32_e32 v2, 3, v1
	v_cmp_gt_u32_e32 vcc, 8, v1
	v_subrev_u32_e32 v1, 28, v0
	v_sub_u32_e32 v0, 29, v0
	v_cndmask_b32_e32 v2, v2, v0, vcc
	v_cndmask_b32_e32 v0, 0, v1, vcc
	v_lshlrev_b64 v[0:1], v0, v[20:21]
	v_lshlrev_b32_e32 v1, 24, v20
	v_lshlrev_b32_e32 v0, 20, v0
	v_bfrev_b32_e32 v8, 60
	v_and_b32_e32 v0, 0x700000, v0
	v_and_b32_e32 v1, 0x80000000, v1
	v_lshl_add_u32 v2, v2, 23, v8
	v_or3_b32 v0, v1, v2, v0
.LBB6_5995:                             ;   in Loop: Header=BB6_5671 Depth=3
	s_or_b64 exec, exec, s[38:39]
.LBB6_5996:                             ;   in Loop: Header=BB6_5671 Depth=3
	s_or_b64 exec, exec, s[42:43]
.LBB6_5997:                             ;   in Loop: Header=BB6_5671 Depth=3
	s_or_b64 exec, exec, s[40:41]
	v_cmp_gt_i16_sdwa s[42:43], v11, s81 src0_sel:BYTE_0 src1_sel:DWORD
	s_mov_b64 s[40:41], 0
	s_and_saveexec_b64 vcc, s[42:43]
	s_xor_b64 s[42:43], exec, vcc
	s_cbranch_execz .LBB6_6001
; %bb.5998:                             ;   in Loop: Header=BB6_5671 Depth=3
	v_cmp_eq_u16_sdwa s[38:39], v11, s80 src0_sel:BYTE_0 src1_sel:DWORD
	s_mov_b64 s[40:41], -1
	s_and_saveexec_b64 vcc, s[38:39]
; %bb.5999:                             ;   in Loop: Header=BB6_5671 Depth=3
	s_xor_b64 s[40:41], exec, -1
; %bb.6000:                             ;   in Loop: Header=BB6_5671 Depth=3
	s_or_b64 exec, exec, vcc
	s_and_b64 s[40:41], s[40:41], exec
.LBB6_6001:                             ;   in Loop: Header=BB6_5671 Depth=3
	s_or_saveexec_b64 s[42:43], s[42:43]
	v_bfrev_b32_e32 v1, 1
	s_xor_b64 exec, exec, s[42:43]
; %bb.6002:                             ;   in Loop: Header=BB6_5671 Depth=3
	v_cmp_ne_u16_sdwa vcc, v11, v21 src0_sel:BYTE_0 src1_sel:DWORD
	s_andn2_b64 s[40:41], s[40:41], exec
	s_and_b64 vcc, vcc, exec
	v_mov_b32_e32 v1, 0
	s_or_b64 s[40:41], s[40:41], vcc
; %bb.6003:                             ;   in Loop: Header=BB6_5671 Depth=3
	s_or_b64 exec, exec, s[42:43]
	v_mov_b32_e32 v8, v11
	v_mov_b32_e32 v9, v21
	s_and_saveexec_b64 s[42:43], s[40:41]
	s_cbranch_execz .LBB6_6005
; %bb.6004:                             ;   in Loop: Header=BB6_5671 Depth=3
	v_and_b32_e32 v1, 7, v11
	v_ffbh_u32_e32 v1, v1
	v_and_b32_e32 v12, 0x7f, v11
	v_min_u32_e32 v1, 32, v1
	v_bfe_u32 v2, v11, 3, 4
	v_subrev_u32_e32 v13, 28, v1
	v_sub_u32_e32 v1, 29, v1
	v_cmp_gt_u32_e32 vcc, 8, v12
	v_cndmask_b32_e32 v39, v2, v1, vcc
	v_cndmask_b32_e32 v1, 0, v13, vcc
	v_lshlrev_b64 v[1:2], v1, v[8:9]
	v_lshlrev_b32_e32 v2, 24, v8
	v_lshlrev_b32_e32 v1, 20, v1
	v_bfrev_b32_e32 v9, 60
	v_and_b32_e32 v1, 0x700000, v1
	v_and_b32_e32 v2, 0x80000000, v2
	v_lshl_add_u32 v9, v39, 23, v9
	v_or3_b32 v1, v2, v9, v1
	v_cmp_ne_u32_e32 vcc, s81, v12
	v_mov_b32_e32 v2, 0x7f800001
	v_cndmask_b32_e32 v1, v2, v1, vcc
.LBB6_6005:                             ;   in Loop: Header=BB6_5671 Depth=3
	s_or_b64 exec, exec, s[42:43]
	v_mul_f32_e32 v0, v0, v1
	v_and_b32_e32 v1, 0x7f800000, v0
	v_mov_b32_e32 v2, v21
	v_cmp_ne_u64_e32 vcc, s[62:63], v[1:2]
                                        ; implicit-def: $vgpr12
	s_and_saveexec_b64 s[40:41], vcc
	s_xor_b64 s[42:43], exec, s[40:41]
	s_cbranch_execz .LBB6_6019
; %bb.6006:                             ;   in Loop: Header=BB6_5671 Depth=3
	v_and_b32_e32 v1, 0x7fffffff, v0
	v_mov_b32_e32 v2, v21
	v_cmp_gt_u64_e32 vcc, s[78:79], v[1:2]
	v_and_b32_sdwa v9, v0, s80 dst_sel:DWORD dst_unused:UNUSED_PAD src0_sel:BYTE_3 src1_sel:DWORD
                                        ; implicit-def: $vgpr12
	s_and_saveexec_b64 s[40:41], vcc
	s_xor_b64 s[38:39], exec, s[40:41]
	s_cbranch_execz .LBB6_6016
; %bb.6007:                             ;   in Loop: Header=BB6_5671 Depth=3
	v_mov_b32_e32 v12, 0
	v_cmp_ne_u32_e32 vcc, 0, v0
	s_and_saveexec_b64 s[48:49], vcc
	s_cbranch_execz .LBB6_6015
; %bb.6008:                             ;   in Loop: Header=BB6_5671 Depth=3
	v_bfe_u32 v12, v0, 23, 8
	v_and_b32_e32 v1, 0x7fffff, v0
	v_cmp_gt_u32_e64 s[40:41], s47, v12
	v_sub_u32_e32 v0, 0x79, v12
	v_cmp_eq_u32_e32 vcc, 0, v12
	v_cndmask_b32_e64 v0, 0, v0, s[40:41]
	v_mov_b32_e32 v13, 0x78
	v_or_b32_e32 v2, 0x800000, v1
	v_cndmask_b32_e32 v13, v0, v13, vcc
	v_cndmask_b32_e32 v0, v2, v1, vcc
	v_add_u32_e32 v2, 20, v13
	v_lshlrev_b64 v[48:49], v2, -1
	v_mov_b32_e32 v1, v21
	v_add_u32_e32 v2, 19, v13
	v_bfi_b32 v48, v48, 0, v0
	v_lshlrev_b64 v[50:51], v2, 1
	v_lshrrev_b64 v[0:1], v13, v[0:1]
	v_bfi_b32 v49, v49, 0, 0
	v_cmp_eq_u64_e64 s[40:41], v[48:49], v[50:51]
	v_mov_b32_e32 v2, v1
	v_mov_b32_e32 v1, v0
	s_and_saveexec_b64 s[50:51], s[40:41]
; %bb.6009:                             ;   in Loop: Header=BB6_5671 Depth=3
	v_bfe_u32 v1, v0, 20, 1
	v_add_co_u32_e64 v1, s[40:41], v0, v1
	v_add_co_u32_e64 v1, s[40:41], -1, v1
; %bb.6010:                             ;   in Loop: Header=BB6_5671 Depth=3
	s_or_b64 exec, exec, s[50:51]
	v_add_u32_e32 v2, 0xffffff81, v12
	v_mov_b32_e32 v12, 0xffffff82
	v_cndmask_b32_e32 v2, v2, v12, vcc
	v_lshrrev_b32_e32 v12, 23, v0
	v_add3_u32 v39, v13, v2, v12
	v_add_u32_e32 v2, 6, v39
	v_and_b32_e32 v1, 0xfffff, v1
	v_add_u32_e32 v12, v1, v0
	v_mov_b32_e32 v13, v21
	v_cmp_ne_u32_e32 vcc, 0, v2
                                        ; implicit-def: $vgpr0
	s_and_saveexec_b64 s[40:41], vcc
	s_xor_b64 s[40:41], exec, s[40:41]
; %bb.6011:                             ;   in Loop: Header=BB6_5671 Depth=3
	v_cmp_lt_u64_e32 vcc, s[88:89], v[12:13]
	v_add_u32_e32 v0, 7, v39
	v_cndmask_b32_e64 v1, 0, 1, vcc
	v_cndmask_b32_e32 v0, v2, v0, vcc
	v_lshrrev_b64 v[12:13], v1, v[12:13]
; %bb.6012:                             ;   in Loop: Header=BB6_5671 Depth=3
	s_or_saveexec_b64 s[40:41], s[40:41]
	buffer_load_dword v49, off, s[0:3], s33 offset:92 ; 4-byte Folded Reload
	s_xor_b64 exec, exec, s[40:41]
; %bb.6013:                             ;   in Loop: Header=BB6_5671 Depth=3
	v_bfe_u32 v0, v12, 23, 1
; %bb.6014:                             ;   in Loop: Header=BB6_5671 Depth=3
	s_or_b64 exec, exec, s[40:41]
	v_lshrrev_b64 v[1:2], 20, v[12:13]
	v_cmp_gt_i32_e32 vcc, 16, v0
	v_cndmask_b32_e32 v2, 0, v2, vcc
	v_cndmask_b32_e32 v1, 7, v1, vcc
	v_cmp_eq_u32_e32 vcc, 0, v0
	v_min_i32_e32 v0, 15, v0
	v_cmp_eq_u64_e64 s[40:41], 0, v[1:2]
	v_lshlrev_b32_e32 v0, 3, v0
	v_and_b32_e32 v0, 0xf8, v0
	v_and_or_b32 v0, v1, 7, v0
	s_and_b64 s[40:41], vcc, s[40:41]
	v_cndmask_b32_e64 v0, v0, 0, s[40:41]
	v_or_b32_e32 v12, v0, v9
.LBB6_6015:                             ;   in Loop: Header=BB6_5671 Depth=3
	s_or_b64 exec, exec, s[48:49]
                                        ; implicit-def: $vgpr9
.LBB6_6016:                             ;   in Loop: Header=BB6_5671 Depth=3
	s_andn2_saveexec_b64 s[40:41], s[38:39]
; %bb.6017:                             ;   in Loop: Header=BB6_5671 Depth=3
	v_or_b32_e32 v12, 0x7e, v9
; %bb.6018:                             ;   in Loop: Header=BB6_5671 Depth=3
	s_or_b64 exec, exec, s[40:41]
                                        ; implicit-def: $vgpr0
.LBB6_6019:                             ;   in Loop: Header=BB6_5671 Depth=3
	s_andn2_saveexec_b64 s[40:41], s[42:43]
; %bb.6020:                             ;   in Loop: Header=BB6_5671 Depth=3
	v_or_b32_sdwa v12, v0, s81 dst_sel:DWORD dst_unused:UNUSED_PAD src0_sel:BYTE_3 src1_sel:DWORD
; %bb.6021:                             ;   in Loop: Header=BB6_5671 Depth=3
	s_or_b64 exec, exec, s[40:41]
	v_lshrrev_b16_e32 v0, 8, v20
	v_cmp_ne_u16_e32 vcc, 0, v0
	v_mov_b32_e32 v1, 0
	s_and_saveexec_b64 s[40:41], vcc
	s_cbranch_execz .LBB6_6027
; %bb.6022:                             ;   in Loop: Header=BB6_5671 Depth=3
	v_cmp_ne_u16_e32 vcc, s80, v0
	v_bfrev_b32_e32 v1, 1
	s_and_saveexec_b64 s[42:43], vcc
	s_cbranch_execz .LBB6_6026
; %bb.6023:                             ;   in Loop: Header=BB6_5671 Depth=3
	v_and_b32_e32 v2, 0x7f, v0
	v_cmp_ne_u32_e32 vcc, s81, v2
	v_mov_b32_e32 v1, 0x7f800001
	s_and_saveexec_b64 s[38:39], vcc
	s_cbranch_execz .LBB6_6025
; %bb.6024:                             ;   in Loop: Header=BB6_5671 Depth=3
	v_and_b32_e32 v9, 7, v0
	v_ffbh_u32_e32 v1, v9
	v_lshrrev_b32_e32 v13, 3, v2
	v_cmp_gt_u32_e32 vcc, 8, v2
	v_min_u32_e32 v2, 32, v1
	v_subrev_u32_e32 v1, 28, v2
	v_lshlrev_b64 v[0:1], v1, v[0:1]
	v_sub_u32_e32 v1, 29, v2
	v_and_b32_e32 v0, 7, v0
	v_cndmask_b32_e32 v1, v13, v1, vcc
	v_cndmask_b32_e32 v0, v9, v0, vcc
	v_lshlrev_b32_e32 v2, 16, v20
	v_bfrev_b32_e32 v9, 60
	v_lshlrev_b32_e32 v0, 20, v0
	v_and_b32_e32 v2, 0x80000000, v2
	v_lshl_add_u32 v1, v1, 23, v9
	v_or3_b32 v1, v2, v1, v0
.LBB6_6025:                             ;   in Loop: Header=BB6_5671 Depth=3
	s_or_b64 exec, exec, s[38:39]
.LBB6_6026:                             ;   in Loop: Header=BB6_5671 Depth=3
	s_or_b64 exec, exec, s[42:43]
.LBB6_6027:                             ;   in Loop: Header=BB6_5671 Depth=3
	s_or_b64 exec, exec, s[40:41]
	v_lshrrev_b16_e32 v20, 8, v8
	v_cmp_lt_i16_e32 vcc, s81, v20
	s_mov_b64 s[40:41], 0
	s_and_saveexec_b64 s[42:43], vcc
	s_xor_b64 s[42:43], exec, s[42:43]
	s_cbranch_execz .LBB6_6118
; %bb.6028:                             ;   in Loop: Header=BB6_5671 Depth=3
	v_cmp_eq_u16_e32 vcc, s80, v20
	s_mov_b64 s[40:41], -1
	s_and_saveexec_b64 s[38:39], vcc
; %bb.6029:                             ;   in Loop: Header=BB6_5671 Depth=3
	s_xor_b64 s[40:41], exec, -1
; %bb.6030:                             ;   in Loop: Header=BB6_5671 Depth=3
	s_or_b64 exec, exec, s[38:39]
	s_and_b64 s[40:41], s[40:41], exec
	s_or_saveexec_b64 s[42:43], s[42:43]
	v_bfrev_b32_e32 v0, 1
	s_xor_b64 exec, exec, s[42:43]
	s_cbranch_execnz .LBB6_6119
.LBB6_6031:                             ;   in Loop: Header=BB6_5671 Depth=3
	s_or_b64 exec, exec, s[42:43]
	s_and_saveexec_b64 s[42:43], s[40:41]
	s_cbranch_execz .LBB6_6033
.LBB6_6032:                             ;   in Loop: Header=BB6_5671 Depth=3
	v_and_b32_e32 v0, 7, v20
	v_ffbh_u32_e32 v8, v0
	v_min_u32_e32 v39, 32, v8
	v_subrev_u32_e32 v8, 28, v39
	v_lshlrev_b64 v[8:9], v8, v[20:21]
	v_and_b32_e32 v2, 0x7f, v20
	v_bfe_u32 v13, v20, 3, 4
	v_sub_u32_e32 v9, 29, v39
	v_and_b32_e32 v8, 7, v8
	v_cmp_gt_u32_e32 vcc, 8, v2
	v_cndmask_b32_e32 v9, v13, v9, vcc
	v_cndmask_b32_e32 v0, v0, v8, vcc
	v_lshlrev_b32_e32 v8, 24, v20
	v_bfrev_b32_e32 v13, 60
	v_lshlrev_b32_e32 v0, 20, v0
	v_and_b32_e32 v8, 0x80000000, v8
	v_lshl_add_u32 v9, v9, 23, v13
	v_or3_b32 v0, v8, v9, v0
	v_cmp_ne_u32_e32 vcc, s81, v2
	v_mov_b32_e32 v2, 0x7f800001
	v_cndmask_b32_e32 v0, v2, v0, vcc
.LBB6_6033:                             ;   in Loop: Header=BB6_5671 Depth=3
	s_or_b64 exec, exec, s[42:43]
	v_mul_f32_e32 v0, v1, v0
	v_and_b32_e32 v20, 0x7f800000, v0
	v_cmp_ne_u64_e32 vcc, s[62:63], v[20:21]
                                        ; implicit-def: $vgpr13
	s_and_saveexec_b64 s[40:41], vcc
	s_xor_b64 s[42:43], exec, s[40:41]
	s_cbranch_execz .LBB6_6047
; %bb.6034:                             ;   in Loop: Header=BB6_5671 Depth=3
	v_and_b32_e32 v20, 0x7fffffff, v0
	v_cmp_gt_u64_e32 vcc, s[78:79], v[20:21]
	v_and_b32_sdwa v8, v0, s80 dst_sel:DWORD dst_unused:UNUSED_PAD src0_sel:BYTE_3 src1_sel:DWORD
                                        ; implicit-def: $vgpr13
	s_and_saveexec_b64 s[40:41], vcc
	s_xor_b64 s[38:39], exec, s[40:41]
	s_cbranch_execz .LBB6_6044
; %bb.6035:                             ;   in Loop: Header=BB6_5671 Depth=3
	v_mov_b32_e32 v13, 0
	v_cmp_ne_u32_e32 vcc, 0, v0
	s_and_saveexec_b64 s[48:49], vcc
	s_cbranch_execz .LBB6_6043
; %bb.6036:                             ;   in Loop: Header=BB6_5671 Depth=3
	v_bfe_u32 v9, v0, 23, 8
	v_and_b32_e32 v1, 0x7fffff, v0
	v_cmp_gt_u32_e64 s[40:41], s47, v9
	v_sub_u32_e32 v0, 0x79, v9
	v_cmp_eq_u32_e32 vcc, 0, v9
	v_cndmask_b32_e64 v0, 0, v0, s[40:41]
	v_mov_b32_e32 v13, 0x78
	v_cndmask_b32_e32 v13, v0, v13, vcc
	v_or_b32_e32 v2, 0x800000, v1
	v_add_u32_e32 v0, 20, v13
	v_cndmask_b32_e32 v20, v2, v1, vcc
	v_lshlrev_b64 v[0:1], v0, -1
	v_add_u32_e32 v2, 19, v13
	s_waitcnt vmcnt(0)
	v_lshlrev_b64 v[48:49], v2, 1
	v_bfi_b32 v1, v1, 0, 0
	v_bfi_b32 v0, v0, 0, v20
	v_cmp_eq_u64_e64 s[40:41], v[0:1], v[48:49]
	v_lshrrev_b64 v[0:1], v13, v[20:21]
	v_mov_b32_e32 v2, v1
	v_mov_b32_e32 v1, v0
	s_and_saveexec_b64 s[50:51], s[40:41]
; %bb.6037:                             ;   in Loop: Header=BB6_5671 Depth=3
	v_bfe_u32 v1, v0, 20, 1
	v_add_co_u32_e64 v1, s[40:41], v0, v1
	v_add_co_u32_e64 v1, s[40:41], -1, v1
; %bb.6038:                             ;   in Loop: Header=BB6_5671 Depth=3
	s_or_b64 exec, exec, s[50:51]
	v_add_u32_e32 v2, 0xffffff81, v9
	v_mov_b32_e32 v9, 0xffffff82
	v_cndmask_b32_e32 v2, v2, v9, vcc
	v_lshrrev_b32_e32 v9, 23, v0
	v_add3_u32 v13, v13, v2, v9
	v_add_u32_e32 v9, 6, v13
	v_and_b32_e32 v1, 0xfffff, v1
	v_add_u32_e32 v20, v1, v0
	v_cmp_ne_u32_e32 vcc, 0, v9
                                        ; implicit-def: $vgpr0_vgpr1
                                        ; implicit-def: $vgpr2
	s_and_saveexec_b64 s[40:41], vcc
	s_xor_b64 s[40:41], exec, s[40:41]
; %bb.6039:                             ;   in Loop: Header=BB6_5671 Depth=3
	v_cmp_lt_u64_e32 vcc, s[88:89], v[20:21]
	v_add_u32_e32 v0, 7, v13
	v_cndmask_b32_e32 v2, v9, v0, vcc
	v_cndmask_b32_e64 v0, 0, 1, vcc
	v_lshrrev_b64 v[0:1], v0, v[20:21]
; %bb.6040:                             ;   in Loop: Header=BB6_5671 Depth=3
	s_or_saveexec_b64 s[40:41], s[40:41]
	buffer_load_dword v49, off, s[0:3], s33 offset:92 ; 4-byte Folded Reload
	s_xor_b64 exec, exec, s[40:41]
; %bb.6041:                             ;   in Loop: Header=BB6_5671 Depth=3
	v_mov_b32_e32 v0, v20
	v_bfe_u32 v2, v20, 23, 1
	v_mov_b32_e32 v1, v21
; %bb.6042:                             ;   in Loop: Header=BB6_5671 Depth=3
	s_or_b64 exec, exec, s[40:41]
	v_lshrrev_b64 v[0:1], 20, v[0:1]
	v_cmp_gt_i32_e32 vcc, 16, v2
	v_cndmask_b32_e32 v1, 0, v1, vcc
	v_cndmask_b32_e32 v0, 7, v0, vcc
	v_cmp_eq_u64_e64 s[40:41], 0, v[0:1]
	v_min_i32_e32 v1, 15, v2
	v_lshlrev_b32_e32 v1, 3, v1
	v_cmp_eq_u32_e32 vcc, 0, v2
	v_and_b32_e32 v1, 0xf8, v1
	v_and_or_b32 v0, v0, 7, v1
	s_and_b64 s[40:41], vcc, s[40:41]
	v_cndmask_b32_e64 v0, v0, 0, s[40:41]
	v_or_b32_e32 v13, v0, v8
.LBB6_6043:                             ;   in Loop: Header=BB6_5671 Depth=3
	s_or_b64 exec, exec, s[48:49]
                                        ; implicit-def: $vgpr8
.LBB6_6044:                             ;   in Loop: Header=BB6_5671 Depth=3
	s_andn2_saveexec_b64 s[40:41], s[38:39]
; %bb.6045:                             ;   in Loop: Header=BB6_5671 Depth=3
	v_or_b32_e32 v13, 0x7e, v8
; %bb.6046:                             ;   in Loop: Header=BB6_5671 Depth=3
	s_or_b64 exec, exec, s[40:41]
                                        ; implicit-def: $vgpr0
.LBB6_6047:                             ;   in Loop: Header=BB6_5671 Depth=3
	s_andn2_saveexec_b64 s[40:41], s[42:43]
; %bb.6048:                             ;   in Loop: Header=BB6_5671 Depth=3
	v_or_b32_sdwa v13, v0, s81 dst_sel:DWORD dst_unused:UNUSED_PAD src0_sel:BYTE_3 src1_sel:DWORD
; %bb.6049:                             ;   in Loop: Header=BB6_5671 Depth=3
	s_or_b64 exec, exec, s[40:41]
	v_lshrrev_b32_e32 v0, 16, v15
	v_cmp_ne_u16_sdwa s[42:43], v0, v21 src0_sel:BYTE_0 src1_sel:DWORD
	v_mov_b32_e32 v1, 0
	s_and_saveexec_b64 s[40:41], s[42:43]
	s_cbranch_execz .LBB6_6055
; %bb.6050:                             ;   in Loop: Header=BB6_5671 Depth=3
	v_cmp_ne_u16_sdwa vcc, v0, s80 src0_sel:BYTE_0 src1_sel:DWORD
	v_bfrev_b32_e32 v1, 1
	s_and_saveexec_b64 s[42:43], vcc
	s_cbranch_execz .LBB6_6054
; %bb.6051:                             ;   in Loop: Header=BB6_5671 Depth=3
	v_bfe_u32 v2, v15, 16, 7
	v_cmp_ne_u32_e32 vcc, s81, v2
	v_mov_b32_e32 v1, 0x7f800001
	s_and_saveexec_b64 s[38:39], vcc
	s_cbranch_execz .LBB6_6053
; %bb.6052:                             ;   in Loop: Header=BB6_5671 Depth=3
	v_and_b32_e32 v8, 7, v0
	v_ffbh_u32_e32 v1, v8
	v_min_u32_e32 v20, 32, v1
	v_subrev_u32_e32 v1, 28, v20
	v_lshrrev_b32_e32 v9, 3, v2
	v_cmp_gt_u32_e32 vcc, 8, v2
	v_lshlrev_b64 v[1:2], v1, v[0:1]
	v_sub_u32_e32 v2, 29, v20
	v_and_b32_e32 v1, 7, v1
	v_cndmask_b32_e32 v2, v9, v2, vcc
	v_cndmask_b32_e32 v1, v8, v1, vcc
	v_lshlrev_b32_e32 v0, 24, v0
	v_bfrev_b32_e32 v8, 60
	v_lshlrev_b32_e32 v1, 20, v1
	v_and_b32_e32 v0, 0x80000000, v0
	v_lshl_add_u32 v2, v2, 23, v8
	v_or3_b32 v1, v0, v2, v1
.LBB6_6053:                             ;   in Loop: Header=BB6_5671 Depth=3
	s_or_b64 exec, exec, s[38:39]
.LBB6_6054:                             ;   in Loop: Header=BB6_5671 Depth=3
	s_or_b64 exec, exec, s[42:43]
.LBB6_6055:                             ;   in Loop: Header=BB6_5671 Depth=3
	s_or_b64 exec, exec, s[40:41]
	v_lshrrev_b32_e32 v2, 16, v11
	v_cmp_gt_i16_sdwa s[42:43], v2, s81 src0_sel:BYTE_0 src1_sel:DWORD
	s_mov_b64 s[40:41], 0
	s_and_saveexec_b64 vcc, s[42:43]
	s_xor_b64 s[42:43], exec, vcc
	s_cbranch_execz .LBB6_6120
; %bb.6056:                             ;   in Loop: Header=BB6_5671 Depth=3
	v_cmp_eq_u16_sdwa s[38:39], v2, s80 src0_sel:BYTE_0 src1_sel:DWORD
	s_mov_b64 s[40:41], -1
	s_and_saveexec_b64 vcc, s[38:39]
; %bb.6057:                             ;   in Loop: Header=BB6_5671 Depth=3
	s_xor_b64 s[40:41], exec, -1
; %bb.6058:                             ;   in Loop: Header=BB6_5671 Depth=3
	s_or_b64 exec, exec, vcc
	s_and_b64 s[40:41], s[40:41], exec
	s_or_saveexec_b64 s[42:43], s[42:43]
	v_bfrev_b32_e32 v0, 1
	s_xor_b64 exec, exec, s[42:43]
	s_cbranch_execnz .LBB6_6121
.LBB6_6059:                             ;   in Loop: Header=BB6_5671 Depth=3
	s_or_b64 exec, exec, s[42:43]
	s_and_saveexec_b64 s[42:43], s[40:41]
	s_cbranch_execz .LBB6_6061
.LBB6_6060:                             ;   in Loop: Header=BB6_5671 Depth=3
	v_and_b32_e32 v0, 7, v2
	v_ffbh_u32_e32 v8, v0
	v_min_u32_e32 v48, 32, v8
	v_subrev_u32_e32 v8, 28, v48
	v_lshlrev_b64 v[8:9], v8, v[2:3]
	v_and_b32_e32 v20, 0x7f, v2
	v_bfe_u32 v39, v2, 3, 4
	v_sub_u32_e32 v9, 29, v48
	v_and_b32_e32 v8, 7, v8
	v_cmp_gt_u32_e32 vcc, 8, v20
	v_cndmask_b32_e32 v9, v39, v9, vcc
	v_cndmask_b32_e32 v0, v0, v8, vcc
	v_lshlrev_b32_e32 v2, 24, v2
	v_bfrev_b32_e32 v8, 60
	v_lshlrev_b32_e32 v0, 20, v0
	v_and_b32_e32 v2, 0x80000000, v2
	v_lshl_add_u32 v8, v9, 23, v8
	v_or3_b32 v0, v2, v8, v0
	v_cmp_ne_u32_e32 vcc, s81, v20
	v_mov_b32_e32 v2, 0x7f800001
	v_cndmask_b32_e32 v0, v2, v0, vcc
.LBB6_6061:                             ;   in Loop: Header=BB6_5671 Depth=3
	s_or_b64 exec, exec, s[42:43]
	v_mul_f32_e32 v0, v1, v0
	v_and_b32_e32 v20, 0x7f800000, v0
	v_cmp_ne_u64_e32 vcc, s[62:63], v[20:21]
                                        ; implicit-def: $vgpr39
	s_and_saveexec_b64 s[40:41], vcc
	s_xor_b64 s[42:43], exec, s[40:41]
	s_cbranch_execz .LBB6_6075
; %bb.6062:                             ;   in Loop: Header=BB6_5671 Depth=3
	v_and_b32_e32 v20, 0x7fffffff, v0
	v_cmp_gt_u64_e32 vcc, s[78:79], v[20:21]
	v_and_b32_sdwa v8, v0, s80 dst_sel:DWORD dst_unused:UNUSED_PAD src0_sel:BYTE_3 src1_sel:DWORD
                                        ; implicit-def: $vgpr39
	s_and_saveexec_b64 s[40:41], vcc
	s_xor_b64 s[38:39], exec, s[40:41]
	s_cbranch_execz .LBB6_6072
; %bb.6063:                             ;   in Loop: Header=BB6_5671 Depth=3
	v_mov_b32_e32 v39, 0
	v_cmp_ne_u32_e32 vcc, 0, v0
	s_and_saveexec_b64 s[48:49], vcc
	s_cbranch_execz .LBB6_6071
; %bb.6064:                             ;   in Loop: Header=BB6_5671 Depth=3
	v_bfe_u32 v9, v0, 23, 8
	v_and_b32_e32 v1, 0x7fffff, v0
	v_cmp_gt_u32_e64 s[40:41], s47, v9
	v_sub_u32_e32 v0, 0x79, v9
	v_cmp_eq_u32_e32 vcc, 0, v9
	v_cndmask_b32_e64 v0, 0, v0, s[40:41]
	v_mov_b32_e32 v20, 0x78
	v_cndmask_b32_e32 v39, v0, v20, vcc
	v_or_b32_e32 v2, 0x800000, v1
	v_add_u32_e32 v0, 20, v39
	v_cndmask_b32_e32 v20, v2, v1, vcc
	v_lshlrev_b64 v[0:1], v0, -1
	v_add_u32_e32 v2, 19, v39
	s_waitcnt vmcnt(0)
	v_lshlrev_b64 v[48:49], v2, 1
	v_bfi_b32 v1, v1, 0, 0
	v_bfi_b32 v0, v0, 0, v20
	v_cmp_eq_u64_e64 s[40:41], v[0:1], v[48:49]
	v_lshrrev_b64 v[0:1], v39, v[20:21]
	v_mov_b32_e32 v2, v1
	v_mov_b32_e32 v1, v0
	s_and_saveexec_b64 s[50:51], s[40:41]
; %bb.6065:                             ;   in Loop: Header=BB6_5671 Depth=3
	v_bfe_u32 v1, v0, 20, 1
	v_add_co_u32_e64 v1, s[40:41], v0, v1
	v_add_co_u32_e64 v1, s[40:41], -1, v1
; %bb.6066:                             ;   in Loop: Header=BB6_5671 Depth=3
	s_or_b64 exec, exec, s[50:51]
	v_add_u32_e32 v2, 0xffffff81, v9
	v_mov_b32_e32 v9, 0xffffff82
	v_cndmask_b32_e32 v2, v2, v9, vcc
	v_lshrrev_b32_e32 v9, 23, v0
	v_add3_u32 v39, v39, v2, v9
	v_add_u32_e32 v9, 6, v39
	v_and_b32_e32 v1, 0xfffff, v1
	v_add_u32_e32 v20, v1, v0
	v_cmp_ne_u32_e32 vcc, 0, v9
                                        ; implicit-def: $vgpr0_vgpr1
                                        ; implicit-def: $vgpr2
	s_and_saveexec_b64 s[40:41], vcc
	s_xor_b64 s[40:41], exec, s[40:41]
; %bb.6067:                             ;   in Loop: Header=BB6_5671 Depth=3
	v_cmp_lt_u64_e32 vcc, s[88:89], v[20:21]
	v_add_u32_e32 v0, 7, v39
	v_cndmask_b32_e32 v2, v9, v0, vcc
	v_cndmask_b32_e64 v0, 0, 1, vcc
	v_lshrrev_b64 v[0:1], v0, v[20:21]
; %bb.6068:                             ;   in Loop: Header=BB6_5671 Depth=3
	s_or_saveexec_b64 s[40:41], s[40:41]
	buffer_load_dword v49, off, s[0:3], s33 offset:92 ; 4-byte Folded Reload
	s_xor_b64 exec, exec, s[40:41]
; %bb.6069:                             ;   in Loop: Header=BB6_5671 Depth=3
	v_mov_b32_e32 v0, v20
	v_bfe_u32 v2, v20, 23, 1
	v_mov_b32_e32 v1, v21
; %bb.6070:                             ;   in Loop: Header=BB6_5671 Depth=3
	s_or_b64 exec, exec, s[40:41]
	v_lshrrev_b64 v[0:1], 20, v[0:1]
	v_cmp_gt_i32_e32 vcc, 16, v2
	v_cndmask_b32_e32 v1, 0, v1, vcc
	v_cndmask_b32_e32 v0, 7, v0, vcc
	v_cmp_eq_u64_e64 s[40:41], 0, v[0:1]
	v_min_i32_e32 v1, 15, v2
	v_lshlrev_b32_e32 v1, 3, v1
	v_cmp_eq_u32_e32 vcc, 0, v2
	v_and_b32_e32 v1, 0xf8, v1
	v_and_or_b32 v0, v0, 7, v1
	s_and_b64 s[40:41], vcc, s[40:41]
	v_cndmask_b32_e64 v0, v0, 0, s[40:41]
	v_or_b32_e32 v39, v0, v8
.LBB6_6071:                             ;   in Loop: Header=BB6_5671 Depth=3
	s_or_b64 exec, exec, s[48:49]
                                        ; implicit-def: $vgpr8
.LBB6_6072:                             ;   in Loop: Header=BB6_5671 Depth=3
	s_andn2_saveexec_b64 s[40:41], s[38:39]
; %bb.6073:                             ;   in Loop: Header=BB6_5671 Depth=3
	v_or_b32_e32 v39, 0x7e, v8
; %bb.6074:                             ;   in Loop: Header=BB6_5671 Depth=3
	s_or_b64 exec, exec, s[40:41]
                                        ; implicit-def: $vgpr0
.LBB6_6075:                             ;   in Loop: Header=BB6_5671 Depth=3
	s_andn2_saveexec_b64 s[40:41], s[42:43]
; %bb.6076:                             ;   in Loop: Header=BB6_5671 Depth=3
	v_or_b32_sdwa v39, v0, s81 dst_sel:DWORD dst_unused:UNUSED_PAD src0_sel:BYTE_3 src1_sel:DWORD
; %bb.6077:                             ;   in Loop: Header=BB6_5671 Depth=3
	s_or_b64 exec, exec, s[40:41]
	v_cmp_lt_u64_e32 vcc, s[56:57], v[14:15]
	v_mov_b32_e32 v1, 0
	s_and_saveexec_b64 s[40:41], vcc
	s_cbranch_execz .LBB6_6083
; %bb.6078:                             ;   in Loop: Header=BB6_5671 Depth=3
	v_lshrrev_b32_e32 v0, 24, v15
	v_cmp_ne_u32_e32 vcc, s80, v0
	v_bfrev_b32_e32 v1, 1
	s_and_saveexec_b64 s[42:43], vcc
	s_cbranch_execz .LBB6_6082
; %bb.6079:                             ;   in Loop: Header=BB6_5671 Depth=3
	v_bfe_u32 v2, v15, 24, 7
	v_cmp_ne_u32_e32 vcc, s81, v2
	v_mov_b32_e32 v1, 0x7f800001
	s_and_saveexec_b64 s[38:39], vcc
	s_cbranch_execz .LBB6_6081
; %bb.6080:                             ;   in Loop: Header=BB6_5671 Depth=3
	v_and_b32_e32 v8, 7, v0
	v_ffbh_u32_e32 v1, v8
	v_min_u32_e32 v14, 32, v1
	v_subrev_u32_e32 v1, 28, v14
	v_lshrrev_b32_e32 v9, 3, v2
	v_cmp_gt_u32_e32 vcc, 8, v2
	v_lshlrev_b64 v[1:2], v1, v[0:1]
	v_sub_u32_e32 v2, 29, v14
	v_and_b32_e32 v1, 7, v1
	v_cndmask_b32_e32 v2, v9, v2, vcc
	v_cndmask_b32_e32 v1, v8, v1, vcc
	v_lshlrev_b32_e32 v0, 24, v0
	v_bfrev_b32_e32 v8, 60
	v_lshlrev_b32_e32 v1, 20, v1
	v_and_b32_e32 v0, 0x80000000, v0
	v_lshl_add_u32 v2, v2, 23, v8
	v_or3_b32 v1, v0, v2, v1
.LBB6_6081:                             ;   in Loop: Header=BB6_5671 Depth=3
	s_or_b64 exec, exec, s[38:39]
.LBB6_6082:                             ;   in Loop: Header=BB6_5671 Depth=3
	s_or_b64 exec, exec, s[42:43]
.LBB6_6083:                             ;   in Loop: Header=BB6_5671 Depth=3
	s_or_b64 exec, exec, s[40:41]
	v_bfe_u32 v2, v11, 24, 3
	v_ffbh_u32_e32 v8, v2
	v_min_u32_e32 v20, 32, v8
	v_lshrrev_b32_e32 v0, 24, v11
	v_subrev_u32_e32 v8, 28, v20
	v_lshlrev_b64 v[8:9], v8, v[0:1]
	v_bfe_u32 v14, v11, 24, 7
	v_bfe_u32 v15, v0, 3, 4
	v_sub_u32_e32 v9, 29, v20
	v_and_b32_e32 v8, 7, v8
	v_cmp_gt_u32_e32 vcc, 8, v14
	v_cndmask_b32_e32 v9, v15, v9, vcc
	v_cndmask_b32_e32 v2, v2, v8, vcc
	v_bfrev_b32_e32 v15, 60
	v_lshlrev_b32_e32 v2, 20, v2
	v_and_b32_e32 v8, 0x80000000, v11
	v_lshl_add_u32 v9, v9, 23, v15
	v_or3_b32 v2, v8, v9, v2
	v_cmp_ne_u32_e32 vcc, s81, v14
	v_mov_b32_e32 v8, 0x7f800001
	v_cndmask_b32_e32 v2, v8, v2, vcc
	v_cmp_ne_u32_e32 vcc, s80, v0
	v_bfrev_b32_e32 v0, 1
	v_cndmask_b32_e32 v0, v0, v2, vcc
	v_cmp_lt_u64_e32 vcc, s[56:57], v[10:11]
	v_cndmask_b32_e32 v0, 0, v0, vcc
	v_mul_f32_e32 v1, v0, v1
	v_and_b32_e32 v20, 0x7f800000, v1
	v_cmp_ne_u64_e32 vcc, s[62:63], v[20:21]
                                        ; implicit-def: $vgpr0
	s_and_saveexec_b64 s[40:41], vcc
	s_xor_b64 s[42:43], exec, s[40:41]
	s_cbranch_execz .LBB6_6097
; %bb.6084:                             ;   in Loop: Header=BB6_5671 Depth=3
	v_and_b32_e32 v20, 0x7fffffff, v1
	v_cmp_gt_u64_e32 vcc, s[78:79], v[20:21]
	v_and_b32_sdwa v8, v1, s80 dst_sel:DWORD dst_unused:UNUSED_PAD src0_sel:BYTE_3 src1_sel:DWORD
                                        ; implicit-def: $vgpr0
	s_and_saveexec_b64 s[40:41], vcc
	s_xor_b64 s[38:39], exec, s[40:41]
	s_cbranch_execz .LBB6_6094
; %bb.6085:                             ;   in Loop: Header=BB6_5671 Depth=3
	v_mov_b32_e32 v0, 0
	v_cmp_ne_u32_e32 vcc, 0, v1
	s_and_saveexec_b64 s[48:49], vcc
	s_cbranch_execz .LBB6_6093
; %bb.6086:                             ;   in Loop: Header=BB6_5671 Depth=3
	v_bfe_u32 v9, v1, 23, 8
	v_and_b32_e32 v0, 0x7fffff, v1
	v_cmp_gt_u32_e64 s[40:41], s47, v9
	v_sub_u32_e32 v1, 0x79, v9
	v_cmp_eq_u32_e32 vcc, 0, v9
	v_cndmask_b32_e64 v1, 0, v1, s[40:41]
	v_mov_b32_e32 v10, 0x78
	v_or_b32_e32 v2, 0x800000, v0
	v_cndmask_b32_e32 v10, v1, v10, vcc
	v_cndmask_b32_e32 v20, v2, v0, vcc
	v_add_u32_e32 v0, 20, v10
	v_lshlrev_b64 v[0:1], v0, -1
	v_add_u32_e32 v2, 19, v10
	v_lshlrev_b64 v[14:15], v2, 1
	v_bfi_b32 v1, v1, 0, 0
	v_bfi_b32 v0, v0, 0, v20
	v_cmp_eq_u64_e64 s[40:41], v[0:1], v[14:15]
	v_lshrrev_b64 v[0:1], v10, v[20:21]
	v_mov_b32_e32 v2, v1
	v_mov_b32_e32 v1, v0
	s_and_saveexec_b64 s[50:51], s[40:41]
; %bb.6087:                             ;   in Loop: Header=BB6_5671 Depth=3
	v_bfe_u32 v1, v0, 20, 1
	v_add_co_u32_e64 v1, s[40:41], v0, v1
	v_add_co_u32_e64 v1, s[40:41], -1, v1
; %bb.6088:                             ;   in Loop: Header=BB6_5671 Depth=3
	s_or_b64 exec, exec, s[50:51]
	v_add_u32_e32 v2, 0xffffff81, v9
	v_mov_b32_e32 v9, 0xffffff82
	v_cndmask_b32_e32 v2, v2, v9, vcc
	v_lshrrev_b32_e32 v9, 23, v0
	v_add3_u32 v10, v10, v2, v9
	v_add_u32_e32 v9, 6, v10
	v_and_b32_e32 v1, 0xfffff, v1
	v_add_u32_e32 v20, v1, v0
	v_cmp_ne_u32_e32 vcc, 0, v9
                                        ; implicit-def: $vgpr0_vgpr1
                                        ; implicit-def: $vgpr2
	s_and_saveexec_b64 s[40:41], vcc
	s_xor_b64 s[40:41], exec, s[40:41]
; %bb.6089:                             ;   in Loop: Header=BB6_5671 Depth=3
	v_cmp_lt_u64_e32 vcc, s[88:89], v[20:21]
	v_add_u32_e32 v0, 7, v10
	v_cndmask_b32_e32 v2, v9, v0, vcc
	v_cndmask_b32_e64 v0, 0, 1, vcc
	v_lshrrev_b64 v[0:1], v0, v[20:21]
; %bb.6090:                             ;   in Loop: Header=BB6_5671 Depth=3
	s_andn2_saveexec_b64 s[40:41], s[40:41]
; %bb.6091:                             ;   in Loop: Header=BB6_5671 Depth=3
	v_mov_b32_e32 v0, v20
	v_bfe_u32 v2, v20, 23, 1
	v_mov_b32_e32 v1, v21
; %bb.6092:                             ;   in Loop: Header=BB6_5671 Depth=3
	s_or_b64 exec, exec, s[40:41]
	v_lshrrev_b64 v[0:1], 20, v[0:1]
	v_cmp_gt_i32_e32 vcc, 16, v2
	v_cndmask_b32_e32 v1, 0, v1, vcc
	v_cndmask_b32_e32 v0, 7, v0, vcc
	v_cmp_eq_u64_e64 s[40:41], 0, v[0:1]
	v_min_i32_e32 v1, 15, v2
	v_lshlrev_b32_e32 v1, 3, v1
	v_cmp_eq_u32_e32 vcc, 0, v2
	v_and_b32_e32 v1, 0xf8, v1
	v_and_or_b32 v0, v0, 7, v1
	s_and_b64 s[40:41], vcc, s[40:41]
	v_cndmask_b32_e64 v0, v0, 0, s[40:41]
	v_or_b32_e32 v0, v0, v8
.LBB6_6093:                             ;   in Loop: Header=BB6_5671 Depth=3
	s_or_b64 exec, exec, s[48:49]
                                        ; implicit-def: $vgpr8
.LBB6_6094:                             ;   in Loop: Header=BB6_5671 Depth=3
	s_andn2_saveexec_b64 s[40:41], s[38:39]
; %bb.6095:                             ;   in Loop: Header=BB6_5671 Depth=3
	v_or_b32_e32 v0, 0x7e, v8
; %bb.6096:                             ;   in Loop: Header=BB6_5671 Depth=3
	s_or_b64 exec, exec, s[40:41]
                                        ; implicit-def: $vgpr1
.LBB6_6097:                             ;   in Loop: Header=BB6_5671 Depth=3
	s_andn2_saveexec_b64 s[40:41], s[42:43]
; %bb.6098:                             ;   in Loop: Header=BB6_5671 Depth=3
	v_or_b32_sdwa v0, v1, s81 dst_sel:DWORD dst_unused:UNUSED_PAD src0_sel:BYTE_3 src1_sel:DWORD
; %bb.6099:                             ;   in Loop: Header=BB6_5671 Depth=3
	s_or_b64 exec, exec, s[40:41]
	v_lshl_or_b32 v1, v18, 8, v3
	v_lshlrev_b32_e32 v2, 16, v19
	v_lshlrev_b32_e32 v3, 24, v34
	v_or3_b32 v9, v1, v2, v3
	v_lshl_or_b32 v1, v31, 8, v30
	v_lshlrev_b32_e32 v2, 16, v32
	v_lshlrev_b32_e32 v3, 24, v33
	v_or3_b32 v8, v1, v2, v3
	;; [unrolled: 4-line block ×3, first 2 shown]
	v_lshlrev_b32_e32 v0, 24, v0
	v_lshlrev_b32_e32 v1, 16, v39
	v_lshl_or_b32 v2, v13, 8, v12
	v_or3_b32 v11, v2, v1, v0
	s_mov_b64 s[48:49], 0
	s_mov_b64 s[38:39], -1
.LBB6_6100:                             ;   Parent Loop BB6_47 Depth=1
                                        ;     Parent Loop BB6_3791 Depth=2
                                        ;       Parent Loop BB6_5671 Depth=3
                                        ; =>      This Inner Loop Header: Depth=4
	s_cmp_eq_u32 s48, 1
	s_cselect_b64 s[40:41], -1, 0
	v_cndmask_b32_e64 v1, v27, v29, s[40:41]
	v_cndmask_b32_e64 v0, v26, v28, s[40:41]
	global_store_dwordx4 v[0:1], v[8:11], off glc slc
	v_add_co_u32_e32 v0, vcc, 0x400, v0
	s_cmp_eq_u32 s48, 0
	v_addc_co_u32_e32 v1, vcc, 0, v1, vcc
	s_cselect_b64 vcc, -1, 0
	s_and_b64 s[42:43], exec, s[38:39]
	s_mov_b64 s[48:49], 1
	v_cndmask_b32_e64 v28, v28, v0, s[40:41]
	s_mov_b64 s[38:39], 0
	v_cndmask_b32_e64 v29, v29, v1, s[40:41]
	v_cndmask_b32_e32 v27, v27, v1, vcc
	v_cndmask_b32_e32 v26, v26, v0, vcc
	s_mov_b64 vcc, s[42:43]
	s_cbranch_vccnz .LBB6_6100
; %bb.6101:                             ;   in Loop: Header=BB6_5671 Depth=3
	buffer_load_dword v0, off, s[0:3], s33 offset:280 ; 4-byte Folded Reload
	buffer_load_dword v1, off, s[0:3], s33 offset:284 ; 4-byte Folded Reload
	s_waitcnt vmcnt(3)
	v_sub_u32_e32 v23, v23, v49
	s_waitcnt vmcnt(1)
	v_add_co_u32_e32 v4, vcc, v4, v0
	s_waitcnt vmcnt(0)
	v_addc_co_u32_e32 v5, vcc, v5, v1, vcc
	v_add_co_u32_e32 v16, vcc, v16, v0
	buffer_load_dword v0, off, s[0:3], s33 offset:272 ; 4-byte Folded Reload
	v_addc_co_u32_e32 v17, vcc, v17, v1, vcc
	buffer_load_dword v1, off, s[0:3], s33 offset:276 ; 4-byte Folded Reload
	s_waitcnt vmcnt(1)
	v_add_co_u32_e32 v26, vcc, v26, v0
	s_waitcnt vmcnt(0)
	v_addc_co_u32_e32 v27, vcc, v27, v1, vcc
	v_add_co_u32_e32 v28, vcc, v28, v0
	buffer_load_dword v0, off, s[0:3], s33 offset:236 ; 4-byte Folded Reload
	v_addc_co_u32_e32 v29, vcc, v29, v1, vcc
	s_waitcnt vmcnt(0)
	v_sub_u32_e32 v25, v25, v0
	v_cmp_gt_i32_e32 vcc, 16, v25
	s_or_b64 s[36:37], vcc, s[36:37]
	s_andn2_b64 exec, exec, s[36:37]
	s_cbranch_execnz .LBB6_5671
	s_branch .LBB6_6122
.LBB6_6102:                             ;   in Loop: Header=BB6_5671 Depth=3
	s_or_saveexec_b64 s[42:43], s[42:43]
	v_bfrev_b32_e32 v1, 1
	s_xor_b64 exec, exec, s[42:43]
	s_cbranch_execz .LBB6_5681
.LBB6_6103:                             ;   in Loop: Header=BB6_5671 Depth=3
	v_cmp_ne_u16_sdwa vcc, v8, v21 src0_sel:BYTE_0 src1_sel:DWORD
	s_andn2_b64 s[40:41], s[40:41], exec
	s_and_b64 vcc, vcc, exec
	v_mov_b32_e32 v1, 0
	s_or_b64 s[40:41], s[40:41], vcc
	s_or_b64 exec, exec, s[42:43]
	s_and_saveexec_b64 s[42:43], s[40:41]
	s_cbranch_execnz .LBB6_5682
	s_branch .LBB6_5683
.LBB6_6104:                             ;   in Loop: Header=BB6_5671 Depth=3
	s_or_saveexec_b64 s[42:43], s[42:43]
	v_bfrev_b32_e32 v0, 1
	s_xor_b64 exec, exec, s[42:43]
	s_cbranch_execz .LBB6_5709
.LBB6_6105:                             ;   in Loop: Header=BB6_5671 Depth=3
	v_cmp_ne_u16_e32 vcc, 0, v20
	s_andn2_b64 s[40:41], s[40:41], exec
	s_and_b64 vcc, vcc, exec
	v_mov_b32_e32 v0, 0
	s_or_b64 s[40:41], s[40:41], vcc
	s_or_b64 exec, exec, s[42:43]
	s_and_saveexec_b64 s[42:43], s[40:41]
	s_cbranch_execnz .LBB6_5710
	s_branch .LBB6_5711
.LBB6_6106:                             ;   in Loop: Header=BB6_5671 Depth=3
	s_or_saveexec_b64 s[42:43], s[42:43]
	v_bfrev_b32_e32 v0, 1
	s_xor_b64 exec, exec, s[42:43]
	s_cbranch_execz .LBB6_5737
.LBB6_6107:                             ;   in Loop: Header=BB6_5671 Depth=3
	v_cmp_ne_u16_sdwa vcc, v2, v21 src0_sel:BYTE_0 src1_sel:DWORD
	s_andn2_b64 s[40:41], s[40:41], exec
	s_and_b64 vcc, vcc, exec
	v_mov_b32_e32 v0, 0
	s_or_b64 s[40:41], s[40:41], vcc
	s_or_b64 exec, exec, s[42:43]
	s_and_saveexec_b64 s[42:43], s[40:41]
	s_cbranch_execnz .LBB6_5738
	s_branch .LBB6_5739
.LBB6_6108:                             ;   in Loop: Header=BB6_5671 Depth=3
	s_or_saveexec_b64 s[42:43], s[42:43]
	v_bfrev_b32_e32 v0, 1
	s_xor_b64 exec, exec, s[42:43]
	s_cbranch_execz .LBB6_5817
.LBB6_6109:                             ;   in Loop: Header=BB6_5671 Depth=3
	v_cmp_ne_u16_e32 vcc, 0, v20
	s_andn2_b64 s[40:41], s[40:41], exec
	s_and_b64 vcc, vcc, exec
	v_mov_b32_e32 v0, 0
	s_or_b64 s[40:41], s[40:41], vcc
	s_or_b64 exec, exec, s[42:43]
	s_and_saveexec_b64 s[42:43], s[40:41]
	s_cbranch_execnz .LBB6_5818
	s_branch .LBB6_5819
.LBB6_6110:                             ;   in Loop: Header=BB6_5671 Depth=3
	s_or_saveexec_b64 s[42:43], s[42:43]
	v_bfrev_b32_e32 v0, 1
	s_xor_b64 exec, exec, s[42:43]
	s_cbranch_execz .LBB6_5845
.LBB6_6111:                             ;   in Loop: Header=BB6_5671 Depth=3
	v_cmp_ne_u16_sdwa vcc, v2, v21 src0_sel:BYTE_0 src1_sel:DWORD
	s_andn2_b64 s[40:41], s[40:41], exec
	s_and_b64 vcc, vcc, exec
	v_mov_b32_e32 v0, 0
	s_or_b64 s[40:41], s[40:41], vcc
	s_or_b64 exec, exec, s[42:43]
	s_and_saveexec_b64 s[42:43], s[40:41]
	s_cbranch_execnz .LBB6_5846
	s_branch .LBB6_5847
.LBB6_6112:                             ;   in Loop: Header=BB6_5671 Depth=3
	s_or_saveexec_b64 s[42:43], s[42:43]
	v_bfrev_b32_e32 v1, 1
	s_xor_b64 exec, exec, s[42:43]
	s_cbranch_execz .LBB6_5895
.LBB6_6113:                             ;   in Loop: Header=BB6_5671 Depth=3
	v_cmp_ne_u16_sdwa vcc, v10, v21 src0_sel:BYTE_0 src1_sel:DWORD
	s_andn2_b64 s[40:41], s[40:41], exec
	s_and_b64 vcc, vcc, exec
	v_mov_b32_e32 v1, 0
	s_or_b64 s[40:41], s[40:41], vcc
	s_or_b64 exec, exec, s[42:43]
	s_and_saveexec_b64 s[42:43], s[40:41]
	s_cbranch_execnz .LBB6_5896
	s_branch .LBB6_5897
.LBB6_6114:                             ;   in Loop: Header=BB6_5671 Depth=3
	s_or_saveexec_b64 s[42:43], s[42:43]
	v_bfrev_b32_e32 v0, 1
	s_xor_b64 exec, exec, s[42:43]
	s_cbranch_execz .LBB6_5923
.LBB6_6115:                             ;   in Loop: Header=BB6_5671 Depth=3
	v_cmp_ne_u16_e32 vcc, 0, v20
	s_andn2_b64 s[40:41], s[40:41], exec
	s_and_b64 vcc, vcc, exec
	v_mov_b32_e32 v0, 0
	s_or_b64 s[40:41], s[40:41], vcc
	s_or_b64 exec, exec, s[42:43]
	s_and_saveexec_b64 s[42:43], s[40:41]
	s_cbranch_execnz .LBB6_5924
	s_branch .LBB6_5925
.LBB6_6116:                             ;   in Loop: Header=BB6_5671 Depth=3
	s_or_saveexec_b64 s[42:43], s[42:43]
	v_bfrev_b32_e32 v0, 1
	s_xor_b64 exec, exec, s[42:43]
	s_cbranch_execz .LBB6_5951
.LBB6_6117:                             ;   in Loop: Header=BB6_5671 Depth=3
	v_cmp_ne_u16_sdwa vcc, v2, v21 src0_sel:BYTE_0 src1_sel:DWORD
	s_andn2_b64 s[40:41], s[40:41], exec
	s_and_b64 vcc, vcc, exec
	v_mov_b32_e32 v0, 0
	s_or_b64 s[40:41], s[40:41], vcc
	s_or_b64 exec, exec, s[42:43]
	s_and_saveexec_b64 s[42:43], s[40:41]
	s_cbranch_execnz .LBB6_5952
	s_branch .LBB6_5953
.LBB6_6118:                             ;   in Loop: Header=BB6_5671 Depth=3
	s_or_saveexec_b64 s[42:43], s[42:43]
	v_bfrev_b32_e32 v0, 1
	s_xor_b64 exec, exec, s[42:43]
	s_cbranch_execz .LBB6_6031
.LBB6_6119:                             ;   in Loop: Header=BB6_5671 Depth=3
	v_cmp_ne_u16_e32 vcc, 0, v20
	s_andn2_b64 s[40:41], s[40:41], exec
	s_and_b64 vcc, vcc, exec
	v_mov_b32_e32 v0, 0
	s_or_b64 s[40:41], s[40:41], vcc
	s_or_b64 exec, exec, s[42:43]
	s_and_saveexec_b64 s[42:43], s[40:41]
	s_cbranch_execnz .LBB6_6032
	s_branch .LBB6_6033
.LBB6_6120:                             ;   in Loop: Header=BB6_5671 Depth=3
	s_or_saveexec_b64 s[42:43], s[42:43]
	v_bfrev_b32_e32 v0, 1
	s_xor_b64 exec, exec, s[42:43]
	s_cbranch_execz .LBB6_6059
.LBB6_6121:                             ;   in Loop: Header=BB6_5671 Depth=3
	v_cmp_ne_u16_sdwa vcc, v2, v21 src0_sel:BYTE_0 src1_sel:DWORD
	s_andn2_b64 s[40:41], s[40:41], exec
	s_and_b64 vcc, vcc, exec
	v_mov_b32_e32 v0, 0
	s_or_b64 s[40:41], s[40:41], vcc
	s_or_b64 exec, exec, s[42:43]
	s_and_saveexec_b64 s[42:43], s[40:41]
	s_cbranch_execnz .LBB6_6060
	s_branch .LBB6_6061
.LBB6_6122:                             ;   in Loop: Header=BB6_3791 Depth=2
	s_or_b64 exec, exec, s[36:37]
.LBB6_6123:                             ;   in Loop: Header=BB6_3791 Depth=2
	s_or_b64 exec, exec, s[34:35]
	buffer_load_dword v0, off, s[0:3], s33 offset:324 ; 4-byte Folded Reload
	v_mov_b32_e32 v8, 0
	s_mov_b64 s[42:43], 0
                                        ; implicit-def: $vgpr2
	s_waitcnt vmcnt(0)
	v_and_b32_e32 v1, 15, v0
	v_cndmask_b32_e64 v3, v24, v1, s[28:29]
	v_cmp_ne_u32_e32 vcc, 0, v3
                                        ; implicit-def: $vgpr0
	s_and_saveexec_b64 s[40:41], vcc
	s_cbranch_execz .LBB6_6125
; %bb.6124:                             ;   in Loop: Header=BB6_3791 Depth=2
	v_sub_u32_e32 v0, v24, v1
	v_cndmask_b32_e64 v0, 0, v0, s[28:29]
	v_cmp_lt_i32_e32 vcc, 0, v23
	v_add3_u32 v8, v22, v6, v0
	v_cndmask_b32_e32 v0, 0, v49, vcc
	v_sub_u32_e32 v0, v0, v23
	v_lshl_add_u32 v2, v0, 6, v7
	v_ashrrev_i32_e32 v0, 31, v2
	v_lshrrev_b32_e32 v0, 26, v0
	v_add_u32_e32 v0, v2, v0
	v_ashrrev_i32_e32 v0, 6, v0
	s_mov_b64 s[42:43], exec
.LBB6_6125:                             ;   in Loop: Header=BB6_3791 Depth=2
	s_or_b64 exec, exec, s[40:41]
	s_and_b64 s[28:29], s[42:43], exec
.LBB6_6126:                             ;   in Loop: Header=BB6_3791 Depth=2
	s_or_b64 exec, exec, s[30:31]
	s_and_saveexec_b64 s[42:43], s[28:29]
	s_cbranch_execz .LBB6_7193
.LBB6_6127:                             ;   in Loop: Header=BB6_3791 Depth=2
	s_waitcnt vmcnt(2)
	v_ashrrev_i32_e32 v1, 31, v3
	v_lshrrev_b32_e32 v1, 21, v1
	v_add_u32_e32 v1, v3, v1
	v_ashrrev_i32_e32 v4, 11, v1
	s_waitcnt vmcnt(0)
	v_sub_u32_e32 v14, v4, v0
	v_ashrrev_i32_e32 v1, 31, v2
	v_cmp_lt_i32_e32 vcc, 0, v14
	v_lshrrev_b32_e32 v1, 26, v1
	s_and_saveexec_b64 s[40:41], vcc
	s_cbranch_execz .LBB6_7155
; %bb.6128:                             ;   in Loop: Header=BB6_3791 Depth=2
	buffer_store_dword v4, off, s[0:3], s33 offset:308 ; 4-byte Folded Spill
	buffer_store_dword v3, off, s[0:3], s33 offset:188 ; 4-byte Folded Spill
	;; [unrolled: 1-line block ×3, first 2 shown]
	v_add_u32_e32 v1, v2, v1
	v_and_b32_e32 v1, 0xffffffc0, v1
	buffer_store_dword v2, off, s[0:3], s33 offset:296 ; 4-byte Folded Spill
	v_sub_u32_e32 v1, v2, v1
	v_lshlrev_b32_e32 v0, 11, v0
	buffer_store_dword v8, off, s[0:3], s33 offset:184 ; 4-byte Folded Spill
	v_add3_u32 v2, v8, v1, v0
	buffer_load_dword v0, off, s[0:3], s33 offset:344 ; 4-byte Folded Reload
	buffer_load_dword v1, off, s[0:3], s33 offset:348 ; 4-byte Folded Reload
	v_ashrrev_i32_e32 v3, 31, v2
	s_trap 2
	s_mov_b64 s[30:31], 0
	s_waitcnt vmcnt(1)
	v_add_co_u32_e32 v4, vcc, v2, v0
	s_waitcnt vmcnt(0)
	v_addc_co_u32_e32 v5, vcc, v3, v1, vcc
	ds_read_b64 v[0:1], v0
	buffer_load_dword v6, off, s[0:3], s33 offset:336 ; 4-byte Folded Reload
	buffer_load_dword v7, off, s[0:3], s33 offset:340 ; 4-byte Folded Reload
	v_add_co_u32_e32 v8, vcc, v2, v58
	v_addc_co_u32_e32 v9, vcc, v3, v59, vcc
	s_waitcnt vmcnt(1)
	v_add_co_u32_e32 v10, vcc, v2, v6
	s_waitcnt vmcnt(0)
	v_addc_co_u32_e32 v11, vcc, v3, v7, vcc
	s_waitcnt lgkmcnt(0)
	v_add_co_u32_e32 v12, vcc, v0, v2
	v_addc_co_u32_e32 v13, vcc, v1, v3, vcc
	s_branch .LBB6_6130
.LBB6_6129:                             ;   in Loop: Header=BB6_6130 Depth=3
	s_or_b64 exec, exec, s[28:29]
	flat_store_byte v[4:5], v51 glc slc
	flat_store_byte v[4:5], v22 offset:64 glc slc
	flat_store_byte v[4:5], v25 offset:128 glc slc
	;; [unrolled: 1-line block ×31, first 2 shown]
	flat_store_byte v[8:9], v51 glc slc
	flat_store_byte v[8:9], v22 offset:64 glc slc
	flat_store_byte v[8:9], v25 offset:128 glc slc
	;; [unrolled: 1-line block ×31, first 2 shown]
	buffer_load_dword v0, off, s[0:3], s33 offset:192 ; 4-byte Folded Reload
	buffer_load_dword v49, off, s[0:3], s33 offset:92 ; 4-byte Folded Reload
	s_waitcnt vmcnt(0)
	v_add_co_u32_e32 v10, vcc, v10, v0
	v_addc_co_u32_e32 v11, vcc, 0, v11, vcc
	v_add_co_u32_e32 v12, vcc, v12, v0
	v_addc_co_u32_e32 v13, vcc, 0, v13, vcc
	;; [unrolled: 2-line block ×3, first 2 shown]
	v_sub_u32_e32 v14, v14, v49
	v_cmp_gt_i32_e32 vcc, 1, v14
	s_or_b64 s[30:31], vcc, s[30:31]
	v_add_co_u32_e32 v8, vcc, v8, v0
	v_addc_co_u32_e32 v9, vcc, 0, v9, vcc
	s_andn2_b64 exec, exec, s[30:31]
	s_cbranch_execz .LBB6_7154
.LBB6_6130:                             ;   Parent Loop BB6_47 Depth=1
                                        ;     Parent Loop BB6_3791 Depth=2
                                        ; =>    This Inner Loop Header: Depth=3
	flat_load_ubyte v2, v[10:11] glc slc
	flat_load_ubyte v50, v[10:11] offset:64 glc slc
	flat_load_ubyte v48, v[10:11] offset:128 glc slc
	;; [unrolled: 1-line block ×23, first 2 shown]
	v_mov_b32_e32 v17, 0
	v_mov_b32_e32 v20, 0
	s_waitcnt vmcnt(0) lgkmcnt(0)
	v_cmp_ne_u16_e32 vcc, 0, v2
	buffer_store_dword v0, off, s[0:3], s33 offset:164 ; 4-byte Folded Spill
	flat_load_ubyte v0, v[10:11] offset:1536 glc slc
	s_waitcnt vmcnt(0) lgkmcnt(0)
	buffer_store_dword v0, off, s[0:3], s33 offset:156 ; 4-byte Folded Spill
	flat_load_ubyte v0, v[10:11] offset:1600 glc slc
	s_waitcnt vmcnt(0) lgkmcnt(0)
	buffer_store_dword v0, off, s[0:3], s33 offset:148 ; 4-byte Folded Spill
	flat_load_ubyte v0, v[10:11] offset:1664 glc slc
	s_waitcnt vmcnt(0) lgkmcnt(0)
	buffer_store_dword v0, off, s[0:3], s33 offset:140 ; 4-byte Folded Spill
	flat_load_ubyte v0, v[10:11] offset:1728 glc slc
	s_waitcnt vmcnt(0) lgkmcnt(0)
	buffer_store_dword v0, off, s[0:3], s33 offset:132 ; 4-byte Folded Spill
	flat_load_ubyte v0, v[10:11] offset:1792 glc slc
	s_waitcnt vmcnt(0) lgkmcnt(0)
	buffer_store_dword v0, off, s[0:3], s33 offset:124 ; 4-byte Folded Spill
	flat_load_ubyte v0, v[10:11] offset:1856 glc slc
	s_waitcnt vmcnt(0) lgkmcnt(0)
	buffer_store_dword v0, off, s[0:3], s33 offset:116 ; 4-byte Folded Spill
	flat_load_ubyte v0, v[10:11] offset:1920 glc slc
	s_waitcnt vmcnt(0) lgkmcnt(0)
	buffer_store_dword v0, off, s[0:3], s33 offset:108 ; 4-byte Folded Spill
	flat_load_ubyte v52, v[10:11] offset:1984 glc slc
	flat_load_ubyte v1, v[12:13] glc slc
	flat_load_ubyte v22, v[12:13] offset:64 glc slc
	flat_load_ubyte v25, v[12:13] offset:128 glc slc
	;; [unrolled: 1-line block ×22, first 2 shown]
	s_waitcnt vmcnt(0) lgkmcnt(0)
	buffer_store_dword v0, off, s[0:3], s33 offset:168 ; 4-byte Folded Spill
	flat_load_ubyte v0, v[12:13] offset:1472 glc slc
	s_waitcnt vmcnt(0) lgkmcnt(0)
	buffer_store_dword v0, off, s[0:3], s33 offset:160 ; 4-byte Folded Spill
	flat_load_ubyte v0, v[12:13] offset:1536 glc slc
	;; [unrolled: 3-line block ×8, first 2 shown]
	flat_load_ubyte v55, v[12:13] offset:1984 glc slc
	s_mov_b64 s[28:29], exec
	s_and_b64 vcc, s[28:29], vcc
	s_waitcnt vmcnt(0) lgkmcnt(0)
	buffer_store_dword v55, off, s[0:3], s33 offset:96 ; 4-byte Folded Spill
	buffer_store_dword v52, off, s[0:3], s33 offset:100 ; 4-byte Folded Spill
	;; [unrolled: 1-line block ×3, first 2 shown]
	s_mov_b64 exec, vcc
	s_cbranch_execz .LBB6_6136
; %bb.6131:                             ;   in Loop: Header=BB6_6130 Depth=3
	v_cmp_ne_u16_e32 vcc, s80, v2
	v_bfrev_b32_e32 v20, 1
	s_and_saveexec_b64 s[34:35], vcc
	s_cbranch_execz .LBB6_6135
; %bb.6132:                             ;   in Loop: Header=BB6_6130 Depth=3
	v_and_b32_e32 v0, 0xffff, v2
	v_and_b32_e32 v51, 0x7f, v0
	v_cmp_ne_u32_e32 vcc, s81, v51
	v_mov_b32_e32 v20, 0x7f800001
	s_and_saveexec_b64 s[36:37], vcc
	s_cbranch_execz .LBB6_6134
; %bb.6133:                             ;   in Loop: Header=BB6_6130 Depth=3
	v_and_b32_e32 v20, 7, v0
	v_lshrrev_b32_e32 v54, 3, v51
	v_cmp_gt_u32_e32 vcc, 8, v51
	v_ffbh_u32_e32 v51, v20
	v_min_u32_e32 v55, 32, v51
	v_subrev_u32_e32 v51, 28, v55
	v_lshlrev_b64 v[51:52], v51, v[0:1]
	v_sub_u32_e32 v0, 29, v55
	buffer_load_dword v55, off, s[0:3], s33 offset:96 ; 4-byte Folded Reload
	v_cndmask_b32_e32 v0, v54, v0, vcc
	buffer_load_dword v54, off, s[0:3], s33 offset:104 ; 4-byte Folded Reload
	buffer_load_dword v52, off, s[0:3], s33 offset:100 ; 4-byte Folded Reload
	v_and_b32_e32 v51, 7, v51
	v_cndmask_b32_e32 v20, v20, v51, vcc
	v_lshlrev_b32_e32 v2, 24, v2
	v_bfrev_b32_e32 v51, 60
	v_lshlrev_b32_e32 v20, 20, v20
	v_and_b32_e32 v2, 0x80000000, v2
	v_lshl_add_u32 v0, v0, 23, v51
	v_or3_b32 v20, v2, v0, v20
.LBB6_6134:                             ;   in Loop: Header=BB6_6130 Depth=3
	s_or_b64 exec, exec, s[36:37]
.LBB6_6135:                             ;   in Loop: Header=BB6_6130 Depth=3
	s_or_b64 exec, exec, s[34:35]
.LBB6_6136:                             ;   in Loop: Header=BB6_6130 Depth=3
	s_or_b64 exec, exec, s[28:29]
	v_and_b32_e32 v0, 0xff, v1
	v_cmp_ne_u16_e32 vcc, 0, v0
	s_and_saveexec_b64 s[28:29], vcc
	s_cbranch_execz .LBB6_6142
; %bb.6137:                             ;   in Loop: Header=BB6_6130 Depth=3
	v_cmp_ne_u16_e32 vcc, s80, v0
	v_bfrev_b32_e32 v17, 1
	s_and_saveexec_b64 s[34:35], vcc
	s_cbranch_execz .LBB6_6141
; %bb.6138:                             ;   in Loop: Header=BB6_6130 Depth=3
	v_and_b32_e32 v2, 0x7f, v1
	v_cmp_ne_u32_e32 vcc, s81, v2
	v_mov_b32_e32 v17, 0x7f800001
	s_and_saveexec_b64 s[36:37], vcc
	s_cbranch_execz .LBB6_6140
; %bb.6139:                             ;   in Loop: Header=BB6_6130 Depth=3
	v_and_b32_e32 v17, 7, v0
	s_waitcnt vmcnt(1)
	v_lshrrev_b32_e32 v54, 3, v2
	v_cmp_gt_u32_e32 vcc, 8, v2
	v_ffbh_u32_e32 v2, v17
	v_min_u32_e32 v2, 32, v2
	v_subrev_u32_e32 v51, 28, v2
	s_waitcnt vmcnt(0)
	v_lshlrev_b64 v[51:52], v51, v[0:1]
	v_sub_u32_e32 v0, 29, v2
	v_cndmask_b32_e32 v0, v54, v0, vcc
	buffer_load_dword v54, off, s[0:3], s33 offset:104 ; 4-byte Folded Reload
	buffer_load_dword v52, off, s[0:3], s33 offset:100 ; 4-byte Folded Reload
	v_and_b32_e32 v2, 7, v51
	v_cndmask_b32_e32 v2, v17, v2, vcc
	v_lshlrev_b32_e32 v1, 24, v1
	v_bfrev_b32_e32 v17, 60
	v_lshlrev_b32_e32 v2, 20, v2
	v_and_b32_e32 v1, 0x80000000, v1
	v_lshl_add_u32 v0, v0, 23, v17
	v_or3_b32 v17, v1, v0, v2
.LBB6_6140:                             ;   in Loop: Header=BB6_6130 Depth=3
	s_or_b64 exec, exec, s[36:37]
.LBB6_6141:                             ;   in Loop: Header=BB6_6130 Depth=3
	s_or_b64 exec, exec, s[34:35]
.LBB6_6142:                             ;   in Loop: Header=BB6_6130 Depth=3
	s_or_b64 exec, exec, s[28:29]
	v_mul_f32_e32 v0, v20, v17
	v_and_b32_e32 v20, 0x7f800000, v0
	v_cmp_ne_u64_e32 vcc, s[62:63], v[20:21]
                                        ; implicit-def: $vgpr51
	s_and_saveexec_b64 s[28:29], vcc
	s_xor_b64 s[34:35], exec, s[28:29]
	s_cbranch_execz .LBB6_6160
; %bb.6143:                             ;   in Loop: Header=BB6_6130 Depth=3
	v_and_b32_e32 v20, 0x7fffffff, v0
	v_cmp_gt_u64_e32 vcc, s[78:79], v[20:21]
	v_and_b32_sdwa v17, v0, s80 dst_sel:DWORD dst_unused:UNUSED_PAD src0_sel:BYTE_3 src1_sel:DWORD
                                        ; implicit-def: $vgpr51
	s_and_saveexec_b64 s[28:29], vcc
	s_xor_b64 s[36:37], exec, s[28:29]
	s_cbranch_execz .LBB6_6157
; %bb.6144:                             ;   in Loop: Header=BB6_6130 Depth=3
	v_cmp_ne_u32_e32 vcc, 0, v0
	v_mov_b32_e32 v51, 0
	s_and_saveexec_b64 s[38:39], vcc
	s_cbranch_execz .LBB6_6156
; %bb.6145:                             ;   in Loop: Header=BB6_6130 Depth=3
	v_bfe_u32 v51, v0, 23, 8
	v_and_b32_e32 v1, 0x7fffff, v0
	v_cmp_gt_u32_e64 s[28:29], s47, v51
	v_sub_u32_e32 v0, 0x79, v51
	v_cmp_eq_u32_e32 vcc, 0, v51
	v_cndmask_b32_e64 v0, 0, v0, s[28:29]
	v_mov_b32_e32 v20, 0x78
	s_waitcnt vmcnt(0)
	v_cndmask_b32_e32 v52, v0, v20, vcc
	v_or_b32_e32 v2, 0x800000, v1
	v_add_u32_e32 v0, 20, v52
	v_cndmask_b32_e32 v20, v2, v1, vcc
	v_lshlrev_b64 v[0:1], v0, -1
	v_add_u32_e32 v2, 19, v52
	v_lshlrev_b64 v[54:55], v2, 1
	v_bfi_b32 v1, v1, 0, 0
	v_bfi_b32 v0, v0, 0, v20
	v_cmp_eq_u64_e64 s[28:29], v[0:1], v[54:55]
	v_lshrrev_b64 v[0:1], v52, v[20:21]
	v_mov_b32_e32 v2, v1
	v_mov_b32_e32 v1, v0
	s_and_saveexec_b64 s[48:49], s[28:29]
; %bb.6146:                             ;   in Loop: Header=BB6_6130 Depth=3
	v_bfe_u32 v1, v0, 20, 1
	v_add_co_u32_e64 v1, s[28:29], v0, v1
	v_add_co_u32_e64 v1, s[28:29], -1, v1
; %bb.6147:                             ;   in Loop: Header=BB6_6130 Depth=3
	s_or_b64 exec, exec, s[48:49]
	v_add_u32_e32 v2, 0xffffff81, v51
	v_mov_b32_e32 v20, 0xffffff82
	v_cndmask_b32_e32 v2, v2, v20, vcc
	v_lshrrev_b32_e32 v20, 23, v0
	v_add3_u32 v52, v52, v2, v20
	v_add_u32_e32 v51, 6, v52
	v_and_b32_e32 v1, 0xfffff, v1
	v_add_u32_e32 v20, v1, v0
	v_cmp_ne_u32_e32 vcc, 0, v51
                                        ; implicit-def: $vgpr0_vgpr1
                                        ; implicit-def: $vgpr2
	s_and_saveexec_b64 s[28:29], vcc
	s_xor_b64 s[28:29], exec, s[28:29]
; %bb.6148:                             ;   in Loop: Header=BB6_6130 Depth=3
	v_cmp_lt_u64_e32 vcc, s[88:89], v[20:21]
	v_add_u32_e32 v0, 7, v52
	v_cndmask_b32_e32 v2, v51, v0, vcc
	v_cndmask_b32_e64 v0, 0, 1, vcc
	v_lshrrev_b64 v[0:1], v0, v[20:21]
; %bb.6149:                             ;   in Loop: Header=BB6_6130 Depth=3
	s_or_saveexec_b64 s[28:29], s[28:29]
	buffer_load_dword v55, off, s[0:3], s33 offset:96 ; 4-byte Folded Reload
	buffer_load_dword v52, off, s[0:3], s33 offset:100 ; 4-byte Folded Reload
	buffer_load_dword v54, off, s[0:3], s33 offset:104 ; 4-byte Folded Reload
	s_xor_b64 exec, exec, s[28:29]
; %bb.6150:                             ;   in Loop: Header=BB6_6130 Depth=3
	v_mov_b32_e32 v0, v20
	v_bfe_u32 v2, v20, 23, 1
	v_mov_b32_e32 v1, v21
; %bb.6151:                             ;   in Loop: Header=BB6_6130 Depth=3
	s_or_b64 exec, exec, s[28:29]
	v_lshrrev_b64 v[0:1], 20, v[0:1]
	v_cmp_gt_i32_e32 vcc, 16, v2
	v_cndmask_b32_e32 v1, 0, v1, vcc
	v_cndmask_b32_e32 v0, 7, v0, vcc
	v_cmp_ne_u64_e32 vcc, 0, v[0:1]
	v_cmp_ne_u32_e64 s[28:29], 0, v2
	s_or_b64 s[28:29], s[28:29], vcc
                                        ; implicit-def: $vgpr51
	s_and_saveexec_b64 vcc, s[28:29]
	s_xor_b64 s[28:29], exec, vcc
; %bb.6152:                             ;   in Loop: Header=BB6_6130 Depth=3
	v_min_i32_e32 v1, 15, v2
	v_lshl_or_b32 v1, v1, 3, v17
	v_and_or_b32 v51, v0, 7, v1
                                        ; implicit-def: $vgpr17
; %bb.6153:                             ;   in Loop: Header=BB6_6130 Depth=3
	s_andn2_saveexec_b64 s[28:29], s[28:29]
; %bb.6154:                             ;   in Loop: Header=BB6_6130 Depth=3
	v_mov_b32_e32 v51, v17
; %bb.6155:                             ;   in Loop: Header=BB6_6130 Depth=3
	s_or_b64 exec, exec, s[28:29]
.LBB6_6156:                             ;   in Loop: Header=BB6_6130 Depth=3
	s_or_b64 exec, exec, s[38:39]
                                        ; implicit-def: $vgpr17
.LBB6_6157:                             ;   in Loop: Header=BB6_6130 Depth=3
	s_andn2_saveexec_b64 s[28:29], s[36:37]
; %bb.6158:                             ;   in Loop: Header=BB6_6130 Depth=3
	v_or_b32_e32 v51, 0x7e, v17
; %bb.6159:                             ;   in Loop: Header=BB6_6130 Depth=3
	s_or_b64 exec, exec, s[28:29]
                                        ; implicit-def: $vgpr0
.LBB6_6160:                             ;   in Loop: Header=BB6_6130 Depth=3
	s_andn2_saveexec_b64 s[28:29], s[34:35]
; %bb.6161:                             ;   in Loop: Header=BB6_6130 Depth=3
	v_or_b32_sdwa v51, v0, s81 dst_sel:DWORD dst_unused:UNUSED_PAD src0_sel:BYTE_3 src1_sel:DWORD
; %bb.6162:                             ;   in Loop: Header=BB6_6130 Depth=3
	s_or_b64 exec, exec, s[28:29]
	v_and_b32_e32 v0, 0xff, v50
	v_cmp_ne_u16_e32 vcc, 0, v0
	v_mov_b32_e32 v1, 0
	v_mov_b32_e32 v2, 0
	s_and_saveexec_b64 s[28:29], vcc
	s_cbranch_execz .LBB6_6168
; %bb.6163:                             ;   in Loop: Header=BB6_6130 Depth=3
	v_cmp_ne_u16_e32 vcc, s80, v0
	v_bfrev_b32_e32 v2, 1
	s_and_saveexec_b64 s[34:35], vcc
	s_cbranch_execz .LBB6_6167
; %bb.6164:                             ;   in Loop: Header=BB6_6130 Depth=3
	v_and_b32_e32 v17, 0x7f, v50
	v_cmp_ne_u32_e32 vcc, s81, v17
	v_mov_b32_e32 v2, 0x7f800001
	s_and_saveexec_b64 s[36:37], vcc
	s_cbranch_execz .LBB6_6166
; %bb.6165:                             ;   in Loop: Header=BB6_6130 Depth=3
	v_and_b32_e32 v2, 7, v0
	v_lshrrev_b32_e32 v20, 3, v17
	v_cmp_gt_u32_e32 vcc, 8, v17
	v_ffbh_u32_e32 v17, v2
	v_min_u32_e32 v17, 32, v17
	s_waitcnt vmcnt(0)
	v_subrev_u32_e32 v52, 28, v17
	v_lshlrev_b64 v[54:55], v52, v[0:1]
	buffer_load_dword v55, off, s[0:3], s33 offset:96 ; 4-byte Folded Reload
	v_sub_u32_e32 v0, 29, v17
	v_and_b32_e32 v17, 7, v54
	buffer_load_dword v54, off, s[0:3], s33 offset:104 ; 4-byte Folded Reload
	buffer_load_dword v52, off, s[0:3], s33 offset:100 ; 4-byte Folded Reload
	v_cndmask_b32_e32 v0, v20, v0, vcc
	v_cndmask_b32_e32 v2, v2, v17, vcc
	v_lshlrev_b32_e32 v17, 24, v50
	v_bfrev_b32_e32 v20, 60
	v_lshlrev_b32_e32 v2, 20, v2
	v_and_b32_e32 v17, 0x80000000, v17
	v_lshl_add_u32 v0, v0, 23, v20
	v_or3_b32 v2, v17, v0, v2
.LBB6_6166:                             ;   in Loop: Header=BB6_6130 Depth=3
	s_or_b64 exec, exec, s[36:37]
.LBB6_6167:                             ;   in Loop: Header=BB6_6130 Depth=3
	s_or_b64 exec, exec, s[34:35]
.LBB6_6168:                             ;   in Loop: Header=BB6_6130 Depth=3
	s_or_b64 exec, exec, s[28:29]
	v_and_b32_e32 v0, 0xff, v22
	v_cmp_ne_u16_e32 vcc, 0, v0
	s_and_saveexec_b64 s[28:29], vcc
	s_cbranch_execz .LBB6_6174
; %bb.6169:                             ;   in Loop: Header=BB6_6130 Depth=3
	v_cmp_ne_u16_e32 vcc, s80, v0
	v_bfrev_b32_e32 v1, 1
	s_and_saveexec_b64 s[34:35], vcc
	s_cbranch_execz .LBB6_6173
; %bb.6170:                             ;   in Loop: Header=BB6_6130 Depth=3
	v_and_b32_e32 v17, 0x7f, v22
	v_cmp_ne_u32_e32 vcc, s81, v17
	v_mov_b32_e32 v1, 0x7f800001
	s_and_saveexec_b64 s[36:37], vcc
	s_cbranch_execz .LBB6_6172
; %bb.6171:                             ;   in Loop: Header=BB6_6130 Depth=3
	v_and_b32_e32 v20, 7, v0
	v_ffbh_u32_e32 v1, v20
	v_lshrrev_b32_e32 v50, 3, v17
	v_cmp_gt_u32_e32 vcc, 8, v17
	v_min_u32_e32 v17, 32, v1
	v_subrev_u32_e32 v1, 28, v17
	v_lshlrev_b64 v[0:1], v1, v[0:1]
	v_sub_u32_e32 v1, 29, v17
	v_and_b32_e32 v0, 7, v0
	v_cndmask_b32_e32 v1, v50, v1, vcc
	v_cndmask_b32_e32 v0, v20, v0, vcc
	v_lshlrev_b32_e32 v17, 24, v22
	v_bfrev_b32_e32 v20, 60
	v_lshlrev_b32_e32 v0, 20, v0
	v_and_b32_e32 v17, 0x80000000, v17
	v_lshl_add_u32 v1, v1, 23, v20
	v_or3_b32 v1, v17, v1, v0
.LBB6_6172:                             ;   in Loop: Header=BB6_6130 Depth=3
	s_or_b64 exec, exec, s[36:37]
.LBB6_6173:                             ;   in Loop: Header=BB6_6130 Depth=3
	s_or_b64 exec, exec, s[34:35]
.LBB6_6174:                             ;   in Loop: Header=BB6_6130 Depth=3
	s_or_b64 exec, exec, s[28:29]
	v_mul_f32_e32 v0, v2, v1
	v_and_b32_e32 v20, 0x7f800000, v0
	v_cmp_ne_u64_e32 vcc, s[62:63], v[20:21]
                                        ; implicit-def: $vgpr22
	s_and_saveexec_b64 s[28:29], vcc
	s_xor_b64 s[34:35], exec, s[28:29]
	s_cbranch_execz .LBB6_6192
; %bb.6175:                             ;   in Loop: Header=BB6_6130 Depth=3
	v_and_b32_e32 v20, 0x7fffffff, v0
	v_cmp_gt_u64_e32 vcc, s[78:79], v[20:21]
	v_and_b32_sdwa v17, v0, s80 dst_sel:DWORD dst_unused:UNUSED_PAD src0_sel:BYTE_3 src1_sel:DWORD
                                        ; implicit-def: $vgpr22
	s_and_saveexec_b64 s[28:29], vcc
	s_xor_b64 s[36:37], exec, s[28:29]
	s_cbranch_execz .LBB6_6189
; %bb.6176:                             ;   in Loop: Header=BB6_6130 Depth=3
	v_cmp_ne_u32_e32 vcc, 0, v0
	v_mov_b32_e32 v22, 0
	s_and_saveexec_b64 s[38:39], vcc
	s_cbranch_execz .LBB6_6188
; %bb.6177:                             ;   in Loop: Header=BB6_6130 Depth=3
	v_bfe_u32 v22, v0, 23, 8
	v_and_b32_e32 v1, 0x7fffff, v0
	v_cmp_gt_u32_e64 s[28:29], s47, v22
	v_sub_u32_e32 v0, 0x79, v22
	v_cmp_eq_u32_e32 vcc, 0, v22
	v_cndmask_b32_e64 v0, 0, v0, s[28:29]
	v_mov_b32_e32 v20, 0x78
	v_cndmask_b32_e32 v50, v0, v20, vcc
	v_or_b32_e32 v2, 0x800000, v1
	v_add_u32_e32 v0, 20, v50
	v_cndmask_b32_e32 v20, v2, v1, vcc
	v_lshlrev_b64 v[0:1], v0, -1
	v_add_u32_e32 v2, 19, v50
	s_waitcnt vmcnt(0)
	v_lshlrev_b64 v[54:55], v2, 1
	v_bfi_b32 v1, v1, 0, 0
	v_bfi_b32 v0, v0, 0, v20
	v_cmp_eq_u64_e64 s[28:29], v[0:1], v[54:55]
	v_lshrrev_b64 v[0:1], v50, v[20:21]
	v_mov_b32_e32 v2, v1
	v_mov_b32_e32 v1, v0
	s_and_saveexec_b64 s[48:49], s[28:29]
; %bb.6178:                             ;   in Loop: Header=BB6_6130 Depth=3
	v_bfe_u32 v1, v0, 20, 1
	v_add_co_u32_e64 v1, s[28:29], v0, v1
	v_add_co_u32_e64 v1, s[28:29], -1, v1
; %bb.6179:                             ;   in Loop: Header=BB6_6130 Depth=3
	s_or_b64 exec, exec, s[48:49]
	v_add_u32_e32 v2, 0xffffff81, v22
	v_mov_b32_e32 v20, 0xffffff82
	v_cndmask_b32_e32 v2, v2, v20, vcc
	v_lshrrev_b32_e32 v20, 23, v0
	v_add3_u32 v50, v50, v2, v20
	v_add_u32_e32 v22, 6, v50
	v_and_b32_e32 v1, 0xfffff, v1
	v_add_u32_e32 v20, v1, v0
	v_cmp_ne_u32_e32 vcc, 0, v22
                                        ; implicit-def: $vgpr0_vgpr1
                                        ; implicit-def: $vgpr2
	s_and_saveexec_b64 s[28:29], vcc
	s_xor_b64 s[28:29], exec, s[28:29]
; %bb.6180:                             ;   in Loop: Header=BB6_6130 Depth=3
	v_cmp_lt_u64_e32 vcc, s[88:89], v[20:21]
	v_add_u32_e32 v0, 7, v50
	v_cndmask_b32_e32 v2, v22, v0, vcc
	v_cndmask_b32_e64 v0, 0, 1, vcc
	v_lshrrev_b64 v[0:1], v0, v[20:21]
; %bb.6181:                             ;   in Loop: Header=BB6_6130 Depth=3
	s_or_saveexec_b64 s[28:29], s[28:29]
	buffer_load_dword v55, off, s[0:3], s33 offset:96 ; 4-byte Folded Reload
	buffer_load_dword v52, off, s[0:3], s33 offset:100 ; 4-byte Folded Reload
	;; [unrolled: 1-line block ×3, first 2 shown]
	s_xor_b64 exec, exec, s[28:29]
; %bb.6182:                             ;   in Loop: Header=BB6_6130 Depth=3
	v_mov_b32_e32 v0, v20
	v_bfe_u32 v2, v20, 23, 1
	v_mov_b32_e32 v1, v21
; %bb.6183:                             ;   in Loop: Header=BB6_6130 Depth=3
	s_or_b64 exec, exec, s[28:29]
	v_lshrrev_b64 v[0:1], 20, v[0:1]
	v_cmp_gt_i32_e32 vcc, 16, v2
	v_cndmask_b32_e32 v1, 0, v1, vcc
	v_cndmask_b32_e32 v0, 7, v0, vcc
	v_cmp_ne_u64_e32 vcc, 0, v[0:1]
	v_cmp_ne_u32_e64 s[28:29], 0, v2
	s_or_b64 s[28:29], s[28:29], vcc
                                        ; implicit-def: $vgpr22
	s_and_saveexec_b64 vcc, s[28:29]
	s_xor_b64 s[28:29], exec, vcc
; %bb.6184:                             ;   in Loop: Header=BB6_6130 Depth=3
	v_min_i32_e32 v1, 15, v2
	v_lshl_or_b32 v1, v1, 3, v17
	v_and_or_b32 v22, v0, 7, v1
                                        ; implicit-def: $vgpr17
; %bb.6185:                             ;   in Loop: Header=BB6_6130 Depth=3
	s_andn2_saveexec_b64 s[28:29], s[28:29]
; %bb.6186:                             ;   in Loop: Header=BB6_6130 Depth=3
	v_mov_b32_e32 v22, v17
; %bb.6187:                             ;   in Loop: Header=BB6_6130 Depth=3
	s_or_b64 exec, exec, s[28:29]
.LBB6_6188:                             ;   in Loop: Header=BB6_6130 Depth=3
	s_or_b64 exec, exec, s[38:39]
                                        ; implicit-def: $vgpr17
.LBB6_6189:                             ;   in Loop: Header=BB6_6130 Depth=3
	s_andn2_saveexec_b64 s[28:29], s[36:37]
; %bb.6190:                             ;   in Loop: Header=BB6_6130 Depth=3
	v_or_b32_e32 v22, 0x7e, v17
; %bb.6191:                             ;   in Loop: Header=BB6_6130 Depth=3
	s_or_b64 exec, exec, s[28:29]
                                        ; implicit-def: $vgpr0
.LBB6_6192:                             ;   in Loop: Header=BB6_6130 Depth=3
	s_andn2_saveexec_b64 s[28:29], s[34:35]
; %bb.6193:                             ;   in Loop: Header=BB6_6130 Depth=3
	v_or_b32_sdwa v22, v0, s81 dst_sel:DWORD dst_unused:UNUSED_PAD src0_sel:BYTE_3 src1_sel:DWORD
; %bb.6194:                             ;   in Loop: Header=BB6_6130 Depth=3
	s_or_b64 exec, exec, s[28:29]
	v_and_b32_e32 v0, 0xff, v48
	v_cmp_ne_u16_e32 vcc, 0, v0
	v_mov_b32_e32 v1, 0
	v_mov_b32_e32 v2, 0
	s_and_saveexec_b64 s[28:29], vcc
	s_cbranch_execz .LBB6_6200
; %bb.6195:                             ;   in Loop: Header=BB6_6130 Depth=3
	v_cmp_ne_u16_e32 vcc, s80, v0
	v_bfrev_b32_e32 v2, 1
	s_and_saveexec_b64 s[34:35], vcc
	s_cbranch_execz .LBB6_6199
; %bb.6196:                             ;   in Loop: Header=BB6_6130 Depth=3
	v_and_b32_e32 v17, 0x7f, v48
	v_cmp_ne_u32_e32 vcc, s81, v17
	v_mov_b32_e32 v2, 0x7f800001
	s_and_saveexec_b64 s[36:37], vcc
	s_cbranch_execz .LBB6_6198
; %bb.6197:                             ;   in Loop: Header=BB6_6130 Depth=3
	v_and_b32_e32 v2, 7, v0
	v_lshrrev_b32_e32 v20, 3, v17
	v_cmp_gt_u32_e32 vcc, 8, v17
	v_ffbh_u32_e32 v17, v2
	v_min_u32_e32 v17, 32, v17
	v_subrev_u32_e32 v50, 28, v17
	s_waitcnt vmcnt(0)
	v_lshlrev_b64 v[54:55], v50, v[0:1]
	buffer_load_dword v55, off, s[0:3], s33 offset:96 ; 4-byte Folded Reload
	v_sub_u32_e32 v0, 29, v17
	v_and_b32_e32 v17, 7, v54
	buffer_load_dword v54, off, s[0:3], s33 offset:104 ; 4-byte Folded Reload
	buffer_load_dword v52, off, s[0:3], s33 offset:100 ; 4-byte Folded Reload
	v_cndmask_b32_e32 v0, v20, v0, vcc
	v_cndmask_b32_e32 v2, v2, v17, vcc
	v_lshlrev_b32_e32 v17, 24, v48
	v_bfrev_b32_e32 v20, 60
	v_lshlrev_b32_e32 v2, 20, v2
	v_and_b32_e32 v17, 0x80000000, v17
	v_lshl_add_u32 v0, v0, 23, v20
	v_or3_b32 v2, v17, v0, v2
.LBB6_6198:                             ;   in Loop: Header=BB6_6130 Depth=3
	s_or_b64 exec, exec, s[36:37]
.LBB6_6199:                             ;   in Loop: Header=BB6_6130 Depth=3
	s_or_b64 exec, exec, s[34:35]
.LBB6_6200:                             ;   in Loop: Header=BB6_6130 Depth=3
	s_or_b64 exec, exec, s[28:29]
	v_and_b32_e32 v0, 0xff, v25
	v_cmp_ne_u16_e32 vcc, 0, v0
	s_and_saveexec_b64 s[28:29], vcc
	s_cbranch_execz .LBB6_6206
; %bb.6201:                             ;   in Loop: Header=BB6_6130 Depth=3
	v_cmp_ne_u16_e32 vcc, s80, v0
	v_bfrev_b32_e32 v1, 1
	s_and_saveexec_b64 s[34:35], vcc
	s_cbranch_execz .LBB6_6205
; %bb.6202:                             ;   in Loop: Header=BB6_6130 Depth=3
	v_and_b32_e32 v17, 0x7f, v25
	v_cmp_ne_u32_e32 vcc, s81, v17
	v_mov_b32_e32 v1, 0x7f800001
	s_and_saveexec_b64 s[36:37], vcc
	s_cbranch_execz .LBB6_6204
; %bb.6203:                             ;   in Loop: Header=BB6_6130 Depth=3
	v_and_b32_e32 v20, 7, v0
	v_ffbh_u32_e32 v1, v20
	v_lshrrev_b32_e32 v48, 3, v17
	v_cmp_gt_u32_e32 vcc, 8, v17
	v_min_u32_e32 v17, 32, v1
	v_subrev_u32_e32 v1, 28, v17
	v_lshlrev_b64 v[0:1], v1, v[0:1]
	v_sub_u32_e32 v1, 29, v17
	v_and_b32_e32 v0, 7, v0
	v_cndmask_b32_e32 v1, v48, v1, vcc
	v_cndmask_b32_e32 v0, v20, v0, vcc
	v_lshlrev_b32_e32 v17, 24, v25
	v_bfrev_b32_e32 v20, 60
	v_lshlrev_b32_e32 v0, 20, v0
	v_and_b32_e32 v17, 0x80000000, v17
	v_lshl_add_u32 v1, v1, 23, v20
	v_or3_b32 v1, v17, v1, v0
.LBB6_6204:                             ;   in Loop: Header=BB6_6130 Depth=3
	s_or_b64 exec, exec, s[36:37]
.LBB6_6205:                             ;   in Loop: Header=BB6_6130 Depth=3
	s_or_b64 exec, exec, s[34:35]
.LBB6_6206:                             ;   in Loop: Header=BB6_6130 Depth=3
	s_or_b64 exec, exec, s[28:29]
	v_mul_f32_e32 v0, v2, v1
	v_and_b32_e32 v20, 0x7f800000, v0
	v_cmp_ne_u64_e32 vcc, s[62:63], v[20:21]
                                        ; implicit-def: $vgpr25
	s_and_saveexec_b64 s[28:29], vcc
	s_xor_b64 s[34:35], exec, s[28:29]
	s_cbranch_execz .LBB6_6224
; %bb.6207:                             ;   in Loop: Header=BB6_6130 Depth=3
	v_and_b32_e32 v20, 0x7fffffff, v0
	v_cmp_gt_u64_e32 vcc, s[78:79], v[20:21]
	v_and_b32_sdwa v17, v0, s80 dst_sel:DWORD dst_unused:UNUSED_PAD src0_sel:BYTE_3 src1_sel:DWORD
                                        ; implicit-def: $vgpr25
	s_and_saveexec_b64 s[28:29], vcc
	s_xor_b64 s[36:37], exec, s[28:29]
	s_cbranch_execz .LBB6_6221
; %bb.6208:                             ;   in Loop: Header=BB6_6130 Depth=3
	v_cmp_ne_u32_e32 vcc, 0, v0
	v_mov_b32_e32 v25, 0
	s_and_saveexec_b64 s[38:39], vcc
	s_cbranch_execz .LBB6_6220
; %bb.6209:                             ;   in Loop: Header=BB6_6130 Depth=3
	v_bfe_u32 v25, v0, 23, 8
	v_and_b32_e32 v1, 0x7fffff, v0
	v_cmp_gt_u32_e64 s[28:29], s47, v25
	v_sub_u32_e32 v0, 0x79, v25
	v_cmp_eq_u32_e32 vcc, 0, v25
	v_cndmask_b32_e64 v0, 0, v0, s[28:29]
	v_mov_b32_e32 v20, 0x78
	v_cndmask_b32_e32 v48, v0, v20, vcc
	v_or_b32_e32 v2, 0x800000, v1
	v_add_u32_e32 v0, 20, v48
	v_cndmask_b32_e32 v20, v2, v1, vcc
	v_lshlrev_b64 v[0:1], v0, -1
	v_add_u32_e32 v2, 19, v48
	s_waitcnt vmcnt(0)
	v_lshlrev_b64 v[54:55], v2, 1
	v_bfi_b32 v1, v1, 0, 0
	v_bfi_b32 v0, v0, 0, v20
	v_cmp_eq_u64_e64 s[28:29], v[0:1], v[54:55]
	v_lshrrev_b64 v[0:1], v48, v[20:21]
	v_mov_b32_e32 v2, v1
	v_mov_b32_e32 v1, v0
	s_and_saveexec_b64 s[48:49], s[28:29]
; %bb.6210:                             ;   in Loop: Header=BB6_6130 Depth=3
	v_bfe_u32 v1, v0, 20, 1
	v_add_co_u32_e64 v1, s[28:29], v0, v1
	v_add_co_u32_e64 v1, s[28:29], -1, v1
; %bb.6211:                             ;   in Loop: Header=BB6_6130 Depth=3
	s_or_b64 exec, exec, s[48:49]
	v_add_u32_e32 v2, 0xffffff81, v25
	v_mov_b32_e32 v20, 0xffffff82
	v_cndmask_b32_e32 v2, v2, v20, vcc
	v_lshrrev_b32_e32 v20, 23, v0
	v_add3_u32 v48, v48, v2, v20
	v_add_u32_e32 v25, 6, v48
	v_and_b32_e32 v1, 0xfffff, v1
	v_add_u32_e32 v20, v1, v0
	v_cmp_ne_u32_e32 vcc, 0, v25
                                        ; implicit-def: $vgpr0_vgpr1
                                        ; implicit-def: $vgpr2
	s_and_saveexec_b64 s[28:29], vcc
	s_xor_b64 s[28:29], exec, s[28:29]
; %bb.6212:                             ;   in Loop: Header=BB6_6130 Depth=3
	v_cmp_lt_u64_e32 vcc, s[88:89], v[20:21]
	v_add_u32_e32 v0, 7, v48
	v_cndmask_b32_e32 v2, v25, v0, vcc
	v_cndmask_b32_e64 v0, 0, 1, vcc
	v_lshrrev_b64 v[0:1], v0, v[20:21]
; %bb.6213:                             ;   in Loop: Header=BB6_6130 Depth=3
	s_or_saveexec_b64 s[28:29], s[28:29]
	buffer_load_dword v55, off, s[0:3], s33 offset:96 ; 4-byte Folded Reload
	buffer_load_dword v52, off, s[0:3], s33 offset:100 ; 4-byte Folded Reload
	;; [unrolled: 1-line block ×3, first 2 shown]
	s_xor_b64 exec, exec, s[28:29]
; %bb.6214:                             ;   in Loop: Header=BB6_6130 Depth=3
	v_mov_b32_e32 v0, v20
	v_bfe_u32 v2, v20, 23, 1
	v_mov_b32_e32 v1, v21
; %bb.6215:                             ;   in Loop: Header=BB6_6130 Depth=3
	s_or_b64 exec, exec, s[28:29]
	v_lshrrev_b64 v[0:1], 20, v[0:1]
	v_cmp_gt_i32_e32 vcc, 16, v2
	v_cndmask_b32_e32 v1, 0, v1, vcc
	v_cndmask_b32_e32 v0, 7, v0, vcc
	v_cmp_ne_u64_e32 vcc, 0, v[0:1]
	v_cmp_ne_u32_e64 s[28:29], 0, v2
	s_or_b64 s[28:29], s[28:29], vcc
                                        ; implicit-def: $vgpr25
	s_and_saveexec_b64 vcc, s[28:29]
	s_xor_b64 s[28:29], exec, vcc
; %bb.6216:                             ;   in Loop: Header=BB6_6130 Depth=3
	v_min_i32_e32 v1, 15, v2
	v_lshl_or_b32 v1, v1, 3, v17
	v_and_or_b32 v25, v0, 7, v1
                                        ; implicit-def: $vgpr17
; %bb.6217:                             ;   in Loop: Header=BB6_6130 Depth=3
	s_andn2_saveexec_b64 s[28:29], s[28:29]
; %bb.6218:                             ;   in Loop: Header=BB6_6130 Depth=3
	v_mov_b32_e32 v25, v17
; %bb.6219:                             ;   in Loop: Header=BB6_6130 Depth=3
	s_or_b64 exec, exec, s[28:29]
.LBB6_6220:                             ;   in Loop: Header=BB6_6130 Depth=3
	s_or_b64 exec, exec, s[38:39]
                                        ; implicit-def: $vgpr17
.LBB6_6221:                             ;   in Loop: Header=BB6_6130 Depth=3
	s_andn2_saveexec_b64 s[28:29], s[36:37]
; %bb.6222:                             ;   in Loop: Header=BB6_6130 Depth=3
	v_or_b32_e32 v25, 0x7e, v17
; %bb.6223:                             ;   in Loop: Header=BB6_6130 Depth=3
	s_or_b64 exec, exec, s[28:29]
                                        ; implicit-def: $vgpr0
.LBB6_6224:                             ;   in Loop: Header=BB6_6130 Depth=3
	s_andn2_saveexec_b64 s[28:29], s[34:35]
; %bb.6225:                             ;   in Loop: Header=BB6_6130 Depth=3
	v_or_b32_sdwa v25, v0, s81 dst_sel:DWORD dst_unused:UNUSED_PAD src0_sel:BYTE_3 src1_sel:DWORD
; %bb.6226:                             ;   in Loop: Header=BB6_6130 Depth=3
	s_or_b64 exec, exec, s[28:29]
	v_and_b32_e32 v0, 0xff, v39
	v_cmp_ne_u16_e32 vcc, 0, v0
	v_mov_b32_e32 v1, 0
	v_mov_b32_e32 v2, 0
	s_and_saveexec_b64 s[28:29], vcc
	s_cbranch_execz .LBB6_6232
; %bb.6227:                             ;   in Loop: Header=BB6_6130 Depth=3
	v_cmp_ne_u16_e32 vcc, s80, v0
	v_bfrev_b32_e32 v2, 1
	s_and_saveexec_b64 s[34:35], vcc
	s_cbranch_execz .LBB6_6231
; %bb.6228:                             ;   in Loop: Header=BB6_6130 Depth=3
	v_and_b32_e32 v17, 0x7f, v39
	v_cmp_ne_u32_e32 vcc, s81, v17
	v_mov_b32_e32 v2, 0x7f800001
	s_and_saveexec_b64 s[36:37], vcc
	s_cbranch_execz .LBB6_6230
; %bb.6229:                             ;   in Loop: Header=BB6_6130 Depth=3
	v_and_b32_e32 v2, 7, v0
	v_lshrrev_b32_e32 v20, 3, v17
	v_cmp_gt_u32_e32 vcc, 8, v17
	v_ffbh_u32_e32 v17, v2
	v_min_u32_e32 v17, 32, v17
	v_subrev_u32_e32 v48, 28, v17
	s_waitcnt vmcnt(0)
	v_lshlrev_b64 v[54:55], v48, v[0:1]
	buffer_load_dword v55, off, s[0:3], s33 offset:96 ; 4-byte Folded Reload
	v_sub_u32_e32 v0, 29, v17
	v_and_b32_e32 v17, 7, v54
	buffer_load_dword v54, off, s[0:3], s33 offset:104 ; 4-byte Folded Reload
	buffer_load_dword v52, off, s[0:3], s33 offset:100 ; 4-byte Folded Reload
	v_cndmask_b32_e32 v0, v20, v0, vcc
	v_cndmask_b32_e32 v2, v2, v17, vcc
	v_lshlrev_b32_e32 v17, 24, v39
	v_bfrev_b32_e32 v20, 60
	v_lshlrev_b32_e32 v2, 20, v2
	v_and_b32_e32 v17, 0x80000000, v17
	v_lshl_add_u32 v0, v0, 23, v20
	v_or3_b32 v2, v17, v0, v2
.LBB6_6230:                             ;   in Loop: Header=BB6_6130 Depth=3
	s_or_b64 exec, exec, s[36:37]
.LBB6_6231:                             ;   in Loop: Header=BB6_6130 Depth=3
	s_or_b64 exec, exec, s[34:35]
.LBB6_6232:                             ;   in Loop: Header=BB6_6130 Depth=3
	s_or_b64 exec, exec, s[28:29]
	v_and_b32_e32 v0, 0xff, v28
	v_cmp_ne_u16_e32 vcc, 0, v0
	s_and_saveexec_b64 s[28:29], vcc
	s_cbranch_execz .LBB6_6238
; %bb.6233:                             ;   in Loop: Header=BB6_6130 Depth=3
	v_cmp_ne_u16_e32 vcc, s80, v0
	v_bfrev_b32_e32 v1, 1
	s_and_saveexec_b64 s[34:35], vcc
	s_cbranch_execz .LBB6_6237
; %bb.6234:                             ;   in Loop: Header=BB6_6130 Depth=3
	v_and_b32_e32 v17, 0x7f, v28
	v_cmp_ne_u32_e32 vcc, s81, v17
	v_mov_b32_e32 v1, 0x7f800001
	s_and_saveexec_b64 s[36:37], vcc
	s_cbranch_execz .LBB6_6236
; %bb.6235:                             ;   in Loop: Header=BB6_6130 Depth=3
	v_and_b32_e32 v20, 7, v0
	v_ffbh_u32_e32 v1, v20
	v_lshrrev_b32_e32 v39, 3, v17
	v_cmp_gt_u32_e32 vcc, 8, v17
	v_min_u32_e32 v17, 32, v1
	v_subrev_u32_e32 v1, 28, v17
	v_lshlrev_b64 v[0:1], v1, v[0:1]
	v_sub_u32_e32 v1, 29, v17
	v_and_b32_e32 v0, 7, v0
	v_cndmask_b32_e32 v1, v39, v1, vcc
	v_cndmask_b32_e32 v0, v20, v0, vcc
	v_lshlrev_b32_e32 v17, 24, v28
	v_bfrev_b32_e32 v20, 60
	v_lshlrev_b32_e32 v0, 20, v0
	v_and_b32_e32 v17, 0x80000000, v17
	v_lshl_add_u32 v1, v1, 23, v20
	v_or3_b32 v1, v17, v1, v0
.LBB6_6236:                             ;   in Loop: Header=BB6_6130 Depth=3
	s_or_b64 exec, exec, s[36:37]
.LBB6_6237:                             ;   in Loop: Header=BB6_6130 Depth=3
	s_or_b64 exec, exec, s[34:35]
.LBB6_6238:                             ;   in Loop: Header=BB6_6130 Depth=3
	s_or_b64 exec, exec, s[28:29]
	v_mul_f32_e32 v0, v2, v1
	v_and_b32_e32 v20, 0x7f800000, v0
	v_cmp_ne_u64_e32 vcc, s[62:63], v[20:21]
                                        ; implicit-def: $vgpr28
	s_and_saveexec_b64 s[28:29], vcc
	s_xor_b64 s[34:35], exec, s[28:29]
	s_cbranch_execz .LBB6_6256
; %bb.6239:                             ;   in Loop: Header=BB6_6130 Depth=3
	v_and_b32_e32 v20, 0x7fffffff, v0
	v_cmp_gt_u64_e32 vcc, s[78:79], v[20:21]
	v_and_b32_sdwa v17, v0, s80 dst_sel:DWORD dst_unused:UNUSED_PAD src0_sel:BYTE_3 src1_sel:DWORD
                                        ; implicit-def: $vgpr28
	s_and_saveexec_b64 s[28:29], vcc
	s_xor_b64 s[36:37], exec, s[28:29]
	s_cbranch_execz .LBB6_6253
; %bb.6240:                             ;   in Loop: Header=BB6_6130 Depth=3
	v_cmp_ne_u32_e32 vcc, 0, v0
	v_mov_b32_e32 v28, 0
	s_and_saveexec_b64 s[38:39], vcc
	s_cbranch_execz .LBB6_6252
; %bb.6241:                             ;   in Loop: Header=BB6_6130 Depth=3
	v_bfe_u32 v28, v0, 23, 8
	v_and_b32_e32 v1, 0x7fffff, v0
	v_cmp_gt_u32_e64 s[28:29], s47, v28
	v_sub_u32_e32 v0, 0x79, v28
	v_cmp_eq_u32_e32 vcc, 0, v28
	v_cndmask_b32_e64 v0, 0, v0, s[28:29]
	v_mov_b32_e32 v20, 0x78
	v_cndmask_b32_e32 v39, v0, v20, vcc
	v_or_b32_e32 v2, 0x800000, v1
	v_add_u32_e32 v0, 20, v39
	v_cndmask_b32_e32 v20, v2, v1, vcc
	v_lshlrev_b64 v[0:1], v0, -1
	v_add_u32_e32 v2, 19, v39
	s_waitcnt vmcnt(0)
	v_lshlrev_b64 v[54:55], v2, 1
	v_bfi_b32 v1, v1, 0, 0
	v_bfi_b32 v0, v0, 0, v20
	v_cmp_eq_u64_e64 s[28:29], v[0:1], v[54:55]
	v_lshrrev_b64 v[0:1], v39, v[20:21]
	v_mov_b32_e32 v2, v1
	v_mov_b32_e32 v1, v0
	s_and_saveexec_b64 s[48:49], s[28:29]
; %bb.6242:                             ;   in Loop: Header=BB6_6130 Depth=3
	v_bfe_u32 v1, v0, 20, 1
	v_add_co_u32_e64 v1, s[28:29], v0, v1
	v_add_co_u32_e64 v1, s[28:29], -1, v1
; %bb.6243:                             ;   in Loop: Header=BB6_6130 Depth=3
	s_or_b64 exec, exec, s[48:49]
	v_add_u32_e32 v2, 0xffffff81, v28
	v_mov_b32_e32 v20, 0xffffff82
	v_cndmask_b32_e32 v2, v2, v20, vcc
	v_lshrrev_b32_e32 v20, 23, v0
	v_add3_u32 v39, v39, v2, v20
	v_add_u32_e32 v28, 6, v39
	v_and_b32_e32 v1, 0xfffff, v1
	v_add_u32_e32 v20, v1, v0
	v_cmp_ne_u32_e32 vcc, 0, v28
                                        ; implicit-def: $vgpr0_vgpr1
                                        ; implicit-def: $vgpr2
	s_and_saveexec_b64 s[28:29], vcc
	s_xor_b64 s[28:29], exec, s[28:29]
; %bb.6244:                             ;   in Loop: Header=BB6_6130 Depth=3
	v_cmp_lt_u64_e32 vcc, s[88:89], v[20:21]
	v_add_u32_e32 v0, 7, v39
	v_cndmask_b32_e32 v2, v28, v0, vcc
	v_cndmask_b32_e64 v0, 0, 1, vcc
	v_lshrrev_b64 v[0:1], v0, v[20:21]
; %bb.6245:                             ;   in Loop: Header=BB6_6130 Depth=3
	s_or_saveexec_b64 s[28:29], s[28:29]
	buffer_load_dword v55, off, s[0:3], s33 offset:96 ; 4-byte Folded Reload
	buffer_load_dword v52, off, s[0:3], s33 offset:100 ; 4-byte Folded Reload
	;; [unrolled: 1-line block ×3, first 2 shown]
	s_xor_b64 exec, exec, s[28:29]
; %bb.6246:                             ;   in Loop: Header=BB6_6130 Depth=3
	v_mov_b32_e32 v0, v20
	v_bfe_u32 v2, v20, 23, 1
	v_mov_b32_e32 v1, v21
; %bb.6247:                             ;   in Loop: Header=BB6_6130 Depth=3
	s_or_b64 exec, exec, s[28:29]
	v_lshrrev_b64 v[0:1], 20, v[0:1]
	v_cmp_gt_i32_e32 vcc, 16, v2
	v_cndmask_b32_e32 v1, 0, v1, vcc
	v_cndmask_b32_e32 v0, 7, v0, vcc
	v_cmp_ne_u64_e32 vcc, 0, v[0:1]
	v_cmp_ne_u32_e64 s[28:29], 0, v2
	s_or_b64 s[28:29], s[28:29], vcc
                                        ; implicit-def: $vgpr28
	s_and_saveexec_b64 vcc, s[28:29]
	s_xor_b64 s[28:29], exec, vcc
; %bb.6248:                             ;   in Loop: Header=BB6_6130 Depth=3
	v_min_i32_e32 v1, 15, v2
	v_lshl_or_b32 v1, v1, 3, v17
	v_and_or_b32 v28, v0, 7, v1
                                        ; implicit-def: $vgpr17
; %bb.6249:                             ;   in Loop: Header=BB6_6130 Depth=3
	s_andn2_saveexec_b64 s[28:29], s[28:29]
; %bb.6250:                             ;   in Loop: Header=BB6_6130 Depth=3
	v_mov_b32_e32 v28, v17
; %bb.6251:                             ;   in Loop: Header=BB6_6130 Depth=3
	s_or_b64 exec, exec, s[28:29]
.LBB6_6252:                             ;   in Loop: Header=BB6_6130 Depth=3
	s_or_b64 exec, exec, s[38:39]
                                        ; implicit-def: $vgpr17
.LBB6_6253:                             ;   in Loop: Header=BB6_6130 Depth=3
	s_andn2_saveexec_b64 s[28:29], s[36:37]
; %bb.6254:                             ;   in Loop: Header=BB6_6130 Depth=3
	v_or_b32_e32 v28, 0x7e, v17
; %bb.6255:                             ;   in Loop: Header=BB6_6130 Depth=3
	s_or_b64 exec, exec, s[28:29]
                                        ; implicit-def: $vgpr0
.LBB6_6256:                             ;   in Loop: Header=BB6_6130 Depth=3
	s_andn2_saveexec_b64 s[28:29], s[34:35]
; %bb.6257:                             ;   in Loop: Header=BB6_6130 Depth=3
	v_or_b32_sdwa v28, v0, s81 dst_sel:DWORD dst_unused:UNUSED_PAD src0_sel:BYTE_3 src1_sel:DWORD
; %bb.6258:                             ;   in Loop: Header=BB6_6130 Depth=3
	s_or_b64 exec, exec, s[28:29]
	v_and_b32_e32 v0, 0xff, v37
	v_cmp_ne_u16_e32 vcc, 0, v0
	v_mov_b32_e32 v1, 0
	v_mov_b32_e32 v2, 0
	s_and_saveexec_b64 s[28:29], vcc
	s_cbranch_execz .LBB6_6264
; %bb.6259:                             ;   in Loop: Header=BB6_6130 Depth=3
	v_cmp_ne_u16_e32 vcc, s80, v0
	v_bfrev_b32_e32 v2, 1
	s_and_saveexec_b64 s[34:35], vcc
	s_cbranch_execz .LBB6_6263
; %bb.6260:                             ;   in Loop: Header=BB6_6130 Depth=3
	v_and_b32_e32 v17, 0x7f, v37
	v_cmp_ne_u32_e32 vcc, s81, v17
	v_mov_b32_e32 v2, 0x7f800001
	s_and_saveexec_b64 s[36:37], vcc
	s_cbranch_execz .LBB6_6262
; %bb.6261:                             ;   in Loop: Header=BB6_6130 Depth=3
	v_and_b32_e32 v2, 7, v0
	v_lshrrev_b32_e32 v20, 3, v17
	v_cmp_gt_u32_e32 vcc, 8, v17
	v_ffbh_u32_e32 v17, v2
	v_min_u32_e32 v17, 32, v17
	v_subrev_u32_e32 v39, 28, v17
	s_waitcnt vmcnt(0)
	v_lshlrev_b64 v[54:55], v39, v[0:1]
	buffer_load_dword v55, off, s[0:3], s33 offset:96 ; 4-byte Folded Reload
	v_sub_u32_e32 v0, 29, v17
	v_and_b32_e32 v17, 7, v54
	buffer_load_dword v54, off, s[0:3], s33 offset:104 ; 4-byte Folded Reload
	buffer_load_dword v52, off, s[0:3], s33 offset:100 ; 4-byte Folded Reload
	v_cndmask_b32_e32 v0, v20, v0, vcc
	v_cndmask_b32_e32 v2, v2, v17, vcc
	v_lshlrev_b32_e32 v17, 24, v37
	v_bfrev_b32_e32 v20, 60
	v_lshlrev_b32_e32 v2, 20, v2
	v_and_b32_e32 v17, 0x80000000, v17
	v_lshl_add_u32 v0, v0, 23, v20
	v_or3_b32 v2, v17, v0, v2
.LBB6_6262:                             ;   in Loop: Header=BB6_6130 Depth=3
	s_or_b64 exec, exec, s[36:37]
.LBB6_6263:                             ;   in Loop: Header=BB6_6130 Depth=3
	s_or_b64 exec, exec, s[34:35]
.LBB6_6264:                             ;   in Loop: Header=BB6_6130 Depth=3
	s_or_b64 exec, exec, s[28:29]
	v_and_b32_e32 v0, 0xff, v32
	v_cmp_ne_u16_e32 vcc, 0, v0
	s_and_saveexec_b64 s[28:29], vcc
	s_cbranch_execz .LBB6_6270
; %bb.6265:                             ;   in Loop: Header=BB6_6130 Depth=3
	v_cmp_ne_u16_e32 vcc, s80, v0
	v_bfrev_b32_e32 v1, 1
	s_and_saveexec_b64 s[34:35], vcc
	s_cbranch_execz .LBB6_6269
; %bb.6266:                             ;   in Loop: Header=BB6_6130 Depth=3
	v_and_b32_e32 v17, 0x7f, v32
	v_cmp_ne_u32_e32 vcc, s81, v17
	v_mov_b32_e32 v1, 0x7f800001
	s_and_saveexec_b64 s[36:37], vcc
	s_cbranch_execz .LBB6_6268
; %bb.6267:                             ;   in Loop: Header=BB6_6130 Depth=3
	v_and_b32_e32 v20, 7, v0
	v_ffbh_u32_e32 v1, v20
	v_lshrrev_b32_e32 v37, 3, v17
	v_cmp_gt_u32_e32 vcc, 8, v17
	v_min_u32_e32 v17, 32, v1
	v_subrev_u32_e32 v1, 28, v17
	v_lshlrev_b64 v[0:1], v1, v[0:1]
	v_sub_u32_e32 v1, 29, v17
	v_and_b32_e32 v0, 7, v0
	v_cndmask_b32_e32 v1, v37, v1, vcc
	v_cndmask_b32_e32 v0, v20, v0, vcc
	v_lshlrev_b32_e32 v17, 24, v32
	v_bfrev_b32_e32 v20, 60
	v_lshlrev_b32_e32 v0, 20, v0
	v_and_b32_e32 v17, 0x80000000, v17
	v_lshl_add_u32 v1, v1, 23, v20
	v_or3_b32 v1, v17, v1, v0
.LBB6_6268:                             ;   in Loop: Header=BB6_6130 Depth=3
	s_or_b64 exec, exec, s[36:37]
.LBB6_6269:                             ;   in Loop: Header=BB6_6130 Depth=3
	s_or_b64 exec, exec, s[34:35]
.LBB6_6270:                             ;   in Loop: Header=BB6_6130 Depth=3
	s_or_b64 exec, exec, s[28:29]
	v_mul_f32_e32 v0, v2, v1
	v_and_b32_e32 v20, 0x7f800000, v0
	v_cmp_ne_u64_e32 vcc, s[62:63], v[20:21]
                                        ; implicit-def: $vgpr32
	s_and_saveexec_b64 s[28:29], vcc
	s_xor_b64 s[34:35], exec, s[28:29]
	s_cbranch_execz .LBB6_6288
; %bb.6271:                             ;   in Loop: Header=BB6_6130 Depth=3
	v_and_b32_e32 v20, 0x7fffffff, v0
	v_cmp_gt_u64_e32 vcc, s[78:79], v[20:21]
	v_and_b32_sdwa v17, v0, s80 dst_sel:DWORD dst_unused:UNUSED_PAD src0_sel:BYTE_3 src1_sel:DWORD
                                        ; implicit-def: $vgpr32
	s_and_saveexec_b64 s[28:29], vcc
	s_xor_b64 s[36:37], exec, s[28:29]
	s_cbranch_execz .LBB6_6285
; %bb.6272:                             ;   in Loop: Header=BB6_6130 Depth=3
	v_cmp_ne_u32_e32 vcc, 0, v0
	v_mov_b32_e32 v32, 0
	s_and_saveexec_b64 s[38:39], vcc
	s_cbranch_execz .LBB6_6284
; %bb.6273:                             ;   in Loop: Header=BB6_6130 Depth=3
	v_bfe_u32 v32, v0, 23, 8
	v_and_b32_e32 v1, 0x7fffff, v0
	v_cmp_gt_u32_e64 s[28:29], s47, v32
	v_sub_u32_e32 v0, 0x79, v32
	v_cmp_eq_u32_e32 vcc, 0, v32
	v_cndmask_b32_e64 v0, 0, v0, s[28:29]
	v_mov_b32_e32 v20, 0x78
	v_cndmask_b32_e32 v37, v0, v20, vcc
	v_or_b32_e32 v2, 0x800000, v1
	v_add_u32_e32 v0, 20, v37
	v_cndmask_b32_e32 v20, v2, v1, vcc
	v_lshlrev_b64 v[0:1], v0, -1
	v_add_u32_e32 v2, 19, v37
	s_waitcnt vmcnt(0)
	v_lshlrev_b64 v[54:55], v2, 1
	v_bfi_b32 v1, v1, 0, 0
	v_bfi_b32 v0, v0, 0, v20
	v_cmp_eq_u64_e64 s[28:29], v[0:1], v[54:55]
	v_lshrrev_b64 v[0:1], v37, v[20:21]
	v_mov_b32_e32 v2, v1
	v_mov_b32_e32 v1, v0
	s_and_saveexec_b64 s[48:49], s[28:29]
; %bb.6274:                             ;   in Loop: Header=BB6_6130 Depth=3
	v_bfe_u32 v1, v0, 20, 1
	v_add_co_u32_e64 v1, s[28:29], v0, v1
	v_add_co_u32_e64 v1, s[28:29], -1, v1
; %bb.6275:                             ;   in Loop: Header=BB6_6130 Depth=3
	s_or_b64 exec, exec, s[48:49]
	v_add_u32_e32 v2, 0xffffff81, v32
	v_mov_b32_e32 v20, 0xffffff82
	v_cndmask_b32_e32 v2, v2, v20, vcc
	v_lshrrev_b32_e32 v20, 23, v0
	v_add3_u32 v37, v37, v2, v20
	v_add_u32_e32 v32, 6, v37
	v_and_b32_e32 v1, 0xfffff, v1
	v_add_u32_e32 v20, v1, v0
	v_cmp_ne_u32_e32 vcc, 0, v32
                                        ; implicit-def: $vgpr0_vgpr1
                                        ; implicit-def: $vgpr2
	s_and_saveexec_b64 s[28:29], vcc
	s_xor_b64 s[28:29], exec, s[28:29]
; %bb.6276:                             ;   in Loop: Header=BB6_6130 Depth=3
	v_cmp_lt_u64_e32 vcc, s[88:89], v[20:21]
	v_add_u32_e32 v0, 7, v37
	v_cndmask_b32_e32 v2, v32, v0, vcc
	v_cndmask_b32_e64 v0, 0, 1, vcc
	v_lshrrev_b64 v[0:1], v0, v[20:21]
; %bb.6277:                             ;   in Loop: Header=BB6_6130 Depth=3
	s_or_saveexec_b64 s[28:29], s[28:29]
	buffer_load_dword v55, off, s[0:3], s33 offset:96 ; 4-byte Folded Reload
	buffer_load_dword v52, off, s[0:3], s33 offset:100 ; 4-byte Folded Reload
	;; [unrolled: 1-line block ×3, first 2 shown]
	s_xor_b64 exec, exec, s[28:29]
; %bb.6278:                             ;   in Loop: Header=BB6_6130 Depth=3
	v_mov_b32_e32 v0, v20
	v_bfe_u32 v2, v20, 23, 1
	v_mov_b32_e32 v1, v21
; %bb.6279:                             ;   in Loop: Header=BB6_6130 Depth=3
	s_or_b64 exec, exec, s[28:29]
	v_lshrrev_b64 v[0:1], 20, v[0:1]
	v_cmp_gt_i32_e32 vcc, 16, v2
	v_cndmask_b32_e32 v1, 0, v1, vcc
	v_cndmask_b32_e32 v0, 7, v0, vcc
	v_cmp_ne_u64_e32 vcc, 0, v[0:1]
	v_cmp_ne_u32_e64 s[28:29], 0, v2
	s_or_b64 s[28:29], s[28:29], vcc
                                        ; implicit-def: $vgpr32
	s_and_saveexec_b64 vcc, s[28:29]
	s_xor_b64 s[28:29], exec, vcc
; %bb.6280:                             ;   in Loop: Header=BB6_6130 Depth=3
	v_min_i32_e32 v1, 15, v2
	v_lshl_or_b32 v1, v1, 3, v17
	v_and_or_b32 v32, v0, 7, v1
                                        ; implicit-def: $vgpr17
; %bb.6281:                             ;   in Loop: Header=BB6_6130 Depth=3
	s_andn2_saveexec_b64 s[28:29], s[28:29]
; %bb.6282:                             ;   in Loop: Header=BB6_6130 Depth=3
	v_mov_b32_e32 v32, v17
; %bb.6283:                             ;   in Loop: Header=BB6_6130 Depth=3
	s_or_b64 exec, exec, s[28:29]
.LBB6_6284:                             ;   in Loop: Header=BB6_6130 Depth=3
	s_or_b64 exec, exec, s[38:39]
                                        ; implicit-def: $vgpr17
.LBB6_6285:                             ;   in Loop: Header=BB6_6130 Depth=3
	s_andn2_saveexec_b64 s[28:29], s[36:37]
; %bb.6286:                             ;   in Loop: Header=BB6_6130 Depth=3
	v_or_b32_e32 v32, 0x7e, v17
; %bb.6287:                             ;   in Loop: Header=BB6_6130 Depth=3
	s_or_b64 exec, exec, s[28:29]
                                        ; implicit-def: $vgpr0
.LBB6_6288:                             ;   in Loop: Header=BB6_6130 Depth=3
	s_andn2_saveexec_b64 s[28:29], s[34:35]
; %bb.6289:                             ;   in Loop: Header=BB6_6130 Depth=3
	v_or_b32_sdwa v32, v0, s81 dst_sel:DWORD dst_unused:UNUSED_PAD src0_sel:BYTE_3 src1_sel:DWORD
; %bb.6290:                             ;   in Loop: Header=BB6_6130 Depth=3
	s_or_b64 exec, exec, s[28:29]
	v_and_b32_e32 v0, 0xff, v36
	v_cmp_ne_u16_e32 vcc, 0, v0
	v_mov_b32_e32 v1, 0
	v_mov_b32_e32 v2, 0
	s_and_saveexec_b64 s[28:29], vcc
	s_cbranch_execz .LBB6_6296
; %bb.6291:                             ;   in Loop: Header=BB6_6130 Depth=3
	v_cmp_ne_u16_e32 vcc, s80, v0
	v_bfrev_b32_e32 v2, 1
	s_and_saveexec_b64 s[34:35], vcc
	s_cbranch_execz .LBB6_6295
; %bb.6292:                             ;   in Loop: Header=BB6_6130 Depth=3
	v_and_b32_e32 v17, 0x7f, v36
	v_cmp_ne_u32_e32 vcc, s81, v17
	v_mov_b32_e32 v2, 0x7f800001
	s_and_saveexec_b64 s[36:37], vcc
	s_cbranch_execz .LBB6_6294
; %bb.6293:                             ;   in Loop: Header=BB6_6130 Depth=3
	v_and_b32_e32 v2, 7, v0
	v_lshrrev_b32_e32 v20, 3, v17
	v_cmp_gt_u32_e32 vcc, 8, v17
	v_ffbh_u32_e32 v17, v2
	v_min_u32_e32 v17, 32, v17
	v_subrev_u32_e32 v37, 28, v17
	s_waitcnt vmcnt(0)
	v_lshlrev_b64 v[54:55], v37, v[0:1]
	buffer_load_dword v55, off, s[0:3], s33 offset:96 ; 4-byte Folded Reload
	v_sub_u32_e32 v0, 29, v17
	v_and_b32_e32 v17, 7, v54
	buffer_load_dword v54, off, s[0:3], s33 offset:104 ; 4-byte Folded Reload
	buffer_load_dword v52, off, s[0:3], s33 offset:100 ; 4-byte Folded Reload
	v_cndmask_b32_e32 v0, v20, v0, vcc
	v_cndmask_b32_e32 v2, v2, v17, vcc
	v_lshlrev_b32_e32 v17, 24, v36
	v_bfrev_b32_e32 v20, 60
	v_lshlrev_b32_e32 v2, 20, v2
	v_and_b32_e32 v17, 0x80000000, v17
	v_lshl_add_u32 v0, v0, 23, v20
	v_or3_b32 v2, v17, v0, v2
.LBB6_6294:                             ;   in Loop: Header=BB6_6130 Depth=3
	s_or_b64 exec, exec, s[36:37]
.LBB6_6295:                             ;   in Loop: Header=BB6_6130 Depth=3
	s_or_b64 exec, exec, s[34:35]
.LBB6_6296:                             ;   in Loop: Header=BB6_6130 Depth=3
	s_or_b64 exec, exec, s[28:29]
	v_and_b32_e32 v0, 0xff, v35
	v_cmp_ne_u16_e32 vcc, 0, v0
	s_and_saveexec_b64 s[28:29], vcc
	s_cbranch_execz .LBB6_6302
; %bb.6297:                             ;   in Loop: Header=BB6_6130 Depth=3
	v_cmp_ne_u16_e32 vcc, s80, v0
	v_bfrev_b32_e32 v1, 1
	s_and_saveexec_b64 s[34:35], vcc
	s_cbranch_execz .LBB6_6301
; %bb.6298:                             ;   in Loop: Header=BB6_6130 Depth=3
	v_and_b32_e32 v17, 0x7f, v35
	v_cmp_ne_u32_e32 vcc, s81, v17
	v_mov_b32_e32 v1, 0x7f800001
	s_and_saveexec_b64 s[36:37], vcc
	s_cbranch_execz .LBB6_6300
; %bb.6299:                             ;   in Loop: Header=BB6_6130 Depth=3
	v_and_b32_e32 v20, 7, v0
	v_ffbh_u32_e32 v1, v20
	v_lshrrev_b32_e32 v36, 3, v17
	v_cmp_gt_u32_e32 vcc, 8, v17
	v_min_u32_e32 v17, 32, v1
	v_subrev_u32_e32 v1, 28, v17
	v_lshlrev_b64 v[0:1], v1, v[0:1]
	v_sub_u32_e32 v1, 29, v17
	v_and_b32_e32 v0, 7, v0
	v_cndmask_b32_e32 v1, v36, v1, vcc
	v_cndmask_b32_e32 v0, v20, v0, vcc
	v_lshlrev_b32_e32 v17, 24, v35
	v_bfrev_b32_e32 v20, 60
	v_lshlrev_b32_e32 v0, 20, v0
	v_and_b32_e32 v17, 0x80000000, v17
	v_lshl_add_u32 v1, v1, 23, v20
	v_or3_b32 v1, v17, v1, v0
.LBB6_6300:                             ;   in Loop: Header=BB6_6130 Depth=3
	s_or_b64 exec, exec, s[36:37]
.LBB6_6301:                             ;   in Loop: Header=BB6_6130 Depth=3
	s_or_b64 exec, exec, s[34:35]
.LBB6_6302:                             ;   in Loop: Header=BB6_6130 Depth=3
	s_or_b64 exec, exec, s[28:29]
	v_mul_f32_e32 v0, v2, v1
	v_and_b32_e32 v20, 0x7f800000, v0
	v_cmp_ne_u64_e32 vcc, s[62:63], v[20:21]
                                        ; implicit-def: $vgpr35
	s_and_saveexec_b64 s[28:29], vcc
	s_xor_b64 s[34:35], exec, s[28:29]
	s_cbranch_execz .LBB6_6320
; %bb.6303:                             ;   in Loop: Header=BB6_6130 Depth=3
	v_and_b32_e32 v20, 0x7fffffff, v0
	v_cmp_gt_u64_e32 vcc, s[78:79], v[20:21]
	v_and_b32_sdwa v17, v0, s80 dst_sel:DWORD dst_unused:UNUSED_PAD src0_sel:BYTE_3 src1_sel:DWORD
                                        ; implicit-def: $vgpr35
	s_and_saveexec_b64 s[28:29], vcc
	s_xor_b64 s[36:37], exec, s[28:29]
	s_cbranch_execz .LBB6_6317
; %bb.6304:                             ;   in Loop: Header=BB6_6130 Depth=3
	v_cmp_ne_u32_e32 vcc, 0, v0
	v_mov_b32_e32 v35, 0
	s_and_saveexec_b64 s[38:39], vcc
	s_cbranch_execz .LBB6_6316
; %bb.6305:                             ;   in Loop: Header=BB6_6130 Depth=3
	v_bfe_u32 v35, v0, 23, 8
	v_and_b32_e32 v1, 0x7fffff, v0
	v_cmp_gt_u32_e64 s[28:29], s47, v35
	v_sub_u32_e32 v0, 0x79, v35
	v_cmp_eq_u32_e32 vcc, 0, v35
	v_cndmask_b32_e64 v0, 0, v0, s[28:29]
	v_mov_b32_e32 v20, 0x78
	v_cndmask_b32_e32 v36, v0, v20, vcc
	v_or_b32_e32 v2, 0x800000, v1
	v_add_u32_e32 v0, 20, v36
	v_cndmask_b32_e32 v20, v2, v1, vcc
	v_lshlrev_b64 v[0:1], v0, -1
	v_add_u32_e32 v2, 19, v36
	s_waitcnt vmcnt(0)
	v_lshlrev_b64 v[54:55], v2, 1
	v_bfi_b32 v1, v1, 0, 0
	v_bfi_b32 v0, v0, 0, v20
	v_cmp_eq_u64_e64 s[28:29], v[0:1], v[54:55]
	v_lshrrev_b64 v[0:1], v36, v[20:21]
	v_mov_b32_e32 v2, v1
	v_mov_b32_e32 v1, v0
	s_and_saveexec_b64 s[48:49], s[28:29]
; %bb.6306:                             ;   in Loop: Header=BB6_6130 Depth=3
	v_bfe_u32 v1, v0, 20, 1
	v_add_co_u32_e64 v1, s[28:29], v0, v1
	v_add_co_u32_e64 v1, s[28:29], -1, v1
; %bb.6307:                             ;   in Loop: Header=BB6_6130 Depth=3
	s_or_b64 exec, exec, s[48:49]
	v_add_u32_e32 v2, 0xffffff81, v35
	v_mov_b32_e32 v20, 0xffffff82
	v_cndmask_b32_e32 v2, v2, v20, vcc
	v_lshrrev_b32_e32 v20, 23, v0
	v_add3_u32 v36, v36, v2, v20
	v_add_u32_e32 v35, 6, v36
	v_and_b32_e32 v1, 0xfffff, v1
	v_add_u32_e32 v20, v1, v0
	v_cmp_ne_u32_e32 vcc, 0, v35
                                        ; implicit-def: $vgpr0_vgpr1
                                        ; implicit-def: $vgpr2
	s_and_saveexec_b64 s[28:29], vcc
	s_xor_b64 s[28:29], exec, s[28:29]
; %bb.6308:                             ;   in Loop: Header=BB6_6130 Depth=3
	v_cmp_lt_u64_e32 vcc, s[88:89], v[20:21]
	v_add_u32_e32 v0, 7, v36
	v_cndmask_b32_e32 v2, v35, v0, vcc
	v_cndmask_b32_e64 v0, 0, 1, vcc
	v_lshrrev_b64 v[0:1], v0, v[20:21]
; %bb.6309:                             ;   in Loop: Header=BB6_6130 Depth=3
	s_or_saveexec_b64 s[28:29], s[28:29]
	buffer_load_dword v55, off, s[0:3], s33 offset:96 ; 4-byte Folded Reload
	buffer_load_dword v52, off, s[0:3], s33 offset:100 ; 4-byte Folded Reload
	;; [unrolled: 1-line block ×3, first 2 shown]
	s_xor_b64 exec, exec, s[28:29]
; %bb.6310:                             ;   in Loop: Header=BB6_6130 Depth=3
	v_mov_b32_e32 v0, v20
	v_bfe_u32 v2, v20, 23, 1
	v_mov_b32_e32 v1, v21
; %bb.6311:                             ;   in Loop: Header=BB6_6130 Depth=3
	s_or_b64 exec, exec, s[28:29]
	v_lshrrev_b64 v[0:1], 20, v[0:1]
	v_cmp_gt_i32_e32 vcc, 16, v2
	v_cndmask_b32_e32 v1, 0, v1, vcc
	v_cndmask_b32_e32 v0, 7, v0, vcc
	v_cmp_ne_u64_e32 vcc, 0, v[0:1]
	v_cmp_ne_u32_e64 s[28:29], 0, v2
	s_or_b64 s[28:29], s[28:29], vcc
                                        ; implicit-def: $vgpr35
	s_and_saveexec_b64 vcc, s[28:29]
	s_xor_b64 s[28:29], exec, vcc
; %bb.6312:                             ;   in Loop: Header=BB6_6130 Depth=3
	v_min_i32_e32 v1, 15, v2
	v_lshl_or_b32 v1, v1, 3, v17
	v_and_or_b32 v35, v0, 7, v1
                                        ; implicit-def: $vgpr17
; %bb.6313:                             ;   in Loop: Header=BB6_6130 Depth=3
	s_andn2_saveexec_b64 s[28:29], s[28:29]
; %bb.6314:                             ;   in Loop: Header=BB6_6130 Depth=3
	v_mov_b32_e32 v35, v17
; %bb.6315:                             ;   in Loop: Header=BB6_6130 Depth=3
	s_or_b64 exec, exec, s[28:29]
.LBB6_6316:                             ;   in Loop: Header=BB6_6130 Depth=3
	s_or_b64 exec, exec, s[38:39]
                                        ; implicit-def: $vgpr17
.LBB6_6317:                             ;   in Loop: Header=BB6_6130 Depth=3
	s_andn2_saveexec_b64 s[28:29], s[36:37]
; %bb.6318:                             ;   in Loop: Header=BB6_6130 Depth=3
	v_or_b32_e32 v35, 0x7e, v17
; %bb.6319:                             ;   in Loop: Header=BB6_6130 Depth=3
	s_or_b64 exec, exec, s[28:29]
                                        ; implicit-def: $vgpr0
.LBB6_6320:                             ;   in Loop: Header=BB6_6130 Depth=3
	s_andn2_saveexec_b64 s[28:29], s[34:35]
; %bb.6321:                             ;   in Loop: Header=BB6_6130 Depth=3
	v_or_b32_sdwa v35, v0, s81 dst_sel:DWORD dst_unused:UNUSED_PAD src0_sel:BYTE_3 src1_sel:DWORD
; %bb.6322:                             ;   in Loop: Header=BB6_6130 Depth=3
	s_or_b64 exec, exec, s[28:29]
	v_and_b32_e32 v0, 0xff, v34
	v_cmp_ne_u16_e32 vcc, 0, v0
	v_mov_b32_e32 v1, 0
	v_mov_b32_e32 v2, 0
	s_and_saveexec_b64 s[28:29], vcc
	s_cbranch_execz .LBB6_6328
; %bb.6323:                             ;   in Loop: Header=BB6_6130 Depth=3
	v_cmp_ne_u16_e32 vcc, s80, v0
	v_bfrev_b32_e32 v2, 1
	s_and_saveexec_b64 s[34:35], vcc
	s_cbranch_execz .LBB6_6327
; %bb.6324:                             ;   in Loop: Header=BB6_6130 Depth=3
	v_and_b32_e32 v17, 0x7f, v34
	v_cmp_ne_u32_e32 vcc, s81, v17
	v_mov_b32_e32 v2, 0x7f800001
	s_and_saveexec_b64 s[36:37], vcc
	s_cbranch_execz .LBB6_6326
; %bb.6325:                             ;   in Loop: Header=BB6_6130 Depth=3
	v_and_b32_e32 v2, 7, v0
	v_lshrrev_b32_e32 v20, 3, v17
	v_cmp_gt_u32_e32 vcc, 8, v17
	v_ffbh_u32_e32 v17, v2
	v_min_u32_e32 v17, 32, v17
	v_subrev_u32_e32 v36, 28, v17
	v_lshlrev_b64 v[36:37], v36, v[0:1]
	v_sub_u32_e32 v0, 29, v17
	v_and_b32_e32 v17, 7, v36
	v_cndmask_b32_e32 v0, v20, v0, vcc
	v_cndmask_b32_e32 v2, v2, v17, vcc
	v_lshlrev_b32_e32 v17, 24, v34
	v_bfrev_b32_e32 v20, 60
	v_lshlrev_b32_e32 v2, 20, v2
	v_and_b32_e32 v17, 0x80000000, v17
	v_lshl_add_u32 v0, v0, 23, v20
	v_or3_b32 v2, v17, v0, v2
.LBB6_6326:                             ;   in Loop: Header=BB6_6130 Depth=3
	s_or_b64 exec, exec, s[36:37]
.LBB6_6327:                             ;   in Loop: Header=BB6_6130 Depth=3
	s_or_b64 exec, exec, s[34:35]
.LBB6_6328:                             ;   in Loop: Header=BB6_6130 Depth=3
	s_or_b64 exec, exec, s[28:29]
	v_and_b32_e32 v0, 0xff, v38
	v_cmp_ne_u16_e32 vcc, 0, v0
	s_and_saveexec_b64 s[28:29], vcc
	s_cbranch_execz .LBB6_6334
; %bb.6329:                             ;   in Loop: Header=BB6_6130 Depth=3
	v_cmp_ne_u16_e32 vcc, s80, v0
	v_bfrev_b32_e32 v1, 1
	s_and_saveexec_b64 s[34:35], vcc
	s_cbranch_execz .LBB6_6333
; %bb.6330:                             ;   in Loop: Header=BB6_6130 Depth=3
	v_and_b32_e32 v17, 0x7f, v38
	v_cmp_ne_u32_e32 vcc, s81, v17
	v_mov_b32_e32 v1, 0x7f800001
	s_and_saveexec_b64 s[36:37], vcc
	s_cbranch_execz .LBB6_6332
; %bb.6331:                             ;   in Loop: Header=BB6_6130 Depth=3
	v_and_b32_e32 v20, 7, v0
	v_ffbh_u32_e32 v1, v20
	v_lshrrev_b32_e32 v34, 3, v17
	v_cmp_gt_u32_e32 vcc, 8, v17
	v_min_u32_e32 v17, 32, v1
	v_subrev_u32_e32 v1, 28, v17
	v_lshlrev_b64 v[0:1], v1, v[0:1]
	v_sub_u32_e32 v1, 29, v17
	v_and_b32_e32 v0, 7, v0
	v_cndmask_b32_e32 v1, v34, v1, vcc
	v_cndmask_b32_e32 v0, v20, v0, vcc
	v_lshlrev_b32_e32 v17, 24, v38
	v_bfrev_b32_e32 v20, 60
	v_lshlrev_b32_e32 v0, 20, v0
	v_and_b32_e32 v17, 0x80000000, v17
	v_lshl_add_u32 v1, v1, 23, v20
	v_or3_b32 v1, v17, v1, v0
.LBB6_6332:                             ;   in Loop: Header=BB6_6130 Depth=3
	s_or_b64 exec, exec, s[36:37]
.LBB6_6333:                             ;   in Loop: Header=BB6_6130 Depth=3
	s_or_b64 exec, exec, s[34:35]
.LBB6_6334:                             ;   in Loop: Header=BB6_6130 Depth=3
	s_or_b64 exec, exec, s[28:29]
	v_mul_f32_e32 v0, v2, v1
	v_and_b32_e32 v20, 0x7f800000, v0
	v_cmp_ne_u64_e32 vcc, s[62:63], v[20:21]
                                        ; implicit-def: $vgpr38
	s_and_saveexec_b64 s[28:29], vcc
	s_xor_b64 s[34:35], exec, s[28:29]
	s_cbranch_execz .LBB6_6352
; %bb.6335:                             ;   in Loop: Header=BB6_6130 Depth=3
	v_and_b32_e32 v20, 0x7fffffff, v0
	v_cmp_gt_u64_e32 vcc, s[78:79], v[20:21]
	v_and_b32_sdwa v17, v0, s80 dst_sel:DWORD dst_unused:UNUSED_PAD src0_sel:BYTE_3 src1_sel:DWORD
                                        ; implicit-def: $vgpr38
	s_and_saveexec_b64 s[28:29], vcc
	s_xor_b64 s[36:37], exec, s[28:29]
	s_cbranch_execz .LBB6_6349
; %bb.6336:                             ;   in Loop: Header=BB6_6130 Depth=3
	v_cmp_ne_u32_e32 vcc, 0, v0
	v_mov_b32_e32 v38, 0
	s_and_saveexec_b64 s[38:39], vcc
	s_cbranch_execz .LBB6_6348
; %bb.6337:                             ;   in Loop: Header=BB6_6130 Depth=3
	v_bfe_u32 v34, v0, 23, 8
	v_and_b32_e32 v1, 0x7fffff, v0
	v_cmp_gt_u32_e64 s[28:29], s47, v34
	v_sub_u32_e32 v0, 0x79, v34
	v_cmp_eq_u32_e32 vcc, 0, v34
	v_cndmask_b32_e64 v0, 0, v0, s[28:29]
	v_mov_b32_e32 v20, 0x78
	v_cndmask_b32_e32 v36, v0, v20, vcc
	v_or_b32_e32 v2, 0x800000, v1
	v_add_u32_e32 v0, 20, v36
	v_cndmask_b32_e32 v20, v2, v1, vcc
	v_lshlrev_b64 v[0:1], v0, -1
	v_add_u32_e32 v2, 19, v36
	v_lshlrev_b64 v[37:38], v2, 1
	v_bfi_b32 v1, v1, 0, 0
	v_bfi_b32 v0, v0, 0, v20
	v_cmp_eq_u64_e64 s[28:29], v[0:1], v[37:38]
	v_lshrrev_b64 v[0:1], v36, v[20:21]
	v_mov_b32_e32 v2, v1
	v_mov_b32_e32 v1, v0
	s_and_saveexec_b64 s[48:49], s[28:29]
; %bb.6338:                             ;   in Loop: Header=BB6_6130 Depth=3
	v_bfe_u32 v1, v0, 20, 1
	v_add_co_u32_e64 v1, s[28:29], v0, v1
	v_add_co_u32_e64 v1, s[28:29], -1, v1
; %bb.6339:                             ;   in Loop: Header=BB6_6130 Depth=3
	s_or_b64 exec, exec, s[48:49]
	v_add_u32_e32 v2, 0xffffff81, v34
	v_mov_b32_e32 v20, 0xffffff82
	v_cndmask_b32_e32 v2, v2, v20, vcc
	v_lshrrev_b32_e32 v20, 23, v0
	v_add3_u32 v36, v36, v2, v20
	v_add_u32_e32 v34, 6, v36
	v_and_b32_e32 v1, 0xfffff, v1
	v_add_u32_e32 v20, v1, v0
	v_cmp_ne_u32_e32 vcc, 0, v34
                                        ; implicit-def: $vgpr0_vgpr1
                                        ; implicit-def: $vgpr2
	s_and_saveexec_b64 s[28:29], vcc
	s_xor_b64 s[28:29], exec, s[28:29]
; %bb.6340:                             ;   in Loop: Header=BB6_6130 Depth=3
	v_cmp_lt_u64_e32 vcc, s[88:89], v[20:21]
	v_add_u32_e32 v0, 7, v36
	v_cndmask_b32_e32 v2, v34, v0, vcc
	v_cndmask_b32_e64 v0, 0, 1, vcc
	v_lshrrev_b64 v[0:1], v0, v[20:21]
; %bb.6341:                             ;   in Loop: Header=BB6_6130 Depth=3
	s_andn2_saveexec_b64 s[28:29], s[28:29]
; %bb.6342:                             ;   in Loop: Header=BB6_6130 Depth=3
	v_mov_b32_e32 v0, v20
	v_bfe_u32 v2, v20, 23, 1
	v_mov_b32_e32 v1, v21
; %bb.6343:                             ;   in Loop: Header=BB6_6130 Depth=3
	s_or_b64 exec, exec, s[28:29]
	v_lshrrev_b64 v[0:1], 20, v[0:1]
	v_cmp_gt_i32_e32 vcc, 16, v2
	v_cndmask_b32_e32 v1, 0, v1, vcc
	v_cndmask_b32_e32 v0, 7, v0, vcc
	v_cmp_ne_u64_e32 vcc, 0, v[0:1]
	v_cmp_ne_u32_e64 s[28:29], 0, v2
	s_or_b64 s[28:29], s[28:29], vcc
                                        ; implicit-def: $vgpr38
	s_and_saveexec_b64 vcc, s[28:29]
	s_xor_b64 s[28:29], exec, vcc
; %bb.6344:                             ;   in Loop: Header=BB6_6130 Depth=3
	v_min_i32_e32 v1, 15, v2
	v_lshl_or_b32 v1, v1, 3, v17
	v_and_or_b32 v38, v0, 7, v1
                                        ; implicit-def: $vgpr17
; %bb.6345:                             ;   in Loop: Header=BB6_6130 Depth=3
	s_andn2_saveexec_b64 s[28:29], s[28:29]
; %bb.6346:                             ;   in Loop: Header=BB6_6130 Depth=3
	v_mov_b32_e32 v38, v17
; %bb.6347:                             ;   in Loop: Header=BB6_6130 Depth=3
	s_or_b64 exec, exec, s[28:29]
.LBB6_6348:                             ;   in Loop: Header=BB6_6130 Depth=3
	s_or_b64 exec, exec, s[38:39]
                                        ; implicit-def: $vgpr17
.LBB6_6349:                             ;   in Loop: Header=BB6_6130 Depth=3
	s_andn2_saveexec_b64 s[28:29], s[36:37]
; %bb.6350:                             ;   in Loop: Header=BB6_6130 Depth=3
	v_or_b32_e32 v38, 0x7e, v17
; %bb.6351:                             ;   in Loop: Header=BB6_6130 Depth=3
	s_or_b64 exec, exec, s[28:29]
                                        ; implicit-def: $vgpr0
.LBB6_6352:                             ;   in Loop: Header=BB6_6130 Depth=3
	s_andn2_saveexec_b64 s[28:29], s[34:35]
; %bb.6353:                             ;   in Loop: Header=BB6_6130 Depth=3
	v_or_b32_sdwa v38, v0, s81 dst_sel:DWORD dst_unused:UNUSED_PAD src0_sel:BYTE_3 src1_sel:DWORD
; %bb.6354:                             ;   in Loop: Header=BB6_6130 Depth=3
	s_or_b64 exec, exec, s[28:29]
	v_and_b32_e32 v0, 0xff, v33
	v_cmp_ne_u16_e32 vcc, 0, v0
	v_mov_b32_e32 v1, 0
	v_mov_b32_e32 v2, 0
	s_and_saveexec_b64 s[28:29], vcc
	s_cbranch_execz .LBB6_6360
; %bb.6355:                             ;   in Loop: Header=BB6_6130 Depth=3
	v_cmp_ne_u16_e32 vcc, s80, v0
	v_bfrev_b32_e32 v2, 1
	s_and_saveexec_b64 s[34:35], vcc
	s_cbranch_execz .LBB6_6359
; %bb.6356:                             ;   in Loop: Header=BB6_6130 Depth=3
	v_and_b32_e32 v17, 0x7f, v33
	v_cmp_ne_u32_e32 vcc, s81, v17
	v_mov_b32_e32 v2, 0x7f800001
	s_and_saveexec_b64 s[36:37], vcc
	s_cbranch_execz .LBB6_6358
; %bb.6357:                             ;   in Loop: Header=BB6_6130 Depth=3
	v_and_b32_e32 v2, 7, v0
	v_lshrrev_b32_e32 v20, 3, v17
	v_cmp_gt_u32_e32 vcc, 8, v17
	v_ffbh_u32_e32 v17, v2
	v_min_u32_e32 v17, 32, v17
	v_subrev_u32_e32 v34, 28, v17
	v_lshlrev_b64 v[36:37], v34, v[0:1]
	v_sub_u32_e32 v0, 29, v17
	v_and_b32_e32 v17, 7, v36
	v_cndmask_b32_e32 v0, v20, v0, vcc
	v_cndmask_b32_e32 v2, v2, v17, vcc
	v_lshlrev_b32_e32 v17, 24, v33
	v_bfrev_b32_e32 v20, 60
	v_lshlrev_b32_e32 v2, 20, v2
	v_and_b32_e32 v17, 0x80000000, v17
	v_lshl_add_u32 v0, v0, 23, v20
	v_or3_b32 v2, v17, v0, v2
.LBB6_6358:                             ;   in Loop: Header=BB6_6130 Depth=3
	s_or_b64 exec, exec, s[36:37]
.LBB6_6359:                             ;   in Loop: Header=BB6_6130 Depth=3
	s_or_b64 exec, exec, s[34:35]
.LBB6_6360:                             ;   in Loop: Header=BB6_6130 Depth=3
	s_or_b64 exec, exec, s[28:29]
	v_and_b32_e32 v0, 0xff, v49
	v_cmp_ne_u16_e32 vcc, 0, v0
	s_and_saveexec_b64 s[28:29], vcc
	s_cbranch_execz .LBB6_6366
; %bb.6361:                             ;   in Loop: Header=BB6_6130 Depth=3
	v_cmp_ne_u16_e32 vcc, s80, v0
	v_bfrev_b32_e32 v1, 1
	s_and_saveexec_b64 s[34:35], vcc
	s_cbranch_execz .LBB6_6365
; %bb.6362:                             ;   in Loop: Header=BB6_6130 Depth=3
	v_and_b32_e32 v17, 0x7f, v49
	v_cmp_ne_u32_e32 vcc, s81, v17
	v_mov_b32_e32 v1, 0x7f800001
	s_and_saveexec_b64 s[36:37], vcc
	s_cbranch_execz .LBB6_6364
; %bb.6363:                             ;   in Loop: Header=BB6_6130 Depth=3
	v_and_b32_e32 v20, 7, v0
	v_ffbh_u32_e32 v1, v20
	v_lshrrev_b32_e32 v33, 3, v17
	v_cmp_gt_u32_e32 vcc, 8, v17
	v_min_u32_e32 v17, 32, v1
	v_subrev_u32_e32 v1, 28, v17
	v_lshlrev_b64 v[0:1], v1, v[0:1]
	v_sub_u32_e32 v1, 29, v17
	v_and_b32_e32 v0, 7, v0
	v_cndmask_b32_e32 v1, v33, v1, vcc
	v_cndmask_b32_e32 v0, v20, v0, vcc
	v_lshlrev_b32_e32 v17, 24, v49
	v_bfrev_b32_e32 v20, 60
	v_lshlrev_b32_e32 v0, 20, v0
	v_and_b32_e32 v17, 0x80000000, v17
	v_lshl_add_u32 v1, v1, 23, v20
	v_or3_b32 v1, v17, v1, v0
.LBB6_6364:                             ;   in Loop: Header=BB6_6130 Depth=3
	s_or_b64 exec, exec, s[36:37]
.LBB6_6365:                             ;   in Loop: Header=BB6_6130 Depth=3
	s_or_b64 exec, exec, s[34:35]
.LBB6_6366:                             ;   in Loop: Header=BB6_6130 Depth=3
	s_or_b64 exec, exec, s[28:29]
	v_mul_f32_e32 v0, v2, v1
	v_and_b32_e32 v20, 0x7f800000, v0
	v_cmp_ne_u64_e32 vcc, s[62:63], v[20:21]
                                        ; implicit-def: $vgpr49
	s_and_saveexec_b64 s[28:29], vcc
	s_xor_b64 s[34:35], exec, s[28:29]
	s_cbranch_execz .LBB6_6384
; %bb.6367:                             ;   in Loop: Header=BB6_6130 Depth=3
	v_and_b32_e32 v20, 0x7fffffff, v0
	v_cmp_gt_u64_e32 vcc, s[78:79], v[20:21]
	v_and_b32_sdwa v17, v0, s80 dst_sel:DWORD dst_unused:UNUSED_PAD src0_sel:BYTE_3 src1_sel:DWORD
                                        ; implicit-def: $vgpr49
	s_and_saveexec_b64 s[28:29], vcc
	s_xor_b64 s[36:37], exec, s[28:29]
	s_cbranch_execz .LBB6_6381
; %bb.6368:                             ;   in Loop: Header=BB6_6130 Depth=3
	v_cmp_ne_u32_e32 vcc, 0, v0
	v_mov_b32_e32 v49, 0
	s_and_saveexec_b64 s[38:39], vcc
	s_cbranch_execz .LBB6_6380
; %bb.6369:                             ;   in Loop: Header=BB6_6130 Depth=3
	v_bfe_u32 v33, v0, 23, 8
	v_and_b32_e32 v1, 0x7fffff, v0
	v_cmp_gt_u32_e64 s[28:29], s47, v33
	v_sub_u32_e32 v0, 0x79, v33
	v_cmp_eq_u32_e32 vcc, 0, v33
	v_cndmask_b32_e64 v0, 0, v0, s[28:29]
	v_mov_b32_e32 v20, 0x78
	v_cndmask_b32_e32 v34, v0, v20, vcc
	v_or_b32_e32 v2, 0x800000, v1
	v_add_u32_e32 v0, 20, v34
	v_cndmask_b32_e32 v20, v2, v1, vcc
	v_lshlrev_b64 v[0:1], v0, -1
	v_add_u32_e32 v2, 19, v34
	v_lshlrev_b64 v[36:37], v2, 1
	v_bfi_b32 v1, v1, 0, 0
	v_bfi_b32 v0, v0, 0, v20
	v_cmp_eq_u64_e64 s[28:29], v[0:1], v[36:37]
	v_lshrrev_b64 v[0:1], v34, v[20:21]
	v_mov_b32_e32 v2, v1
	v_mov_b32_e32 v1, v0
	s_and_saveexec_b64 s[48:49], s[28:29]
; %bb.6370:                             ;   in Loop: Header=BB6_6130 Depth=3
	v_bfe_u32 v1, v0, 20, 1
	v_add_co_u32_e64 v1, s[28:29], v0, v1
	v_add_co_u32_e64 v1, s[28:29], -1, v1
; %bb.6371:                             ;   in Loop: Header=BB6_6130 Depth=3
	s_or_b64 exec, exec, s[48:49]
	v_add_u32_e32 v2, 0xffffff81, v33
	v_mov_b32_e32 v20, 0xffffff82
	v_cndmask_b32_e32 v2, v2, v20, vcc
	v_lshrrev_b32_e32 v20, 23, v0
	v_add3_u32 v34, v34, v2, v20
	v_add_u32_e32 v33, 6, v34
	v_and_b32_e32 v1, 0xfffff, v1
	v_add_u32_e32 v20, v1, v0
	v_cmp_ne_u32_e32 vcc, 0, v33
                                        ; implicit-def: $vgpr0_vgpr1
                                        ; implicit-def: $vgpr2
	s_and_saveexec_b64 s[28:29], vcc
	s_xor_b64 s[28:29], exec, s[28:29]
; %bb.6372:                             ;   in Loop: Header=BB6_6130 Depth=3
	v_cmp_lt_u64_e32 vcc, s[88:89], v[20:21]
	v_add_u32_e32 v0, 7, v34
	v_cndmask_b32_e32 v2, v33, v0, vcc
	v_cndmask_b32_e64 v0, 0, 1, vcc
	v_lshrrev_b64 v[0:1], v0, v[20:21]
; %bb.6373:                             ;   in Loop: Header=BB6_6130 Depth=3
	s_andn2_saveexec_b64 s[28:29], s[28:29]
; %bb.6374:                             ;   in Loop: Header=BB6_6130 Depth=3
	v_mov_b32_e32 v0, v20
	v_bfe_u32 v2, v20, 23, 1
	v_mov_b32_e32 v1, v21
; %bb.6375:                             ;   in Loop: Header=BB6_6130 Depth=3
	s_or_b64 exec, exec, s[28:29]
	v_lshrrev_b64 v[0:1], 20, v[0:1]
	v_cmp_gt_i32_e32 vcc, 16, v2
	v_cndmask_b32_e32 v1, 0, v1, vcc
	v_cndmask_b32_e32 v0, 7, v0, vcc
	v_cmp_ne_u64_e32 vcc, 0, v[0:1]
	v_cmp_ne_u32_e64 s[28:29], 0, v2
	s_or_b64 s[28:29], s[28:29], vcc
                                        ; implicit-def: $vgpr49
	s_and_saveexec_b64 vcc, s[28:29]
	s_xor_b64 s[28:29], exec, vcc
; %bb.6376:                             ;   in Loop: Header=BB6_6130 Depth=3
	v_min_i32_e32 v1, 15, v2
	v_lshl_or_b32 v1, v1, 3, v17
	v_and_or_b32 v49, v0, 7, v1
                                        ; implicit-def: $vgpr17
; %bb.6377:                             ;   in Loop: Header=BB6_6130 Depth=3
	s_andn2_saveexec_b64 s[28:29], s[28:29]
; %bb.6378:                             ;   in Loop: Header=BB6_6130 Depth=3
	v_mov_b32_e32 v49, v17
; %bb.6379:                             ;   in Loop: Header=BB6_6130 Depth=3
	s_or_b64 exec, exec, s[28:29]
.LBB6_6380:                             ;   in Loop: Header=BB6_6130 Depth=3
	s_or_b64 exec, exec, s[38:39]
                                        ; implicit-def: $vgpr17
.LBB6_6381:                             ;   in Loop: Header=BB6_6130 Depth=3
	s_andn2_saveexec_b64 s[28:29], s[36:37]
; %bb.6382:                             ;   in Loop: Header=BB6_6130 Depth=3
	v_or_b32_e32 v49, 0x7e, v17
; %bb.6383:                             ;   in Loop: Header=BB6_6130 Depth=3
	s_or_b64 exec, exec, s[28:29]
                                        ; implicit-def: $vgpr0
.LBB6_6384:                             ;   in Loop: Header=BB6_6130 Depth=3
	s_andn2_saveexec_b64 s[28:29], s[34:35]
; %bb.6385:                             ;   in Loop: Header=BB6_6130 Depth=3
	v_or_b32_sdwa v49, v0, s81 dst_sel:DWORD dst_unused:UNUSED_PAD src0_sel:BYTE_3 src1_sel:DWORD
; %bb.6386:                             ;   in Loop: Header=BB6_6130 Depth=3
	s_or_b64 exec, exec, s[28:29]
	v_and_b32_e32 v0, 0xff, v31
	v_cmp_ne_u16_e32 vcc, 0, v0
	v_mov_b32_e32 v1, 0
	v_mov_b32_e32 v2, 0
	s_and_saveexec_b64 s[28:29], vcc
	s_cbranch_execz .LBB6_6392
; %bb.6387:                             ;   in Loop: Header=BB6_6130 Depth=3
	v_cmp_ne_u16_e32 vcc, s80, v0
	v_bfrev_b32_e32 v2, 1
	s_and_saveexec_b64 s[34:35], vcc
	s_cbranch_execz .LBB6_6391
; %bb.6388:                             ;   in Loop: Header=BB6_6130 Depth=3
	v_and_b32_e32 v17, 0x7f, v31
	v_cmp_ne_u32_e32 vcc, s81, v17
	v_mov_b32_e32 v2, 0x7f800001
	s_and_saveexec_b64 s[36:37], vcc
	s_cbranch_execz .LBB6_6390
; %bb.6389:                             ;   in Loop: Header=BB6_6130 Depth=3
	v_and_b32_e32 v2, 7, v0
	v_lshrrev_b32_e32 v20, 3, v17
	v_cmp_gt_u32_e32 vcc, 8, v17
	v_ffbh_u32_e32 v17, v2
	v_min_u32_e32 v17, 32, v17
	v_subrev_u32_e32 v33, 28, v17
	v_lshlrev_b64 v[33:34], v33, v[0:1]
	v_sub_u32_e32 v0, 29, v17
	v_and_b32_e32 v17, 7, v33
	v_cndmask_b32_e32 v0, v20, v0, vcc
	v_cndmask_b32_e32 v2, v2, v17, vcc
	v_lshlrev_b32_e32 v17, 24, v31
	v_bfrev_b32_e32 v20, 60
	v_lshlrev_b32_e32 v2, 20, v2
	v_and_b32_e32 v17, 0x80000000, v17
	v_lshl_add_u32 v0, v0, 23, v20
	v_or3_b32 v2, v17, v0, v2
.LBB6_6390:                             ;   in Loop: Header=BB6_6130 Depth=3
	s_or_b64 exec, exec, s[36:37]
.LBB6_6391:                             ;   in Loop: Header=BB6_6130 Depth=3
	s_or_b64 exec, exec, s[34:35]
.LBB6_6392:                             ;   in Loop: Header=BB6_6130 Depth=3
	s_or_b64 exec, exec, s[28:29]
	v_and_b32_e32 v0, 0xff, v53
	v_cmp_ne_u16_e32 vcc, 0, v0
	s_and_saveexec_b64 s[28:29], vcc
	s_cbranch_execz .LBB6_6398
; %bb.6393:                             ;   in Loop: Header=BB6_6130 Depth=3
	v_cmp_ne_u16_e32 vcc, s80, v0
	v_bfrev_b32_e32 v1, 1
	s_and_saveexec_b64 s[34:35], vcc
	s_cbranch_execz .LBB6_6397
; %bb.6394:                             ;   in Loop: Header=BB6_6130 Depth=3
	v_and_b32_e32 v17, 0x7f, v53
	v_cmp_ne_u32_e32 vcc, s81, v17
	v_mov_b32_e32 v1, 0x7f800001
	s_and_saveexec_b64 s[36:37], vcc
	s_cbranch_execz .LBB6_6396
; %bb.6395:                             ;   in Loop: Header=BB6_6130 Depth=3
	v_and_b32_e32 v20, 7, v0
	v_ffbh_u32_e32 v1, v20
	v_lshrrev_b32_e32 v31, 3, v17
	v_cmp_gt_u32_e32 vcc, 8, v17
	v_min_u32_e32 v17, 32, v1
	v_subrev_u32_e32 v1, 28, v17
	v_lshlrev_b64 v[0:1], v1, v[0:1]
	v_sub_u32_e32 v1, 29, v17
	v_and_b32_e32 v0, 7, v0
	v_cndmask_b32_e32 v1, v31, v1, vcc
	v_cndmask_b32_e32 v0, v20, v0, vcc
	v_lshlrev_b32_e32 v17, 24, v53
	v_bfrev_b32_e32 v20, 60
	v_lshlrev_b32_e32 v0, 20, v0
	v_and_b32_e32 v17, 0x80000000, v17
	v_lshl_add_u32 v1, v1, 23, v20
	v_or3_b32 v1, v17, v1, v0
.LBB6_6396:                             ;   in Loop: Header=BB6_6130 Depth=3
	s_or_b64 exec, exec, s[36:37]
.LBB6_6397:                             ;   in Loop: Header=BB6_6130 Depth=3
	s_or_b64 exec, exec, s[34:35]
.LBB6_6398:                             ;   in Loop: Header=BB6_6130 Depth=3
	s_or_b64 exec, exec, s[28:29]
	v_mul_f32_e32 v0, v2, v1
	v_and_b32_e32 v20, 0x7f800000, v0
	v_cmp_ne_u64_e32 vcc, s[62:63], v[20:21]
                                        ; implicit-def: $vgpr53
	s_and_saveexec_b64 s[28:29], vcc
	s_xor_b64 s[34:35], exec, s[28:29]
	s_cbranch_execz .LBB6_6416
; %bb.6399:                             ;   in Loop: Header=BB6_6130 Depth=3
	v_and_b32_e32 v20, 0x7fffffff, v0
	v_cmp_gt_u64_e32 vcc, s[78:79], v[20:21]
	v_and_b32_sdwa v17, v0, s80 dst_sel:DWORD dst_unused:UNUSED_PAD src0_sel:BYTE_3 src1_sel:DWORD
                                        ; implicit-def: $vgpr53
	s_and_saveexec_b64 s[28:29], vcc
	s_xor_b64 s[36:37], exec, s[28:29]
	s_cbranch_execz .LBB6_6413
; %bb.6400:                             ;   in Loop: Header=BB6_6130 Depth=3
	v_cmp_ne_u32_e32 vcc, 0, v0
	v_mov_b32_e32 v53, 0
	s_and_saveexec_b64 s[38:39], vcc
	s_cbranch_execz .LBB6_6412
; %bb.6401:                             ;   in Loop: Header=BB6_6130 Depth=3
	v_bfe_u32 v31, v0, 23, 8
	v_and_b32_e32 v1, 0x7fffff, v0
	v_cmp_gt_u32_e64 s[28:29], s47, v31
	v_sub_u32_e32 v0, 0x79, v31
	v_cmp_eq_u32_e32 vcc, 0, v31
	v_cndmask_b32_e64 v0, 0, v0, s[28:29]
	v_mov_b32_e32 v20, 0x78
	v_cndmask_b32_e32 v33, v0, v20, vcc
	v_or_b32_e32 v2, 0x800000, v1
	v_add_u32_e32 v0, 20, v33
	v_cndmask_b32_e32 v20, v2, v1, vcc
	v_lshlrev_b64 v[0:1], v0, -1
	v_add_u32_e32 v2, 19, v33
	v_lshlrev_b64 v[36:37], v2, 1
	v_bfi_b32 v1, v1, 0, 0
	v_bfi_b32 v0, v0, 0, v20
	v_cmp_eq_u64_e64 s[28:29], v[0:1], v[36:37]
	v_lshrrev_b64 v[0:1], v33, v[20:21]
	v_mov_b32_e32 v2, v1
	v_mov_b32_e32 v1, v0
	s_and_saveexec_b64 s[48:49], s[28:29]
; %bb.6402:                             ;   in Loop: Header=BB6_6130 Depth=3
	v_bfe_u32 v1, v0, 20, 1
	v_add_co_u32_e64 v1, s[28:29], v0, v1
	v_add_co_u32_e64 v1, s[28:29], -1, v1
; %bb.6403:                             ;   in Loop: Header=BB6_6130 Depth=3
	s_or_b64 exec, exec, s[48:49]
	v_add_u32_e32 v2, 0xffffff81, v31
	v_mov_b32_e32 v20, 0xffffff82
	v_cndmask_b32_e32 v2, v2, v20, vcc
	v_lshrrev_b32_e32 v20, 23, v0
	v_add3_u32 v33, v33, v2, v20
	v_add_u32_e32 v31, 6, v33
	v_and_b32_e32 v1, 0xfffff, v1
	v_add_u32_e32 v20, v1, v0
	v_cmp_ne_u32_e32 vcc, 0, v31
                                        ; implicit-def: $vgpr0_vgpr1
                                        ; implicit-def: $vgpr2
	s_and_saveexec_b64 s[28:29], vcc
	s_xor_b64 s[28:29], exec, s[28:29]
; %bb.6404:                             ;   in Loop: Header=BB6_6130 Depth=3
	v_cmp_lt_u64_e32 vcc, s[88:89], v[20:21]
	v_add_u32_e32 v0, 7, v33
	v_cndmask_b32_e32 v2, v31, v0, vcc
	v_cndmask_b32_e64 v0, 0, 1, vcc
	v_lshrrev_b64 v[0:1], v0, v[20:21]
; %bb.6405:                             ;   in Loop: Header=BB6_6130 Depth=3
	s_andn2_saveexec_b64 s[28:29], s[28:29]
; %bb.6406:                             ;   in Loop: Header=BB6_6130 Depth=3
	v_mov_b32_e32 v0, v20
	v_bfe_u32 v2, v20, 23, 1
	v_mov_b32_e32 v1, v21
; %bb.6407:                             ;   in Loop: Header=BB6_6130 Depth=3
	s_or_b64 exec, exec, s[28:29]
	v_lshrrev_b64 v[0:1], 20, v[0:1]
	v_cmp_gt_i32_e32 vcc, 16, v2
	v_cndmask_b32_e32 v1, 0, v1, vcc
	v_cndmask_b32_e32 v0, 7, v0, vcc
	v_cmp_ne_u64_e32 vcc, 0, v[0:1]
	v_cmp_ne_u32_e64 s[28:29], 0, v2
	s_or_b64 s[28:29], s[28:29], vcc
                                        ; implicit-def: $vgpr53
	s_and_saveexec_b64 vcc, s[28:29]
	s_xor_b64 s[28:29], exec, vcc
; %bb.6408:                             ;   in Loop: Header=BB6_6130 Depth=3
	v_min_i32_e32 v1, 15, v2
	v_lshl_or_b32 v1, v1, 3, v17
	v_and_or_b32 v53, v0, 7, v1
                                        ; implicit-def: $vgpr17
; %bb.6409:                             ;   in Loop: Header=BB6_6130 Depth=3
	s_andn2_saveexec_b64 s[28:29], s[28:29]
; %bb.6410:                             ;   in Loop: Header=BB6_6130 Depth=3
	v_mov_b32_e32 v53, v17
; %bb.6411:                             ;   in Loop: Header=BB6_6130 Depth=3
	s_or_b64 exec, exec, s[28:29]
.LBB6_6412:                             ;   in Loop: Header=BB6_6130 Depth=3
	s_or_b64 exec, exec, s[38:39]
                                        ; implicit-def: $vgpr17
.LBB6_6413:                             ;   in Loop: Header=BB6_6130 Depth=3
	s_andn2_saveexec_b64 s[28:29], s[36:37]
; %bb.6414:                             ;   in Loop: Header=BB6_6130 Depth=3
	v_or_b32_e32 v53, 0x7e, v17
; %bb.6415:                             ;   in Loop: Header=BB6_6130 Depth=3
	s_or_b64 exec, exec, s[28:29]
                                        ; implicit-def: $vgpr0
.LBB6_6416:                             ;   in Loop: Header=BB6_6130 Depth=3
	s_andn2_saveexec_b64 s[28:29], s[34:35]
; %bb.6417:                             ;   in Loop: Header=BB6_6130 Depth=3
	v_or_b32_sdwa v53, v0, s81 dst_sel:DWORD dst_unused:UNUSED_PAD src0_sel:BYTE_3 src1_sel:DWORD
; %bb.6418:                             ;   in Loop: Header=BB6_6130 Depth=3
	s_or_b64 exec, exec, s[28:29]
	v_and_b32_e32 v0, 0xff, v29
	v_cmp_ne_u16_e32 vcc, 0, v0
	v_mov_b32_e32 v1, 0
	v_mov_b32_e32 v2, 0
	s_and_saveexec_b64 s[28:29], vcc
	s_cbranch_execz .LBB6_6424
; %bb.6419:                             ;   in Loop: Header=BB6_6130 Depth=3
	v_cmp_ne_u16_e32 vcc, s80, v0
	v_bfrev_b32_e32 v2, 1
	s_and_saveexec_b64 s[34:35], vcc
	s_cbranch_execz .LBB6_6423
; %bb.6420:                             ;   in Loop: Header=BB6_6130 Depth=3
	v_and_b32_e32 v17, 0x7f, v29
	v_cmp_ne_u32_e32 vcc, s81, v17
	v_mov_b32_e32 v2, 0x7f800001
	s_and_saveexec_b64 s[36:37], vcc
	s_cbranch_execz .LBB6_6422
; %bb.6421:                             ;   in Loop: Header=BB6_6130 Depth=3
	v_and_b32_e32 v2, 7, v0
	v_lshrrev_b32_e32 v20, 3, v17
	v_cmp_gt_u32_e32 vcc, 8, v17
	v_ffbh_u32_e32 v17, v2
	v_min_u32_e32 v17, 32, v17
	v_subrev_u32_e32 v31, 28, v17
	v_lshlrev_b64 v[33:34], v31, v[0:1]
	v_sub_u32_e32 v0, 29, v17
	v_and_b32_e32 v17, 7, v33
	v_cndmask_b32_e32 v0, v20, v0, vcc
	v_cndmask_b32_e32 v2, v2, v17, vcc
	v_lshlrev_b32_e32 v17, 24, v29
	v_bfrev_b32_e32 v20, 60
	v_lshlrev_b32_e32 v2, 20, v2
	v_and_b32_e32 v17, 0x80000000, v17
	v_lshl_add_u32 v0, v0, 23, v20
	v_or3_b32 v2, v17, v0, v2
.LBB6_6422:                             ;   in Loop: Header=BB6_6130 Depth=3
	s_or_b64 exec, exec, s[36:37]
.LBB6_6423:                             ;   in Loop: Header=BB6_6130 Depth=3
	s_or_b64 exec, exec, s[34:35]
.LBB6_6424:                             ;   in Loop: Header=BB6_6130 Depth=3
	s_or_b64 exec, exec, s[28:29]
	v_and_b32_e32 v0, 0xff, v40
	v_cmp_ne_u16_e32 vcc, 0, v0
	s_and_saveexec_b64 s[28:29], vcc
	s_cbranch_execz .LBB6_6430
; %bb.6425:                             ;   in Loop: Header=BB6_6130 Depth=3
	v_cmp_ne_u16_e32 vcc, s80, v0
	v_bfrev_b32_e32 v1, 1
	s_and_saveexec_b64 s[34:35], vcc
	s_cbranch_execz .LBB6_6429
; %bb.6426:                             ;   in Loop: Header=BB6_6130 Depth=3
	v_and_b32_e32 v17, 0x7f, v40
	v_cmp_ne_u32_e32 vcc, s81, v17
	v_mov_b32_e32 v1, 0x7f800001
	s_and_saveexec_b64 s[36:37], vcc
	s_cbranch_execz .LBB6_6428
; %bb.6427:                             ;   in Loop: Header=BB6_6130 Depth=3
	v_and_b32_e32 v20, 7, v0
	v_ffbh_u32_e32 v1, v20
	v_lshrrev_b32_e32 v29, 3, v17
	v_cmp_gt_u32_e32 vcc, 8, v17
	v_min_u32_e32 v17, 32, v1
	v_subrev_u32_e32 v1, 28, v17
	v_lshlrev_b64 v[0:1], v1, v[0:1]
	v_sub_u32_e32 v1, 29, v17
	v_and_b32_e32 v0, 7, v0
	v_cndmask_b32_e32 v1, v29, v1, vcc
	v_cndmask_b32_e32 v0, v20, v0, vcc
	v_lshlrev_b32_e32 v17, 24, v40
	v_bfrev_b32_e32 v20, 60
	v_lshlrev_b32_e32 v0, 20, v0
	v_and_b32_e32 v17, 0x80000000, v17
	v_lshl_add_u32 v1, v1, 23, v20
	v_or3_b32 v1, v17, v1, v0
.LBB6_6428:                             ;   in Loop: Header=BB6_6130 Depth=3
	s_or_b64 exec, exec, s[36:37]
.LBB6_6429:                             ;   in Loop: Header=BB6_6130 Depth=3
	s_or_b64 exec, exec, s[34:35]
.LBB6_6430:                             ;   in Loop: Header=BB6_6130 Depth=3
	s_or_b64 exec, exec, s[28:29]
	v_mul_f32_e32 v0, v2, v1
	v_and_b32_e32 v20, 0x7f800000, v0
	v_cmp_ne_u64_e32 vcc, s[62:63], v[20:21]
                                        ; implicit-def: $vgpr40
	s_and_saveexec_b64 s[28:29], vcc
	s_xor_b64 s[34:35], exec, s[28:29]
	s_cbranch_execz .LBB6_6448
; %bb.6431:                             ;   in Loop: Header=BB6_6130 Depth=3
	v_and_b32_e32 v20, 0x7fffffff, v0
	v_cmp_gt_u64_e32 vcc, s[78:79], v[20:21]
	v_and_b32_sdwa v17, v0, s80 dst_sel:DWORD dst_unused:UNUSED_PAD src0_sel:BYTE_3 src1_sel:DWORD
                                        ; implicit-def: $vgpr40
	s_and_saveexec_b64 s[28:29], vcc
	s_xor_b64 s[36:37], exec, s[28:29]
	s_cbranch_execz .LBB6_6445
; %bb.6432:                             ;   in Loop: Header=BB6_6130 Depth=3
	v_cmp_ne_u32_e32 vcc, 0, v0
	v_mov_b32_e32 v40, 0
	s_and_saveexec_b64 s[38:39], vcc
	s_cbranch_execz .LBB6_6444
; %bb.6433:                             ;   in Loop: Header=BB6_6130 Depth=3
	v_bfe_u32 v29, v0, 23, 8
	v_and_b32_e32 v1, 0x7fffff, v0
	v_cmp_gt_u32_e64 s[28:29], s47, v29
	v_sub_u32_e32 v0, 0x79, v29
	v_cmp_eq_u32_e32 vcc, 0, v29
	v_cndmask_b32_e64 v0, 0, v0, s[28:29]
	v_mov_b32_e32 v20, 0x78
	v_cndmask_b32_e32 v31, v0, v20, vcc
	v_or_b32_e32 v2, 0x800000, v1
	v_add_u32_e32 v0, 20, v31
	v_cndmask_b32_e32 v20, v2, v1, vcc
	v_lshlrev_b64 v[0:1], v0, -1
	v_add_u32_e32 v2, 19, v31
	v_lshlrev_b64 v[33:34], v2, 1
	v_bfi_b32 v1, v1, 0, 0
	v_bfi_b32 v0, v0, 0, v20
	v_cmp_eq_u64_e64 s[28:29], v[0:1], v[33:34]
	v_lshrrev_b64 v[0:1], v31, v[20:21]
	v_mov_b32_e32 v2, v1
	v_mov_b32_e32 v1, v0
	s_and_saveexec_b64 s[48:49], s[28:29]
; %bb.6434:                             ;   in Loop: Header=BB6_6130 Depth=3
	v_bfe_u32 v1, v0, 20, 1
	v_add_co_u32_e64 v1, s[28:29], v0, v1
	v_add_co_u32_e64 v1, s[28:29], -1, v1
; %bb.6435:                             ;   in Loop: Header=BB6_6130 Depth=3
	s_or_b64 exec, exec, s[48:49]
	v_add_u32_e32 v2, 0xffffff81, v29
	v_mov_b32_e32 v20, 0xffffff82
	v_cndmask_b32_e32 v2, v2, v20, vcc
	v_lshrrev_b32_e32 v20, 23, v0
	v_add3_u32 v31, v31, v2, v20
	v_add_u32_e32 v29, 6, v31
	v_and_b32_e32 v1, 0xfffff, v1
	v_add_u32_e32 v20, v1, v0
	v_cmp_ne_u32_e32 vcc, 0, v29
                                        ; implicit-def: $vgpr0_vgpr1
                                        ; implicit-def: $vgpr2
	s_and_saveexec_b64 s[28:29], vcc
	s_xor_b64 s[28:29], exec, s[28:29]
; %bb.6436:                             ;   in Loop: Header=BB6_6130 Depth=3
	v_cmp_lt_u64_e32 vcc, s[88:89], v[20:21]
	v_add_u32_e32 v0, 7, v31
	v_cndmask_b32_e32 v2, v29, v0, vcc
	v_cndmask_b32_e64 v0, 0, 1, vcc
	v_lshrrev_b64 v[0:1], v0, v[20:21]
; %bb.6437:                             ;   in Loop: Header=BB6_6130 Depth=3
	s_andn2_saveexec_b64 s[28:29], s[28:29]
; %bb.6438:                             ;   in Loop: Header=BB6_6130 Depth=3
	v_mov_b32_e32 v0, v20
	v_bfe_u32 v2, v20, 23, 1
	v_mov_b32_e32 v1, v21
; %bb.6439:                             ;   in Loop: Header=BB6_6130 Depth=3
	s_or_b64 exec, exec, s[28:29]
	v_lshrrev_b64 v[0:1], 20, v[0:1]
	v_cmp_gt_i32_e32 vcc, 16, v2
	v_cndmask_b32_e32 v1, 0, v1, vcc
	v_cndmask_b32_e32 v0, 7, v0, vcc
	v_cmp_ne_u64_e32 vcc, 0, v[0:1]
	v_cmp_ne_u32_e64 s[28:29], 0, v2
	s_or_b64 s[28:29], s[28:29], vcc
                                        ; implicit-def: $vgpr40
	s_and_saveexec_b64 vcc, s[28:29]
	s_xor_b64 s[28:29], exec, vcc
; %bb.6440:                             ;   in Loop: Header=BB6_6130 Depth=3
	v_min_i32_e32 v1, 15, v2
	v_lshl_or_b32 v1, v1, 3, v17
	v_and_or_b32 v40, v0, 7, v1
                                        ; implicit-def: $vgpr17
; %bb.6441:                             ;   in Loop: Header=BB6_6130 Depth=3
	s_andn2_saveexec_b64 s[28:29], s[28:29]
; %bb.6442:                             ;   in Loop: Header=BB6_6130 Depth=3
	v_mov_b32_e32 v40, v17
; %bb.6443:                             ;   in Loop: Header=BB6_6130 Depth=3
	s_or_b64 exec, exec, s[28:29]
.LBB6_6444:                             ;   in Loop: Header=BB6_6130 Depth=3
	s_or_b64 exec, exec, s[38:39]
                                        ; implicit-def: $vgpr17
.LBB6_6445:                             ;   in Loop: Header=BB6_6130 Depth=3
	s_andn2_saveexec_b64 s[28:29], s[36:37]
; %bb.6446:                             ;   in Loop: Header=BB6_6130 Depth=3
	v_or_b32_e32 v40, 0x7e, v17
; %bb.6447:                             ;   in Loop: Header=BB6_6130 Depth=3
	s_or_b64 exec, exec, s[28:29]
                                        ; implicit-def: $vgpr0
.LBB6_6448:                             ;   in Loop: Header=BB6_6130 Depth=3
	s_andn2_saveexec_b64 s[28:29], s[34:35]
; %bb.6449:                             ;   in Loop: Header=BB6_6130 Depth=3
	v_or_b32_sdwa v40, v0, s81 dst_sel:DWORD dst_unused:UNUSED_PAD src0_sel:BYTE_3 src1_sel:DWORD
; %bb.6450:                             ;   in Loop: Header=BB6_6130 Depth=3
	s_or_b64 exec, exec, s[28:29]
	v_and_b32_e32 v0, 0xff, v27
	v_cmp_ne_u16_e32 vcc, 0, v0
	v_mov_b32_e32 v1, 0
	v_mov_b32_e32 v2, 0
	s_and_saveexec_b64 s[28:29], vcc
	s_cbranch_execz .LBB6_6456
; %bb.6451:                             ;   in Loop: Header=BB6_6130 Depth=3
	v_cmp_ne_u16_e32 vcc, s80, v0
	v_bfrev_b32_e32 v2, 1
	s_and_saveexec_b64 s[34:35], vcc
	s_cbranch_execz .LBB6_6455
; %bb.6452:                             ;   in Loop: Header=BB6_6130 Depth=3
	v_and_b32_e32 v17, 0x7f, v27
	v_cmp_ne_u32_e32 vcc, s81, v17
	v_mov_b32_e32 v2, 0x7f800001
	s_and_saveexec_b64 s[36:37], vcc
	s_cbranch_execz .LBB6_6454
; %bb.6453:                             ;   in Loop: Header=BB6_6130 Depth=3
	v_and_b32_e32 v2, 7, v0
	v_lshrrev_b32_e32 v20, 3, v17
	v_cmp_gt_u32_e32 vcc, 8, v17
	v_ffbh_u32_e32 v17, v2
	v_min_u32_e32 v17, 32, v17
	v_subrev_u32_e32 v29, 28, v17
	v_lshlrev_b64 v[33:34], v29, v[0:1]
	v_sub_u32_e32 v0, 29, v17
	v_and_b32_e32 v17, 7, v33
	v_cndmask_b32_e32 v0, v20, v0, vcc
	v_cndmask_b32_e32 v2, v2, v17, vcc
	v_lshlrev_b32_e32 v17, 24, v27
	v_bfrev_b32_e32 v20, 60
	v_lshlrev_b32_e32 v2, 20, v2
	v_and_b32_e32 v17, 0x80000000, v17
	v_lshl_add_u32 v0, v0, 23, v20
	v_or3_b32 v2, v17, v0, v2
.LBB6_6454:                             ;   in Loop: Header=BB6_6130 Depth=3
	s_or_b64 exec, exec, s[36:37]
.LBB6_6455:                             ;   in Loop: Header=BB6_6130 Depth=3
	s_or_b64 exec, exec, s[34:35]
.LBB6_6456:                             ;   in Loop: Header=BB6_6130 Depth=3
	s_or_b64 exec, exec, s[28:29]
	v_and_b32_e32 v0, 0xff, v44
	v_cmp_ne_u16_e32 vcc, 0, v0
	s_and_saveexec_b64 s[28:29], vcc
	s_cbranch_execz .LBB6_6462
; %bb.6457:                             ;   in Loop: Header=BB6_6130 Depth=3
	v_cmp_ne_u16_e32 vcc, s80, v0
	v_bfrev_b32_e32 v1, 1
	s_and_saveexec_b64 s[34:35], vcc
	s_cbranch_execz .LBB6_6461
; %bb.6458:                             ;   in Loop: Header=BB6_6130 Depth=3
	v_and_b32_e32 v17, 0x7f, v44
	v_cmp_ne_u32_e32 vcc, s81, v17
	v_mov_b32_e32 v1, 0x7f800001
	s_and_saveexec_b64 s[36:37], vcc
	s_cbranch_execz .LBB6_6460
; %bb.6459:                             ;   in Loop: Header=BB6_6130 Depth=3
	v_and_b32_e32 v20, 7, v0
	v_ffbh_u32_e32 v1, v20
	v_lshrrev_b32_e32 v27, 3, v17
	v_cmp_gt_u32_e32 vcc, 8, v17
	v_min_u32_e32 v17, 32, v1
	v_subrev_u32_e32 v1, 28, v17
	v_lshlrev_b64 v[0:1], v1, v[0:1]
	v_sub_u32_e32 v1, 29, v17
	v_and_b32_e32 v0, 7, v0
	v_cndmask_b32_e32 v1, v27, v1, vcc
	v_cndmask_b32_e32 v0, v20, v0, vcc
	v_lshlrev_b32_e32 v17, 24, v44
	v_bfrev_b32_e32 v20, 60
	v_lshlrev_b32_e32 v0, 20, v0
	v_and_b32_e32 v17, 0x80000000, v17
	v_lshl_add_u32 v1, v1, 23, v20
	v_or3_b32 v1, v17, v1, v0
.LBB6_6460:                             ;   in Loop: Header=BB6_6130 Depth=3
	s_or_b64 exec, exec, s[36:37]
.LBB6_6461:                             ;   in Loop: Header=BB6_6130 Depth=3
	s_or_b64 exec, exec, s[34:35]
.LBB6_6462:                             ;   in Loop: Header=BB6_6130 Depth=3
	s_or_b64 exec, exec, s[28:29]
	v_mul_f32_e32 v0, v2, v1
	v_and_b32_e32 v20, 0x7f800000, v0
	v_cmp_ne_u64_e32 vcc, s[62:63], v[20:21]
                                        ; implicit-def: $vgpr44
	s_and_saveexec_b64 s[28:29], vcc
	s_xor_b64 s[34:35], exec, s[28:29]
	s_cbranch_execz .LBB6_6480
; %bb.6463:                             ;   in Loop: Header=BB6_6130 Depth=3
	v_and_b32_e32 v20, 0x7fffffff, v0
	v_cmp_gt_u64_e32 vcc, s[78:79], v[20:21]
	v_and_b32_sdwa v17, v0, s80 dst_sel:DWORD dst_unused:UNUSED_PAD src0_sel:BYTE_3 src1_sel:DWORD
                                        ; implicit-def: $vgpr44
	s_and_saveexec_b64 s[28:29], vcc
	s_xor_b64 s[36:37], exec, s[28:29]
	s_cbranch_execz .LBB6_6477
; %bb.6464:                             ;   in Loop: Header=BB6_6130 Depth=3
	v_cmp_ne_u32_e32 vcc, 0, v0
	v_mov_b32_e32 v44, 0
	s_and_saveexec_b64 s[38:39], vcc
	s_cbranch_execz .LBB6_6476
; %bb.6465:                             ;   in Loop: Header=BB6_6130 Depth=3
	v_bfe_u32 v27, v0, 23, 8
	v_and_b32_e32 v1, 0x7fffff, v0
	v_cmp_gt_u32_e64 s[28:29], s47, v27
	v_sub_u32_e32 v0, 0x79, v27
	v_cmp_eq_u32_e32 vcc, 0, v27
	v_cndmask_b32_e64 v0, 0, v0, s[28:29]
	v_mov_b32_e32 v20, 0x78
	v_cndmask_b32_e32 v29, v0, v20, vcc
	v_or_b32_e32 v2, 0x800000, v1
	v_add_u32_e32 v0, 20, v29
	v_cndmask_b32_e32 v20, v2, v1, vcc
	v_lshlrev_b64 v[0:1], v0, -1
	v_add_u32_e32 v2, 19, v29
	v_lshlrev_b64 v[33:34], v2, 1
	v_bfi_b32 v1, v1, 0, 0
	v_bfi_b32 v0, v0, 0, v20
	v_cmp_eq_u64_e64 s[28:29], v[0:1], v[33:34]
	v_lshrrev_b64 v[0:1], v29, v[20:21]
	v_mov_b32_e32 v2, v1
	v_mov_b32_e32 v1, v0
	s_and_saveexec_b64 s[48:49], s[28:29]
; %bb.6466:                             ;   in Loop: Header=BB6_6130 Depth=3
	v_bfe_u32 v1, v0, 20, 1
	v_add_co_u32_e64 v1, s[28:29], v0, v1
	v_add_co_u32_e64 v1, s[28:29], -1, v1
; %bb.6467:                             ;   in Loop: Header=BB6_6130 Depth=3
	s_or_b64 exec, exec, s[48:49]
	v_add_u32_e32 v2, 0xffffff81, v27
	v_mov_b32_e32 v20, 0xffffff82
	v_cndmask_b32_e32 v2, v2, v20, vcc
	v_lshrrev_b32_e32 v20, 23, v0
	v_add3_u32 v29, v29, v2, v20
	v_add_u32_e32 v27, 6, v29
	v_and_b32_e32 v1, 0xfffff, v1
	v_add_u32_e32 v20, v1, v0
	v_cmp_ne_u32_e32 vcc, 0, v27
                                        ; implicit-def: $vgpr0_vgpr1
                                        ; implicit-def: $vgpr2
	s_and_saveexec_b64 s[28:29], vcc
	s_xor_b64 s[28:29], exec, s[28:29]
; %bb.6468:                             ;   in Loop: Header=BB6_6130 Depth=3
	v_cmp_lt_u64_e32 vcc, s[88:89], v[20:21]
	v_add_u32_e32 v0, 7, v29
	v_cndmask_b32_e32 v2, v27, v0, vcc
	v_cndmask_b32_e64 v0, 0, 1, vcc
	v_lshrrev_b64 v[0:1], v0, v[20:21]
; %bb.6469:                             ;   in Loop: Header=BB6_6130 Depth=3
	s_andn2_saveexec_b64 s[28:29], s[28:29]
; %bb.6470:                             ;   in Loop: Header=BB6_6130 Depth=3
	v_mov_b32_e32 v0, v20
	v_bfe_u32 v2, v20, 23, 1
	v_mov_b32_e32 v1, v21
; %bb.6471:                             ;   in Loop: Header=BB6_6130 Depth=3
	s_or_b64 exec, exec, s[28:29]
	v_lshrrev_b64 v[0:1], 20, v[0:1]
	v_cmp_gt_i32_e32 vcc, 16, v2
	v_cndmask_b32_e32 v1, 0, v1, vcc
	v_cndmask_b32_e32 v0, 7, v0, vcc
	v_cmp_ne_u64_e32 vcc, 0, v[0:1]
	v_cmp_ne_u32_e64 s[28:29], 0, v2
	s_or_b64 s[28:29], s[28:29], vcc
                                        ; implicit-def: $vgpr44
	s_and_saveexec_b64 vcc, s[28:29]
	s_xor_b64 s[28:29], exec, vcc
; %bb.6472:                             ;   in Loop: Header=BB6_6130 Depth=3
	v_min_i32_e32 v1, 15, v2
	v_lshl_or_b32 v1, v1, 3, v17
	v_and_or_b32 v44, v0, 7, v1
                                        ; implicit-def: $vgpr17
; %bb.6473:                             ;   in Loop: Header=BB6_6130 Depth=3
	s_andn2_saveexec_b64 s[28:29], s[28:29]
; %bb.6474:                             ;   in Loop: Header=BB6_6130 Depth=3
	v_mov_b32_e32 v44, v17
; %bb.6475:                             ;   in Loop: Header=BB6_6130 Depth=3
	s_or_b64 exec, exec, s[28:29]
.LBB6_6476:                             ;   in Loop: Header=BB6_6130 Depth=3
	s_or_b64 exec, exec, s[38:39]
                                        ; implicit-def: $vgpr17
.LBB6_6477:                             ;   in Loop: Header=BB6_6130 Depth=3
	s_andn2_saveexec_b64 s[28:29], s[36:37]
; %bb.6478:                             ;   in Loop: Header=BB6_6130 Depth=3
	v_or_b32_e32 v44, 0x7e, v17
; %bb.6479:                             ;   in Loop: Header=BB6_6130 Depth=3
	s_or_b64 exec, exec, s[28:29]
                                        ; implicit-def: $vgpr0
.LBB6_6480:                             ;   in Loop: Header=BB6_6130 Depth=3
	s_andn2_saveexec_b64 s[28:29], s[34:35]
; %bb.6481:                             ;   in Loop: Header=BB6_6130 Depth=3
	v_or_b32_sdwa v44, v0, s81 dst_sel:DWORD dst_unused:UNUSED_PAD src0_sel:BYTE_3 src1_sel:DWORD
; %bb.6482:                             ;   in Loop: Header=BB6_6130 Depth=3
	s_or_b64 exec, exec, s[28:29]
	v_and_b32_e32 v0, 0xff, v26
	v_cmp_ne_u16_e32 vcc, 0, v0
	v_mov_b32_e32 v1, 0
	v_mov_b32_e32 v2, 0
	s_and_saveexec_b64 s[28:29], vcc
	s_cbranch_execz .LBB6_6488
; %bb.6483:                             ;   in Loop: Header=BB6_6130 Depth=3
	v_cmp_ne_u16_e32 vcc, s80, v0
	v_bfrev_b32_e32 v2, 1
	s_and_saveexec_b64 s[34:35], vcc
	s_cbranch_execz .LBB6_6487
; %bb.6484:                             ;   in Loop: Header=BB6_6130 Depth=3
	v_and_b32_e32 v17, 0x7f, v26
	v_cmp_ne_u32_e32 vcc, s81, v17
	v_mov_b32_e32 v2, 0x7f800001
	s_and_saveexec_b64 s[36:37], vcc
	s_cbranch_execz .LBB6_6486
; %bb.6485:                             ;   in Loop: Header=BB6_6130 Depth=3
	v_and_b32_e32 v2, 7, v0
	v_lshrrev_b32_e32 v20, 3, v17
	v_cmp_gt_u32_e32 vcc, 8, v17
	v_ffbh_u32_e32 v17, v2
	v_min_u32_e32 v17, 32, v17
	v_subrev_u32_e32 v27, 28, v17
	v_lshlrev_b64 v[33:34], v27, v[0:1]
	v_sub_u32_e32 v0, 29, v17
	v_and_b32_e32 v17, 7, v33
	v_cndmask_b32_e32 v0, v20, v0, vcc
	v_cndmask_b32_e32 v2, v2, v17, vcc
	v_lshlrev_b32_e32 v17, 24, v26
	v_bfrev_b32_e32 v20, 60
	v_lshlrev_b32_e32 v2, 20, v2
	v_and_b32_e32 v17, 0x80000000, v17
	v_lshl_add_u32 v0, v0, 23, v20
	v_or3_b32 v2, v17, v0, v2
.LBB6_6486:                             ;   in Loop: Header=BB6_6130 Depth=3
	s_or_b64 exec, exec, s[36:37]
.LBB6_6487:                             ;   in Loop: Header=BB6_6130 Depth=3
	s_or_b64 exec, exec, s[34:35]
.LBB6_6488:                             ;   in Loop: Header=BB6_6130 Depth=3
	s_or_b64 exec, exec, s[28:29]
	v_and_b32_e32 v0, 0xff, v57
	v_cmp_ne_u16_e32 vcc, 0, v0
	s_and_saveexec_b64 s[28:29], vcc
	s_cbranch_execz .LBB6_6494
; %bb.6489:                             ;   in Loop: Header=BB6_6130 Depth=3
	v_cmp_ne_u16_e32 vcc, s80, v0
	v_bfrev_b32_e32 v1, 1
	s_and_saveexec_b64 s[34:35], vcc
	s_cbranch_execz .LBB6_6493
; %bb.6490:                             ;   in Loop: Header=BB6_6130 Depth=3
	v_and_b32_e32 v17, 0x7f, v57
	v_cmp_ne_u32_e32 vcc, s81, v17
	v_mov_b32_e32 v1, 0x7f800001
	s_and_saveexec_b64 s[36:37], vcc
	s_cbranch_execz .LBB6_6492
; %bb.6491:                             ;   in Loop: Header=BB6_6130 Depth=3
	v_and_b32_e32 v20, 7, v0
	v_ffbh_u32_e32 v1, v20
	v_lshrrev_b32_e32 v26, 3, v17
	v_cmp_gt_u32_e32 vcc, 8, v17
	v_min_u32_e32 v17, 32, v1
	v_subrev_u32_e32 v1, 28, v17
	v_lshlrev_b64 v[0:1], v1, v[0:1]
	v_sub_u32_e32 v1, 29, v17
	v_and_b32_e32 v0, 7, v0
	v_cndmask_b32_e32 v1, v26, v1, vcc
	v_cndmask_b32_e32 v0, v20, v0, vcc
	v_lshlrev_b32_e32 v17, 24, v57
	v_bfrev_b32_e32 v20, 60
	v_lshlrev_b32_e32 v0, 20, v0
	v_and_b32_e32 v17, 0x80000000, v17
	v_lshl_add_u32 v1, v1, 23, v20
	v_or3_b32 v1, v17, v1, v0
.LBB6_6492:                             ;   in Loop: Header=BB6_6130 Depth=3
	s_or_b64 exec, exec, s[36:37]
.LBB6_6493:                             ;   in Loop: Header=BB6_6130 Depth=3
	s_or_b64 exec, exec, s[34:35]
.LBB6_6494:                             ;   in Loop: Header=BB6_6130 Depth=3
	s_or_b64 exec, exec, s[28:29]
	v_mul_f32_e32 v0, v2, v1
	v_and_b32_e32 v20, 0x7f800000, v0
	v_cmp_ne_u64_e32 vcc, s[62:63], v[20:21]
                                        ; implicit-def: $vgpr57
	s_and_saveexec_b64 s[28:29], vcc
	s_xor_b64 s[34:35], exec, s[28:29]
	s_cbranch_execz .LBB6_6512
; %bb.6495:                             ;   in Loop: Header=BB6_6130 Depth=3
	v_and_b32_e32 v20, 0x7fffffff, v0
	v_cmp_gt_u64_e32 vcc, s[78:79], v[20:21]
	v_and_b32_sdwa v17, v0, s80 dst_sel:DWORD dst_unused:UNUSED_PAD src0_sel:BYTE_3 src1_sel:DWORD
                                        ; implicit-def: $vgpr57
	s_and_saveexec_b64 s[28:29], vcc
	s_xor_b64 s[36:37], exec, s[28:29]
	s_cbranch_execz .LBB6_6509
; %bb.6496:                             ;   in Loop: Header=BB6_6130 Depth=3
	v_cmp_ne_u32_e32 vcc, 0, v0
	v_mov_b32_e32 v57, 0
	s_and_saveexec_b64 s[38:39], vcc
	s_cbranch_execz .LBB6_6508
; %bb.6497:                             ;   in Loop: Header=BB6_6130 Depth=3
	v_bfe_u32 v26, v0, 23, 8
	v_and_b32_e32 v1, 0x7fffff, v0
	v_cmp_gt_u32_e64 s[28:29], s47, v26
	v_sub_u32_e32 v0, 0x79, v26
	v_cmp_eq_u32_e32 vcc, 0, v26
	v_cndmask_b32_e64 v0, 0, v0, s[28:29]
	v_mov_b32_e32 v20, 0x78
	v_cndmask_b32_e32 v27, v0, v20, vcc
	v_or_b32_e32 v2, 0x800000, v1
	v_add_u32_e32 v0, 20, v27
	v_cndmask_b32_e32 v20, v2, v1, vcc
	v_lshlrev_b64 v[0:1], v0, -1
	v_add_u32_e32 v2, 19, v27
	v_lshlrev_b64 v[33:34], v2, 1
	v_bfi_b32 v1, v1, 0, 0
	v_bfi_b32 v0, v0, 0, v20
	v_cmp_eq_u64_e64 s[28:29], v[0:1], v[33:34]
	v_lshrrev_b64 v[0:1], v27, v[20:21]
	v_mov_b32_e32 v2, v1
	v_mov_b32_e32 v1, v0
	s_and_saveexec_b64 s[48:49], s[28:29]
; %bb.6498:                             ;   in Loop: Header=BB6_6130 Depth=3
	v_bfe_u32 v1, v0, 20, 1
	v_add_co_u32_e64 v1, s[28:29], v0, v1
	v_add_co_u32_e64 v1, s[28:29], -1, v1
; %bb.6499:                             ;   in Loop: Header=BB6_6130 Depth=3
	s_or_b64 exec, exec, s[48:49]
	v_add_u32_e32 v2, 0xffffff81, v26
	v_mov_b32_e32 v20, 0xffffff82
	v_cndmask_b32_e32 v2, v2, v20, vcc
	v_lshrrev_b32_e32 v20, 23, v0
	v_add3_u32 v27, v27, v2, v20
	v_add_u32_e32 v26, 6, v27
	v_and_b32_e32 v1, 0xfffff, v1
	v_add_u32_e32 v20, v1, v0
	v_cmp_ne_u32_e32 vcc, 0, v26
                                        ; implicit-def: $vgpr0_vgpr1
                                        ; implicit-def: $vgpr2
	s_and_saveexec_b64 s[28:29], vcc
	s_xor_b64 s[28:29], exec, s[28:29]
; %bb.6500:                             ;   in Loop: Header=BB6_6130 Depth=3
	v_cmp_lt_u64_e32 vcc, s[88:89], v[20:21]
	v_add_u32_e32 v0, 7, v27
	v_cndmask_b32_e32 v2, v26, v0, vcc
	v_cndmask_b32_e64 v0, 0, 1, vcc
	v_lshrrev_b64 v[0:1], v0, v[20:21]
; %bb.6501:                             ;   in Loop: Header=BB6_6130 Depth=3
	s_andn2_saveexec_b64 s[28:29], s[28:29]
; %bb.6502:                             ;   in Loop: Header=BB6_6130 Depth=3
	v_mov_b32_e32 v0, v20
	v_bfe_u32 v2, v20, 23, 1
	v_mov_b32_e32 v1, v21
; %bb.6503:                             ;   in Loop: Header=BB6_6130 Depth=3
	s_or_b64 exec, exec, s[28:29]
	v_lshrrev_b64 v[0:1], 20, v[0:1]
	v_cmp_gt_i32_e32 vcc, 16, v2
	v_cndmask_b32_e32 v1, 0, v1, vcc
	v_cndmask_b32_e32 v0, 7, v0, vcc
	v_cmp_ne_u64_e32 vcc, 0, v[0:1]
	v_cmp_ne_u32_e64 s[28:29], 0, v2
	s_or_b64 s[28:29], s[28:29], vcc
                                        ; implicit-def: $vgpr57
	s_and_saveexec_b64 vcc, s[28:29]
	s_xor_b64 s[28:29], exec, vcc
; %bb.6504:                             ;   in Loop: Header=BB6_6130 Depth=3
	v_min_i32_e32 v1, 15, v2
	v_lshl_or_b32 v1, v1, 3, v17
	v_and_or_b32 v57, v0, 7, v1
                                        ; implicit-def: $vgpr17
; %bb.6505:                             ;   in Loop: Header=BB6_6130 Depth=3
	s_andn2_saveexec_b64 s[28:29], s[28:29]
; %bb.6506:                             ;   in Loop: Header=BB6_6130 Depth=3
	v_mov_b32_e32 v57, v17
; %bb.6507:                             ;   in Loop: Header=BB6_6130 Depth=3
	s_or_b64 exec, exec, s[28:29]
.LBB6_6508:                             ;   in Loop: Header=BB6_6130 Depth=3
	s_or_b64 exec, exec, s[38:39]
                                        ; implicit-def: $vgpr17
.LBB6_6509:                             ;   in Loop: Header=BB6_6130 Depth=3
	s_andn2_saveexec_b64 s[28:29], s[36:37]
; %bb.6510:                             ;   in Loop: Header=BB6_6130 Depth=3
	v_or_b32_e32 v57, 0x7e, v17
; %bb.6511:                             ;   in Loop: Header=BB6_6130 Depth=3
	s_or_b64 exec, exec, s[28:29]
                                        ; implicit-def: $vgpr0
.LBB6_6512:                             ;   in Loop: Header=BB6_6130 Depth=3
	s_andn2_saveexec_b64 s[28:29], s[34:35]
; %bb.6513:                             ;   in Loop: Header=BB6_6130 Depth=3
	v_or_b32_sdwa v57, v0, s81 dst_sel:DWORD dst_unused:UNUSED_PAD src0_sel:BYTE_3 src1_sel:DWORD
; %bb.6514:                             ;   in Loop: Header=BB6_6130 Depth=3
	s_or_b64 exec, exec, s[28:29]
	v_and_b32_e32 v0, 0xff, v24
	v_cmp_ne_u16_e32 vcc, 0, v0
	v_mov_b32_e32 v1, 0
	v_mov_b32_e32 v2, 0
	s_and_saveexec_b64 s[28:29], vcc
	s_cbranch_execz .LBB6_6520
; %bb.6515:                             ;   in Loop: Header=BB6_6130 Depth=3
	v_cmp_ne_u16_e32 vcc, s80, v0
	v_bfrev_b32_e32 v2, 1
	s_and_saveexec_b64 s[34:35], vcc
	s_cbranch_execz .LBB6_6519
; %bb.6516:                             ;   in Loop: Header=BB6_6130 Depth=3
	v_and_b32_e32 v17, 0x7f, v24
	v_cmp_ne_u32_e32 vcc, s81, v17
	v_mov_b32_e32 v2, 0x7f800001
	s_and_saveexec_b64 s[36:37], vcc
	s_cbranch_execz .LBB6_6518
; %bb.6517:                             ;   in Loop: Header=BB6_6130 Depth=3
	v_and_b32_e32 v2, 7, v0
	v_lshrrev_b32_e32 v20, 3, v17
	v_cmp_gt_u32_e32 vcc, 8, v17
	v_ffbh_u32_e32 v17, v2
	v_min_u32_e32 v17, 32, v17
	v_subrev_u32_e32 v26, 28, v17
	v_lshlrev_b64 v[26:27], v26, v[0:1]
	v_sub_u32_e32 v0, 29, v17
	v_and_b32_e32 v17, 7, v26
	v_cndmask_b32_e32 v0, v20, v0, vcc
	v_cndmask_b32_e32 v2, v2, v17, vcc
	v_lshlrev_b32_e32 v17, 24, v24
	v_bfrev_b32_e32 v20, 60
	v_lshlrev_b32_e32 v2, 20, v2
	v_and_b32_e32 v17, 0x80000000, v17
	v_lshl_add_u32 v0, v0, 23, v20
	v_or3_b32 v2, v17, v0, v2
.LBB6_6518:                             ;   in Loop: Header=BB6_6130 Depth=3
	s_or_b64 exec, exec, s[36:37]
.LBB6_6519:                             ;   in Loop: Header=BB6_6130 Depth=3
	s_or_b64 exec, exec, s[34:35]
.LBB6_6520:                             ;   in Loop: Header=BB6_6130 Depth=3
	s_or_b64 exec, exec, s[28:29]
	v_and_b32_e32 v0, 0xff, v60
	v_cmp_ne_u16_e32 vcc, 0, v0
	s_and_saveexec_b64 s[28:29], vcc
	s_cbranch_execz .LBB6_6526
; %bb.6521:                             ;   in Loop: Header=BB6_6130 Depth=3
	v_cmp_ne_u16_e32 vcc, s80, v0
	v_bfrev_b32_e32 v1, 1
	s_and_saveexec_b64 s[34:35], vcc
	s_cbranch_execz .LBB6_6525
; %bb.6522:                             ;   in Loop: Header=BB6_6130 Depth=3
	v_and_b32_e32 v17, 0x7f, v60
	v_cmp_ne_u32_e32 vcc, s81, v17
	v_mov_b32_e32 v1, 0x7f800001
	s_and_saveexec_b64 s[36:37], vcc
	s_cbranch_execz .LBB6_6524
; %bb.6523:                             ;   in Loop: Header=BB6_6130 Depth=3
	v_and_b32_e32 v20, 7, v0
	v_ffbh_u32_e32 v1, v20
	v_lshrrev_b32_e32 v24, 3, v17
	v_cmp_gt_u32_e32 vcc, 8, v17
	v_min_u32_e32 v17, 32, v1
	v_subrev_u32_e32 v1, 28, v17
	v_lshlrev_b64 v[0:1], v1, v[0:1]
	v_sub_u32_e32 v1, 29, v17
	v_and_b32_e32 v0, 7, v0
	v_cndmask_b32_e32 v1, v24, v1, vcc
	v_cndmask_b32_e32 v0, v20, v0, vcc
	v_lshlrev_b32_e32 v17, 24, v60
	v_bfrev_b32_e32 v20, 60
	v_lshlrev_b32_e32 v0, 20, v0
	v_and_b32_e32 v17, 0x80000000, v17
	v_lshl_add_u32 v1, v1, 23, v20
	v_or3_b32 v1, v17, v1, v0
.LBB6_6524:                             ;   in Loop: Header=BB6_6130 Depth=3
	s_or_b64 exec, exec, s[36:37]
.LBB6_6525:                             ;   in Loop: Header=BB6_6130 Depth=3
	s_or_b64 exec, exec, s[34:35]
.LBB6_6526:                             ;   in Loop: Header=BB6_6130 Depth=3
	s_or_b64 exec, exec, s[28:29]
	v_mul_f32_e32 v0, v2, v1
	v_and_b32_e32 v20, 0x7f800000, v0
	v_cmp_ne_u64_e32 vcc, s[62:63], v[20:21]
                                        ; implicit-def: $vgpr60
	s_and_saveexec_b64 s[28:29], vcc
	s_xor_b64 s[34:35], exec, s[28:29]
	s_cbranch_execz .LBB6_6544
; %bb.6527:                             ;   in Loop: Header=BB6_6130 Depth=3
	v_and_b32_e32 v20, 0x7fffffff, v0
	v_cmp_gt_u64_e32 vcc, s[78:79], v[20:21]
	v_and_b32_sdwa v17, v0, s80 dst_sel:DWORD dst_unused:UNUSED_PAD src0_sel:BYTE_3 src1_sel:DWORD
                                        ; implicit-def: $vgpr60
	s_and_saveexec_b64 s[28:29], vcc
	s_xor_b64 s[36:37], exec, s[28:29]
	s_cbranch_execz .LBB6_6541
; %bb.6528:                             ;   in Loop: Header=BB6_6130 Depth=3
	v_cmp_ne_u32_e32 vcc, 0, v0
	v_mov_b32_e32 v60, 0
	s_and_saveexec_b64 s[38:39], vcc
	s_cbranch_execz .LBB6_6540
; %bb.6529:                             ;   in Loop: Header=BB6_6130 Depth=3
	v_bfe_u32 v24, v0, 23, 8
	v_and_b32_e32 v1, 0x7fffff, v0
	v_cmp_gt_u32_e64 s[28:29], s47, v24
	v_sub_u32_e32 v0, 0x79, v24
	v_cmp_eq_u32_e32 vcc, 0, v24
	v_cndmask_b32_e64 v0, 0, v0, s[28:29]
	v_mov_b32_e32 v20, 0x78
	v_cndmask_b32_e32 v26, v0, v20, vcc
	v_or_b32_e32 v2, 0x800000, v1
	v_add_u32_e32 v0, 20, v26
	v_cndmask_b32_e32 v20, v2, v1, vcc
	v_lshlrev_b64 v[0:1], v0, -1
	v_add_u32_e32 v2, 19, v26
	v_lshlrev_b64 v[33:34], v2, 1
	v_bfi_b32 v1, v1, 0, 0
	v_bfi_b32 v0, v0, 0, v20
	v_cmp_eq_u64_e64 s[28:29], v[0:1], v[33:34]
	v_lshrrev_b64 v[0:1], v26, v[20:21]
	v_mov_b32_e32 v2, v1
	v_mov_b32_e32 v1, v0
	s_and_saveexec_b64 s[48:49], s[28:29]
; %bb.6530:                             ;   in Loop: Header=BB6_6130 Depth=3
	v_bfe_u32 v1, v0, 20, 1
	v_add_co_u32_e64 v1, s[28:29], v0, v1
	v_add_co_u32_e64 v1, s[28:29], -1, v1
; %bb.6531:                             ;   in Loop: Header=BB6_6130 Depth=3
	s_or_b64 exec, exec, s[48:49]
	v_add_u32_e32 v2, 0xffffff81, v24
	v_mov_b32_e32 v20, 0xffffff82
	v_cndmask_b32_e32 v2, v2, v20, vcc
	v_lshrrev_b32_e32 v20, 23, v0
	v_add3_u32 v26, v26, v2, v20
	v_add_u32_e32 v24, 6, v26
	v_and_b32_e32 v1, 0xfffff, v1
	v_add_u32_e32 v20, v1, v0
	v_cmp_ne_u32_e32 vcc, 0, v24
                                        ; implicit-def: $vgpr0_vgpr1
                                        ; implicit-def: $vgpr2
	s_and_saveexec_b64 s[28:29], vcc
	s_xor_b64 s[28:29], exec, s[28:29]
; %bb.6532:                             ;   in Loop: Header=BB6_6130 Depth=3
	v_cmp_lt_u64_e32 vcc, s[88:89], v[20:21]
	v_add_u32_e32 v0, 7, v26
	v_cndmask_b32_e32 v2, v24, v0, vcc
	v_cndmask_b32_e64 v0, 0, 1, vcc
	v_lshrrev_b64 v[0:1], v0, v[20:21]
; %bb.6533:                             ;   in Loop: Header=BB6_6130 Depth=3
	s_andn2_saveexec_b64 s[28:29], s[28:29]
; %bb.6534:                             ;   in Loop: Header=BB6_6130 Depth=3
	v_mov_b32_e32 v0, v20
	v_bfe_u32 v2, v20, 23, 1
	v_mov_b32_e32 v1, v21
; %bb.6535:                             ;   in Loop: Header=BB6_6130 Depth=3
	s_or_b64 exec, exec, s[28:29]
	v_lshrrev_b64 v[0:1], 20, v[0:1]
	v_cmp_gt_i32_e32 vcc, 16, v2
	v_cndmask_b32_e32 v1, 0, v1, vcc
	v_cndmask_b32_e32 v0, 7, v0, vcc
	v_cmp_ne_u64_e32 vcc, 0, v[0:1]
	v_cmp_ne_u32_e64 s[28:29], 0, v2
	s_or_b64 s[28:29], s[28:29], vcc
                                        ; implicit-def: $vgpr60
	s_and_saveexec_b64 vcc, s[28:29]
	s_xor_b64 s[28:29], exec, vcc
; %bb.6536:                             ;   in Loop: Header=BB6_6130 Depth=3
	v_min_i32_e32 v1, 15, v2
	v_lshl_or_b32 v1, v1, 3, v17
	v_and_or_b32 v60, v0, 7, v1
                                        ; implicit-def: $vgpr17
; %bb.6537:                             ;   in Loop: Header=BB6_6130 Depth=3
	s_andn2_saveexec_b64 s[28:29], s[28:29]
; %bb.6538:                             ;   in Loop: Header=BB6_6130 Depth=3
	v_mov_b32_e32 v60, v17
; %bb.6539:                             ;   in Loop: Header=BB6_6130 Depth=3
	s_or_b64 exec, exec, s[28:29]
.LBB6_6540:                             ;   in Loop: Header=BB6_6130 Depth=3
	s_or_b64 exec, exec, s[38:39]
                                        ; implicit-def: $vgpr17
.LBB6_6541:                             ;   in Loop: Header=BB6_6130 Depth=3
	s_andn2_saveexec_b64 s[28:29], s[36:37]
; %bb.6542:                             ;   in Loop: Header=BB6_6130 Depth=3
	v_or_b32_e32 v60, 0x7e, v17
; %bb.6543:                             ;   in Loop: Header=BB6_6130 Depth=3
	s_or_b64 exec, exec, s[28:29]
                                        ; implicit-def: $vgpr0
.LBB6_6544:                             ;   in Loop: Header=BB6_6130 Depth=3
	s_andn2_saveexec_b64 s[28:29], s[34:35]
; %bb.6545:                             ;   in Loop: Header=BB6_6130 Depth=3
	v_or_b32_sdwa v60, v0, s81 dst_sel:DWORD dst_unused:UNUSED_PAD src0_sel:BYTE_3 src1_sel:DWORD
; %bb.6546:                             ;   in Loop: Header=BB6_6130 Depth=3
	s_or_b64 exec, exec, s[28:29]
	v_and_b32_e32 v0, 0xff, v23
	v_cmp_ne_u16_e32 vcc, 0, v0
	v_mov_b32_e32 v1, 0
	v_mov_b32_e32 v2, 0
	s_and_saveexec_b64 s[28:29], vcc
	s_cbranch_execz .LBB6_6552
; %bb.6547:                             ;   in Loop: Header=BB6_6130 Depth=3
	v_cmp_ne_u16_e32 vcc, s80, v0
	v_bfrev_b32_e32 v2, 1
	s_and_saveexec_b64 s[34:35], vcc
	s_cbranch_execz .LBB6_6551
; %bb.6548:                             ;   in Loop: Header=BB6_6130 Depth=3
	v_and_b32_e32 v17, 0x7f, v23
	v_cmp_ne_u32_e32 vcc, s81, v17
	v_mov_b32_e32 v2, 0x7f800001
	s_and_saveexec_b64 s[36:37], vcc
	s_cbranch_execz .LBB6_6550
; %bb.6549:                             ;   in Loop: Header=BB6_6130 Depth=3
	v_and_b32_e32 v2, 7, v0
	v_lshrrev_b32_e32 v20, 3, v17
	v_cmp_gt_u32_e32 vcc, 8, v17
	v_ffbh_u32_e32 v17, v2
	v_min_u32_e32 v17, 32, v17
	v_subrev_u32_e32 v24, 28, v17
	v_lshlrev_b64 v[26:27], v24, v[0:1]
	v_sub_u32_e32 v0, 29, v17
	v_and_b32_e32 v17, 7, v26
	v_cndmask_b32_e32 v0, v20, v0, vcc
	v_cndmask_b32_e32 v2, v2, v17, vcc
	v_lshlrev_b32_e32 v17, 24, v23
	v_bfrev_b32_e32 v20, 60
	v_lshlrev_b32_e32 v2, 20, v2
	v_and_b32_e32 v17, 0x80000000, v17
	v_lshl_add_u32 v0, v0, 23, v20
	v_or3_b32 v2, v17, v0, v2
.LBB6_6550:                             ;   in Loop: Header=BB6_6130 Depth=3
	s_or_b64 exec, exec, s[36:37]
.LBB6_6551:                             ;   in Loop: Header=BB6_6130 Depth=3
	s_or_b64 exec, exec, s[34:35]
.LBB6_6552:                             ;   in Loop: Header=BB6_6130 Depth=3
	s_or_b64 exec, exec, s[28:29]
	v_and_b32_e32 v0, 0xff, v16
	v_cmp_ne_u16_e32 vcc, 0, v0
	s_and_saveexec_b64 s[28:29], vcc
	s_cbranch_execz .LBB6_6558
; %bb.6553:                             ;   in Loop: Header=BB6_6130 Depth=3
	v_cmp_ne_u16_e32 vcc, s80, v0
	v_bfrev_b32_e32 v1, 1
	s_and_saveexec_b64 s[34:35], vcc
	s_cbranch_execz .LBB6_6557
; %bb.6554:                             ;   in Loop: Header=BB6_6130 Depth=3
	v_and_b32_e32 v17, 0x7f, v16
	v_cmp_ne_u32_e32 vcc, s81, v17
	v_mov_b32_e32 v1, 0x7f800001
	s_and_saveexec_b64 s[36:37], vcc
	s_cbranch_execz .LBB6_6556
; %bb.6555:                             ;   in Loop: Header=BB6_6130 Depth=3
	v_and_b32_e32 v20, 7, v0
	v_ffbh_u32_e32 v1, v20
	v_lshrrev_b32_e32 v23, 3, v17
	v_cmp_gt_u32_e32 vcc, 8, v17
	v_min_u32_e32 v17, 32, v1
	v_subrev_u32_e32 v1, 28, v17
	v_lshlrev_b64 v[0:1], v1, v[0:1]
	v_sub_u32_e32 v1, 29, v17
	v_and_b32_e32 v0, 7, v0
	v_cndmask_b32_e32 v1, v23, v1, vcc
	v_cndmask_b32_e32 v0, v20, v0, vcc
	v_lshlrev_b32_e32 v16, 24, v16
	v_bfrev_b32_e32 v17, 60
	v_lshlrev_b32_e32 v0, 20, v0
	v_and_b32_e32 v16, 0x80000000, v16
	v_lshl_add_u32 v1, v1, 23, v17
	v_or3_b32 v1, v16, v1, v0
.LBB6_6556:                             ;   in Loop: Header=BB6_6130 Depth=3
	s_or_b64 exec, exec, s[36:37]
.LBB6_6557:                             ;   in Loop: Header=BB6_6130 Depth=3
	s_or_b64 exec, exec, s[34:35]
.LBB6_6558:                             ;   in Loop: Header=BB6_6130 Depth=3
	s_or_b64 exec, exec, s[28:29]
	v_mul_f32_e32 v0, v2, v1
	v_and_b32_e32 v20, 0x7f800000, v0
	v_cmp_ne_u64_e32 vcc, s[62:63], v[20:21]
                                        ; implicit-def: $vgpr16
	s_and_saveexec_b64 s[28:29], vcc
	s_xor_b64 s[34:35], exec, s[28:29]
	s_cbranch_execz .LBB6_6576
; %bb.6559:                             ;   in Loop: Header=BB6_6130 Depth=3
	v_and_b32_e32 v20, 0x7fffffff, v0
	v_cmp_gt_u64_e32 vcc, s[78:79], v[20:21]
	v_and_b32_sdwa v17, v0, s80 dst_sel:DWORD dst_unused:UNUSED_PAD src0_sel:BYTE_3 src1_sel:DWORD
                                        ; implicit-def: $vgpr16
	s_and_saveexec_b64 s[28:29], vcc
	s_xor_b64 s[36:37], exec, s[28:29]
	s_cbranch_execz .LBB6_6573
; %bb.6560:                             ;   in Loop: Header=BB6_6130 Depth=3
	v_cmp_ne_u32_e32 vcc, 0, v0
	v_mov_b32_e32 v16, 0
	s_and_saveexec_b64 s[38:39], vcc
	s_cbranch_execz .LBB6_6572
; %bb.6561:                             ;   in Loop: Header=BB6_6130 Depth=3
	v_bfe_u32 v16, v0, 23, 8
	v_and_b32_e32 v1, 0x7fffff, v0
	v_cmp_gt_u32_e64 s[28:29], s47, v16
	v_sub_u32_e32 v0, 0x79, v16
	v_cmp_eq_u32_e32 vcc, 0, v16
	v_cndmask_b32_e64 v0, 0, v0, s[28:29]
	v_mov_b32_e32 v20, 0x78
	v_cndmask_b32_e32 v23, v0, v20, vcc
	v_or_b32_e32 v2, 0x800000, v1
	v_add_u32_e32 v0, 20, v23
	v_cndmask_b32_e32 v20, v2, v1, vcc
	v_lshlrev_b64 v[0:1], v0, -1
	v_add_u32_e32 v2, 19, v23
	v_lshlrev_b64 v[26:27], v2, 1
	v_bfi_b32 v1, v1, 0, 0
	v_bfi_b32 v0, v0, 0, v20
	v_cmp_eq_u64_e64 s[28:29], v[0:1], v[26:27]
	v_lshrrev_b64 v[0:1], v23, v[20:21]
	v_mov_b32_e32 v2, v1
	v_mov_b32_e32 v1, v0
	s_and_saveexec_b64 s[48:49], s[28:29]
; %bb.6562:                             ;   in Loop: Header=BB6_6130 Depth=3
	v_bfe_u32 v1, v0, 20, 1
	v_add_co_u32_e64 v1, s[28:29], v0, v1
	v_add_co_u32_e64 v1, s[28:29], -1, v1
; %bb.6563:                             ;   in Loop: Header=BB6_6130 Depth=3
	s_or_b64 exec, exec, s[48:49]
	v_add_u32_e32 v2, 0xffffff81, v16
	v_mov_b32_e32 v16, 0xffffff82
	v_cndmask_b32_e32 v2, v2, v16, vcc
	v_lshrrev_b32_e32 v16, 23, v0
	v_add3_u32 v23, v23, v2, v16
	v_add_u32_e32 v16, 6, v23
	v_and_b32_e32 v1, 0xfffff, v1
	v_add_u32_e32 v20, v1, v0
	v_cmp_ne_u32_e32 vcc, 0, v16
                                        ; implicit-def: $vgpr0_vgpr1
                                        ; implicit-def: $vgpr2
	s_and_saveexec_b64 s[28:29], vcc
	s_xor_b64 s[28:29], exec, s[28:29]
; %bb.6564:                             ;   in Loop: Header=BB6_6130 Depth=3
	v_cmp_lt_u64_e32 vcc, s[88:89], v[20:21]
	v_add_u32_e32 v0, 7, v23
	v_cndmask_b32_e32 v2, v16, v0, vcc
	v_cndmask_b32_e64 v0, 0, 1, vcc
	v_lshrrev_b64 v[0:1], v0, v[20:21]
; %bb.6565:                             ;   in Loop: Header=BB6_6130 Depth=3
	s_andn2_saveexec_b64 s[28:29], s[28:29]
; %bb.6566:                             ;   in Loop: Header=BB6_6130 Depth=3
	v_mov_b32_e32 v0, v20
	v_bfe_u32 v2, v20, 23, 1
	v_mov_b32_e32 v1, v21
; %bb.6567:                             ;   in Loop: Header=BB6_6130 Depth=3
	s_or_b64 exec, exec, s[28:29]
	v_lshrrev_b64 v[0:1], 20, v[0:1]
	v_cmp_gt_i32_e32 vcc, 16, v2
	v_cndmask_b32_e32 v1, 0, v1, vcc
	v_cndmask_b32_e32 v0, 7, v0, vcc
	v_cmp_ne_u64_e32 vcc, 0, v[0:1]
	v_cmp_ne_u32_e64 s[28:29], 0, v2
	s_or_b64 s[28:29], s[28:29], vcc
                                        ; implicit-def: $vgpr16
	s_and_saveexec_b64 vcc, s[28:29]
	s_xor_b64 s[28:29], exec, vcc
; %bb.6568:                             ;   in Loop: Header=BB6_6130 Depth=3
	v_min_i32_e32 v1, 15, v2
	v_lshl_or_b32 v1, v1, 3, v17
	v_and_or_b32 v16, v0, 7, v1
                                        ; implicit-def: $vgpr17
; %bb.6569:                             ;   in Loop: Header=BB6_6130 Depth=3
	s_andn2_saveexec_b64 s[28:29], s[28:29]
; %bb.6570:                             ;   in Loop: Header=BB6_6130 Depth=3
	v_mov_b32_e32 v16, v17
; %bb.6571:                             ;   in Loop: Header=BB6_6130 Depth=3
	s_or_b64 exec, exec, s[28:29]
.LBB6_6572:                             ;   in Loop: Header=BB6_6130 Depth=3
	s_or_b64 exec, exec, s[38:39]
                                        ; implicit-def: $vgpr17
.LBB6_6573:                             ;   in Loop: Header=BB6_6130 Depth=3
	s_andn2_saveexec_b64 s[28:29], s[36:37]
; %bb.6574:                             ;   in Loop: Header=BB6_6130 Depth=3
	v_or_b32_e32 v16, 0x7e, v17
; %bb.6575:                             ;   in Loop: Header=BB6_6130 Depth=3
	s_or_b64 exec, exec, s[28:29]
                                        ; implicit-def: $vgpr0
.LBB6_6576:                             ;   in Loop: Header=BB6_6130 Depth=3
	s_andn2_saveexec_b64 s[28:29], s[34:35]
; %bb.6577:                             ;   in Loop: Header=BB6_6130 Depth=3
	v_or_b32_sdwa v16, v0, s81 dst_sel:DWORD dst_unused:UNUSED_PAD src0_sel:BYTE_3 src1_sel:DWORD
; %bb.6578:                             ;   in Loop: Header=BB6_6130 Depth=3
	s_or_b64 exec, exec, s[28:29]
	v_and_b32_e32 v0, 0xff, v47
	v_cmp_ne_u16_e32 vcc, 0, v0
	v_mov_b32_e32 v1, 0
	v_mov_b32_e32 v2, 0
	s_and_saveexec_b64 s[28:29], vcc
	s_cbranch_execz .LBB6_6584
; %bb.6579:                             ;   in Loop: Header=BB6_6130 Depth=3
	v_cmp_ne_u16_e32 vcc, s80, v0
	v_bfrev_b32_e32 v2, 1
	s_and_saveexec_b64 s[34:35], vcc
	s_cbranch_execz .LBB6_6583
; %bb.6580:                             ;   in Loop: Header=BB6_6130 Depth=3
	v_and_b32_e32 v17, 0x7f, v47
	v_cmp_ne_u32_e32 vcc, s81, v17
	v_mov_b32_e32 v2, 0x7f800001
	s_and_saveexec_b64 s[36:37], vcc
	s_cbranch_execz .LBB6_6582
; %bb.6581:                             ;   in Loop: Header=BB6_6130 Depth=3
	v_and_b32_e32 v2, 7, v0
	v_lshrrev_b32_e32 v20, 3, v17
	v_cmp_gt_u32_e32 vcc, 8, v17
	v_ffbh_u32_e32 v17, v2
	v_min_u32_e32 v17, 32, v17
	v_subrev_u32_e32 v23, 28, v17
	v_lshlrev_b64 v[23:24], v23, v[0:1]
	v_sub_u32_e32 v0, 29, v17
	v_and_b32_e32 v17, 7, v23
	v_cndmask_b32_e32 v0, v20, v0, vcc
	v_cndmask_b32_e32 v2, v2, v17, vcc
	v_lshlrev_b32_e32 v17, 24, v47
	v_bfrev_b32_e32 v20, 60
	v_lshlrev_b32_e32 v2, 20, v2
	v_and_b32_e32 v17, 0x80000000, v17
	v_lshl_add_u32 v0, v0, 23, v20
	v_or3_b32 v2, v17, v0, v2
.LBB6_6582:                             ;   in Loop: Header=BB6_6130 Depth=3
	s_or_b64 exec, exec, s[36:37]
.LBB6_6583:                             ;   in Loop: Header=BB6_6130 Depth=3
	s_or_b64 exec, exec, s[34:35]
.LBB6_6584:                             ;   in Loop: Header=BB6_6130 Depth=3
	s_or_b64 exec, exec, s[28:29]
	v_and_b32_e32 v0, 0xff, v6
	v_cmp_ne_u16_e32 vcc, 0, v0
	s_and_saveexec_b64 s[28:29], vcc
	s_cbranch_execz .LBB6_6590
; %bb.6585:                             ;   in Loop: Header=BB6_6130 Depth=3
	v_cmp_ne_u16_e32 vcc, s80, v0
	v_bfrev_b32_e32 v1, 1
	s_and_saveexec_b64 s[34:35], vcc
	s_cbranch_execz .LBB6_6589
; %bb.6586:                             ;   in Loop: Header=BB6_6130 Depth=3
	v_and_b32_e32 v17, 0x7f, v6
	v_cmp_ne_u32_e32 vcc, s81, v17
	v_mov_b32_e32 v1, 0x7f800001
	s_and_saveexec_b64 s[36:37], vcc
	s_cbranch_execz .LBB6_6588
; %bb.6587:                             ;   in Loop: Header=BB6_6130 Depth=3
	v_and_b32_e32 v20, 7, v0
	v_ffbh_u32_e32 v1, v20
	v_lshrrev_b32_e32 v23, 3, v17
	v_cmp_gt_u32_e32 vcc, 8, v17
	v_min_u32_e32 v17, 32, v1
	v_subrev_u32_e32 v1, 28, v17
	v_lshlrev_b64 v[0:1], v1, v[0:1]
	v_sub_u32_e32 v1, 29, v17
	v_and_b32_e32 v0, 7, v0
	v_cndmask_b32_e32 v1, v23, v1, vcc
	v_cndmask_b32_e32 v0, v20, v0, vcc
	v_lshlrev_b32_e32 v6, 24, v6
	v_bfrev_b32_e32 v17, 60
	v_lshlrev_b32_e32 v0, 20, v0
	v_and_b32_e32 v6, 0x80000000, v6
	v_lshl_add_u32 v1, v1, 23, v17
	v_or3_b32 v1, v6, v1, v0
.LBB6_6588:                             ;   in Loop: Header=BB6_6130 Depth=3
	s_or_b64 exec, exec, s[36:37]
.LBB6_6589:                             ;   in Loop: Header=BB6_6130 Depth=3
	s_or_b64 exec, exec, s[34:35]
.LBB6_6590:                             ;   in Loop: Header=BB6_6130 Depth=3
	s_or_b64 exec, exec, s[28:29]
	v_mul_f32_e32 v0, v2, v1
	v_and_b32_e32 v20, 0x7f800000, v0
	v_cmp_ne_u64_e32 vcc, s[62:63], v[20:21]
                                        ; implicit-def: $vgpr6
	s_and_saveexec_b64 s[28:29], vcc
	s_xor_b64 s[34:35], exec, s[28:29]
	s_cbranch_execz .LBB6_6608
; %bb.6591:                             ;   in Loop: Header=BB6_6130 Depth=3
	v_and_b32_e32 v20, 0x7fffffff, v0
	v_cmp_gt_u64_e32 vcc, s[78:79], v[20:21]
	v_and_b32_sdwa v17, v0, s80 dst_sel:DWORD dst_unused:UNUSED_PAD src0_sel:BYTE_3 src1_sel:DWORD
                                        ; implicit-def: $vgpr6
	s_and_saveexec_b64 s[28:29], vcc
	s_xor_b64 s[36:37], exec, s[28:29]
	s_cbranch_execz .LBB6_6605
; %bb.6592:                             ;   in Loop: Header=BB6_6130 Depth=3
	v_cmp_ne_u32_e32 vcc, 0, v0
	v_mov_b32_e32 v6, 0
	s_and_saveexec_b64 s[38:39], vcc
	s_cbranch_execz .LBB6_6604
; %bb.6593:                             ;   in Loop: Header=BB6_6130 Depth=3
	v_bfe_u32 v6, v0, 23, 8
	v_and_b32_e32 v1, 0x7fffff, v0
	v_cmp_gt_u32_e64 s[28:29], s47, v6
	v_sub_u32_e32 v0, 0x79, v6
	v_cmp_eq_u32_e32 vcc, 0, v6
	v_cndmask_b32_e64 v0, 0, v0, s[28:29]
	v_mov_b32_e32 v20, 0x78
	v_cndmask_b32_e32 v23, v0, v20, vcc
	v_or_b32_e32 v2, 0x800000, v1
	v_add_u32_e32 v0, 20, v23
	v_cndmask_b32_e32 v20, v2, v1, vcc
	v_lshlrev_b64 v[0:1], v0, -1
	v_add_u32_e32 v2, 19, v23
	v_lshlrev_b64 v[26:27], v2, 1
	v_bfi_b32 v1, v1, 0, 0
	v_bfi_b32 v0, v0, 0, v20
	v_cmp_eq_u64_e64 s[28:29], v[0:1], v[26:27]
	v_lshrrev_b64 v[0:1], v23, v[20:21]
	v_mov_b32_e32 v2, v1
	v_mov_b32_e32 v1, v0
	s_and_saveexec_b64 s[48:49], s[28:29]
; %bb.6594:                             ;   in Loop: Header=BB6_6130 Depth=3
	v_bfe_u32 v1, v0, 20, 1
	v_add_co_u32_e64 v1, s[28:29], v0, v1
	v_add_co_u32_e64 v1, s[28:29], -1, v1
; %bb.6595:                             ;   in Loop: Header=BB6_6130 Depth=3
	s_or_b64 exec, exec, s[48:49]
	v_add_u32_e32 v2, 0xffffff81, v6
	v_mov_b32_e32 v6, 0xffffff82
	v_cndmask_b32_e32 v2, v2, v6, vcc
	v_lshrrev_b32_e32 v6, 23, v0
	v_add3_u32 v23, v23, v2, v6
	v_add_u32_e32 v6, 6, v23
	v_and_b32_e32 v1, 0xfffff, v1
	v_add_u32_e32 v20, v1, v0
	v_cmp_ne_u32_e32 vcc, 0, v6
                                        ; implicit-def: $vgpr0_vgpr1
                                        ; implicit-def: $vgpr2
	s_and_saveexec_b64 s[28:29], vcc
	s_xor_b64 s[28:29], exec, s[28:29]
; %bb.6596:                             ;   in Loop: Header=BB6_6130 Depth=3
	v_cmp_lt_u64_e32 vcc, s[88:89], v[20:21]
	v_add_u32_e32 v0, 7, v23
	v_cndmask_b32_e32 v2, v6, v0, vcc
	v_cndmask_b32_e64 v0, 0, 1, vcc
	v_lshrrev_b64 v[0:1], v0, v[20:21]
; %bb.6597:                             ;   in Loop: Header=BB6_6130 Depth=3
	s_andn2_saveexec_b64 s[28:29], s[28:29]
; %bb.6598:                             ;   in Loop: Header=BB6_6130 Depth=3
	v_mov_b32_e32 v0, v20
	v_bfe_u32 v2, v20, 23, 1
	v_mov_b32_e32 v1, v21
; %bb.6599:                             ;   in Loop: Header=BB6_6130 Depth=3
	s_or_b64 exec, exec, s[28:29]
	v_lshrrev_b64 v[0:1], 20, v[0:1]
	v_cmp_gt_i32_e32 vcc, 16, v2
	v_cndmask_b32_e32 v1, 0, v1, vcc
	v_cndmask_b32_e32 v0, 7, v0, vcc
	v_cmp_ne_u64_e32 vcc, 0, v[0:1]
	v_cmp_ne_u32_e64 s[28:29], 0, v2
	s_or_b64 s[28:29], s[28:29], vcc
                                        ; implicit-def: $vgpr6
	s_and_saveexec_b64 vcc, s[28:29]
	s_xor_b64 s[28:29], exec, vcc
; %bb.6600:                             ;   in Loop: Header=BB6_6130 Depth=3
	v_min_i32_e32 v1, 15, v2
	v_lshl_or_b32 v1, v1, 3, v17
	v_and_or_b32 v6, v0, 7, v1
                                        ; implicit-def: $vgpr17
; %bb.6601:                             ;   in Loop: Header=BB6_6130 Depth=3
	s_andn2_saveexec_b64 s[28:29], s[28:29]
; %bb.6602:                             ;   in Loop: Header=BB6_6130 Depth=3
	v_mov_b32_e32 v6, v17
; %bb.6603:                             ;   in Loop: Header=BB6_6130 Depth=3
	s_or_b64 exec, exec, s[28:29]
.LBB6_6604:                             ;   in Loop: Header=BB6_6130 Depth=3
	s_or_b64 exec, exec, s[38:39]
                                        ; implicit-def: $vgpr17
.LBB6_6605:                             ;   in Loop: Header=BB6_6130 Depth=3
	s_andn2_saveexec_b64 s[28:29], s[36:37]
; %bb.6606:                             ;   in Loop: Header=BB6_6130 Depth=3
	v_or_b32_e32 v6, 0x7e, v17
; %bb.6607:                             ;   in Loop: Header=BB6_6130 Depth=3
	s_or_b64 exec, exec, s[28:29]
                                        ; implicit-def: $vgpr0
.LBB6_6608:                             ;   in Loop: Header=BB6_6130 Depth=3
	s_andn2_saveexec_b64 s[28:29], s[34:35]
; %bb.6609:                             ;   in Loop: Header=BB6_6130 Depth=3
	v_or_b32_sdwa v6, v0, s81 dst_sel:DWORD dst_unused:UNUSED_PAD src0_sel:BYTE_3 src1_sel:DWORD
; %bb.6610:                             ;   in Loop: Header=BB6_6130 Depth=3
	s_or_b64 exec, exec, s[28:29]
	v_and_b32_e32 v0, 0xff, v46
	v_cmp_ne_u16_e32 vcc, 0, v0
	v_mov_b32_e32 v1, 0
	v_mov_b32_e32 v2, 0
	s_and_saveexec_b64 s[28:29], vcc
	s_cbranch_execz .LBB6_6616
; %bb.6611:                             ;   in Loop: Header=BB6_6130 Depth=3
	v_cmp_ne_u16_e32 vcc, s80, v0
	v_bfrev_b32_e32 v2, 1
	s_and_saveexec_b64 s[34:35], vcc
	s_cbranch_execz .LBB6_6615
; %bb.6612:                             ;   in Loop: Header=BB6_6130 Depth=3
	v_and_b32_e32 v17, 0x7f, v46
	v_cmp_ne_u32_e32 vcc, s81, v17
	v_mov_b32_e32 v2, 0x7f800001
	s_and_saveexec_b64 s[36:37], vcc
	s_cbranch_execz .LBB6_6614
; %bb.6613:                             ;   in Loop: Header=BB6_6130 Depth=3
	v_and_b32_e32 v2, 7, v0
	v_lshrrev_b32_e32 v20, 3, v17
	v_cmp_gt_u32_e32 vcc, 8, v17
	v_ffbh_u32_e32 v17, v2
	v_min_u32_e32 v17, 32, v17
	v_subrev_u32_e32 v23, 28, v17
	v_lshlrev_b64 v[23:24], v23, v[0:1]
	v_sub_u32_e32 v0, 29, v17
	v_and_b32_e32 v17, 7, v23
	v_cndmask_b32_e32 v0, v20, v0, vcc
	v_cndmask_b32_e32 v2, v2, v17, vcc
	v_lshlrev_b32_e32 v17, 24, v46
	v_bfrev_b32_e32 v20, 60
	v_lshlrev_b32_e32 v2, 20, v2
	v_and_b32_e32 v17, 0x80000000, v17
	v_lshl_add_u32 v0, v0, 23, v20
	v_or3_b32 v2, v17, v0, v2
.LBB6_6614:                             ;   in Loop: Header=BB6_6130 Depth=3
	s_or_b64 exec, exec, s[36:37]
.LBB6_6615:                             ;   in Loop: Header=BB6_6130 Depth=3
	s_or_b64 exec, exec, s[34:35]
.LBB6_6616:                             ;   in Loop: Header=BB6_6130 Depth=3
	s_or_b64 exec, exec, s[28:29]
	v_and_b32_e32 v0, 0xff, v42
	v_cmp_ne_u16_e32 vcc, 0, v0
	s_and_saveexec_b64 s[28:29], vcc
	s_cbranch_execz .LBB6_6622
; %bb.6617:                             ;   in Loop: Header=BB6_6130 Depth=3
	v_cmp_ne_u16_e32 vcc, s80, v0
	v_bfrev_b32_e32 v1, 1
	s_and_saveexec_b64 s[34:35], vcc
	s_cbranch_execz .LBB6_6621
; %bb.6618:                             ;   in Loop: Header=BB6_6130 Depth=3
	v_and_b32_e32 v17, 0x7f, v42
	v_cmp_ne_u32_e32 vcc, s81, v17
	v_mov_b32_e32 v1, 0x7f800001
	s_and_saveexec_b64 s[36:37], vcc
	s_cbranch_execz .LBB6_6620
; %bb.6619:                             ;   in Loop: Header=BB6_6130 Depth=3
	v_and_b32_e32 v20, 7, v0
	v_ffbh_u32_e32 v1, v20
	v_lshrrev_b32_e32 v23, 3, v17
	v_cmp_gt_u32_e32 vcc, 8, v17
	v_min_u32_e32 v17, 32, v1
	v_subrev_u32_e32 v1, 28, v17
	v_lshlrev_b64 v[0:1], v1, v[0:1]
	v_sub_u32_e32 v1, 29, v17
	v_and_b32_e32 v0, 7, v0
	v_cndmask_b32_e32 v1, v23, v1, vcc
	v_cndmask_b32_e32 v0, v20, v0, vcc
	v_lshlrev_b32_e32 v17, 24, v42
	v_bfrev_b32_e32 v20, 60
	v_lshlrev_b32_e32 v0, 20, v0
	v_and_b32_e32 v17, 0x80000000, v17
	v_lshl_add_u32 v1, v1, 23, v20
	v_or3_b32 v1, v17, v1, v0
.LBB6_6620:                             ;   in Loop: Header=BB6_6130 Depth=3
	s_or_b64 exec, exec, s[36:37]
.LBB6_6621:                             ;   in Loop: Header=BB6_6130 Depth=3
	s_or_b64 exec, exec, s[34:35]
.LBB6_6622:                             ;   in Loop: Header=BB6_6130 Depth=3
	s_or_b64 exec, exec, s[28:29]
	v_mul_f32_e32 v0, v2, v1
	v_and_b32_e32 v20, 0x7f800000, v0
	v_cmp_ne_u64_e32 vcc, s[62:63], v[20:21]
                                        ; implicit-def: $vgpr42
	s_and_saveexec_b64 s[28:29], vcc
	s_xor_b64 s[34:35], exec, s[28:29]
	s_cbranch_execz .LBB6_6640
; %bb.6623:                             ;   in Loop: Header=BB6_6130 Depth=3
	v_and_b32_e32 v20, 0x7fffffff, v0
	v_cmp_gt_u64_e32 vcc, s[78:79], v[20:21]
	v_and_b32_sdwa v17, v0, s80 dst_sel:DWORD dst_unused:UNUSED_PAD src0_sel:BYTE_3 src1_sel:DWORD
                                        ; implicit-def: $vgpr42
	s_and_saveexec_b64 s[28:29], vcc
	s_xor_b64 s[36:37], exec, s[28:29]
	s_cbranch_execz .LBB6_6637
; %bb.6624:                             ;   in Loop: Header=BB6_6130 Depth=3
	v_cmp_ne_u32_e32 vcc, 0, v0
	v_mov_b32_e32 v42, 0
	s_and_saveexec_b64 s[38:39], vcc
	s_cbranch_execz .LBB6_6636
; %bb.6625:                             ;   in Loop: Header=BB6_6130 Depth=3
	v_bfe_u32 v23, v0, 23, 8
	v_and_b32_e32 v1, 0x7fffff, v0
	v_cmp_gt_u32_e64 s[28:29], s47, v23
	v_sub_u32_e32 v0, 0x79, v23
	v_cmp_eq_u32_e32 vcc, 0, v23
	v_cndmask_b32_e64 v0, 0, v0, s[28:29]
	v_mov_b32_e32 v20, 0x78
	v_cndmask_b32_e32 v24, v0, v20, vcc
	v_or_b32_e32 v2, 0x800000, v1
	v_add_u32_e32 v0, 20, v24
	v_cndmask_b32_e32 v20, v2, v1, vcc
	v_lshlrev_b64 v[0:1], v0, -1
	v_add_u32_e32 v2, 19, v24
	v_lshlrev_b64 v[26:27], v2, 1
	v_bfi_b32 v1, v1, 0, 0
	v_bfi_b32 v0, v0, 0, v20
	v_cmp_eq_u64_e64 s[28:29], v[0:1], v[26:27]
	v_lshrrev_b64 v[0:1], v24, v[20:21]
	v_mov_b32_e32 v2, v1
	v_mov_b32_e32 v1, v0
	s_and_saveexec_b64 s[48:49], s[28:29]
; %bb.6626:                             ;   in Loop: Header=BB6_6130 Depth=3
	v_bfe_u32 v1, v0, 20, 1
	v_add_co_u32_e64 v1, s[28:29], v0, v1
	v_add_co_u32_e64 v1, s[28:29], -1, v1
; %bb.6627:                             ;   in Loop: Header=BB6_6130 Depth=3
	s_or_b64 exec, exec, s[48:49]
	v_add_u32_e32 v2, 0xffffff81, v23
	v_mov_b32_e32 v20, 0xffffff82
	v_cndmask_b32_e32 v2, v2, v20, vcc
	v_lshrrev_b32_e32 v20, 23, v0
	v_add3_u32 v24, v24, v2, v20
	v_add_u32_e32 v23, 6, v24
	v_and_b32_e32 v1, 0xfffff, v1
	v_add_u32_e32 v20, v1, v0
	v_cmp_ne_u32_e32 vcc, 0, v23
                                        ; implicit-def: $vgpr0_vgpr1
                                        ; implicit-def: $vgpr2
	s_and_saveexec_b64 s[28:29], vcc
	s_xor_b64 s[28:29], exec, s[28:29]
; %bb.6628:                             ;   in Loop: Header=BB6_6130 Depth=3
	v_cmp_lt_u64_e32 vcc, s[88:89], v[20:21]
	v_add_u32_e32 v0, 7, v24
	v_cndmask_b32_e32 v2, v23, v0, vcc
	v_cndmask_b32_e64 v0, 0, 1, vcc
	v_lshrrev_b64 v[0:1], v0, v[20:21]
; %bb.6629:                             ;   in Loop: Header=BB6_6130 Depth=3
	s_andn2_saveexec_b64 s[28:29], s[28:29]
; %bb.6630:                             ;   in Loop: Header=BB6_6130 Depth=3
	v_mov_b32_e32 v0, v20
	v_bfe_u32 v2, v20, 23, 1
	v_mov_b32_e32 v1, v21
; %bb.6631:                             ;   in Loop: Header=BB6_6130 Depth=3
	s_or_b64 exec, exec, s[28:29]
	v_lshrrev_b64 v[0:1], 20, v[0:1]
	v_cmp_gt_i32_e32 vcc, 16, v2
	v_cndmask_b32_e32 v1, 0, v1, vcc
	v_cndmask_b32_e32 v0, 7, v0, vcc
	v_cmp_ne_u64_e32 vcc, 0, v[0:1]
	v_cmp_ne_u32_e64 s[28:29], 0, v2
	s_or_b64 s[28:29], s[28:29], vcc
                                        ; implicit-def: $vgpr42
	s_and_saveexec_b64 vcc, s[28:29]
	s_xor_b64 s[28:29], exec, vcc
; %bb.6632:                             ;   in Loop: Header=BB6_6130 Depth=3
	v_min_i32_e32 v1, 15, v2
	v_lshl_or_b32 v1, v1, 3, v17
	v_and_or_b32 v42, v0, 7, v1
                                        ; implicit-def: $vgpr17
; %bb.6633:                             ;   in Loop: Header=BB6_6130 Depth=3
	s_andn2_saveexec_b64 s[28:29], s[28:29]
; %bb.6634:                             ;   in Loop: Header=BB6_6130 Depth=3
	v_mov_b32_e32 v42, v17
; %bb.6635:                             ;   in Loop: Header=BB6_6130 Depth=3
	s_or_b64 exec, exec, s[28:29]
.LBB6_6636:                             ;   in Loop: Header=BB6_6130 Depth=3
	s_or_b64 exec, exec, s[38:39]
                                        ; implicit-def: $vgpr17
.LBB6_6637:                             ;   in Loop: Header=BB6_6130 Depth=3
	s_andn2_saveexec_b64 s[28:29], s[36:37]
; %bb.6638:                             ;   in Loop: Header=BB6_6130 Depth=3
	v_or_b32_e32 v42, 0x7e, v17
; %bb.6639:                             ;   in Loop: Header=BB6_6130 Depth=3
	s_or_b64 exec, exec, s[28:29]
                                        ; implicit-def: $vgpr0
.LBB6_6640:                             ;   in Loop: Header=BB6_6130 Depth=3
	s_andn2_saveexec_b64 s[28:29], s[34:35]
; %bb.6641:                             ;   in Loop: Header=BB6_6130 Depth=3
	v_or_b32_sdwa v42, v0, s81 dst_sel:DWORD dst_unused:UNUSED_PAD src0_sel:BYTE_3 src1_sel:DWORD
; %bb.6642:                             ;   in Loop: Header=BB6_6130 Depth=3
	s_or_b64 exec, exec, s[28:29]
	v_and_b32_e32 v0, 0xff, v19
	v_cmp_ne_u16_e32 vcc, 0, v0
	v_mov_b32_e32 v1, 0
	v_mov_b32_e32 v2, 0
	s_and_saveexec_b64 s[28:29], vcc
	s_cbranch_execz .LBB6_6648
; %bb.6643:                             ;   in Loop: Header=BB6_6130 Depth=3
	v_cmp_ne_u16_e32 vcc, s80, v0
	v_bfrev_b32_e32 v2, 1
	s_and_saveexec_b64 s[34:35], vcc
	s_cbranch_execz .LBB6_6647
; %bb.6644:                             ;   in Loop: Header=BB6_6130 Depth=3
	v_and_b32_e32 v17, 0x7f, v19
	v_cmp_ne_u32_e32 vcc, s81, v17
	v_mov_b32_e32 v2, 0x7f800001
	s_and_saveexec_b64 s[36:37], vcc
	s_cbranch_execz .LBB6_6646
; %bb.6645:                             ;   in Loop: Header=BB6_6130 Depth=3
	v_and_b32_e32 v2, 7, v0
	v_lshrrev_b32_e32 v20, 3, v17
	v_cmp_gt_u32_e32 vcc, 8, v17
	v_ffbh_u32_e32 v17, v2
	v_min_u32_e32 v17, 32, v17
	v_subrev_u32_e32 v23, 28, v17
	v_lshlrev_b64 v[23:24], v23, v[0:1]
	v_sub_u32_e32 v0, 29, v17
	v_and_b32_e32 v17, 7, v23
	v_cndmask_b32_e32 v0, v20, v0, vcc
	v_cndmask_b32_e32 v2, v2, v17, vcc
	v_lshlrev_b32_e32 v17, 24, v19
	v_bfrev_b32_e32 v19, 60
	v_lshlrev_b32_e32 v2, 20, v2
	v_and_b32_e32 v17, 0x80000000, v17
	v_lshl_add_u32 v0, v0, 23, v19
	v_or3_b32 v2, v17, v0, v2
.LBB6_6646:                             ;   in Loop: Header=BB6_6130 Depth=3
	s_or_b64 exec, exec, s[36:37]
.LBB6_6647:                             ;   in Loop: Header=BB6_6130 Depth=3
	s_or_b64 exec, exec, s[34:35]
.LBB6_6648:                             ;   in Loop: Header=BB6_6130 Depth=3
	s_or_b64 exec, exec, s[28:29]
	v_and_b32_e32 v0, 0xff, v18
	v_cmp_ne_u16_e32 vcc, 0, v0
	s_and_saveexec_b64 s[28:29], vcc
	s_cbranch_execz .LBB6_6654
; %bb.6649:                             ;   in Loop: Header=BB6_6130 Depth=3
	v_cmp_ne_u16_e32 vcc, s80, v0
	v_bfrev_b32_e32 v1, 1
	s_and_saveexec_b64 s[34:35], vcc
	s_cbranch_execz .LBB6_6653
; %bb.6650:                             ;   in Loop: Header=BB6_6130 Depth=3
	v_and_b32_e32 v17, 0x7f, v18
	v_cmp_ne_u32_e32 vcc, s81, v17
	v_mov_b32_e32 v1, 0x7f800001
	s_and_saveexec_b64 s[36:37], vcc
	s_cbranch_execz .LBB6_6652
; %bb.6651:                             ;   in Loop: Header=BB6_6130 Depth=3
	v_and_b32_e32 v19, 7, v0
	v_ffbh_u32_e32 v1, v19
	v_lshrrev_b32_e32 v20, 3, v17
	v_cmp_gt_u32_e32 vcc, 8, v17
	v_min_u32_e32 v17, 32, v1
	v_subrev_u32_e32 v1, 28, v17
	v_lshlrev_b64 v[0:1], v1, v[0:1]
	v_sub_u32_e32 v1, 29, v17
	v_and_b32_e32 v0, 7, v0
	v_cndmask_b32_e32 v1, v20, v1, vcc
	v_cndmask_b32_e32 v0, v19, v0, vcc
	v_lshlrev_b32_e32 v17, 24, v18
	v_bfrev_b32_e32 v18, 60
	v_lshlrev_b32_e32 v0, 20, v0
	v_and_b32_e32 v17, 0x80000000, v17
	v_lshl_add_u32 v1, v1, 23, v18
	v_or3_b32 v1, v17, v1, v0
.LBB6_6652:                             ;   in Loop: Header=BB6_6130 Depth=3
	s_or_b64 exec, exec, s[36:37]
.LBB6_6653:                             ;   in Loop: Header=BB6_6130 Depth=3
	s_or_b64 exec, exec, s[34:35]
.LBB6_6654:                             ;   in Loop: Header=BB6_6130 Depth=3
	s_or_b64 exec, exec, s[28:29]
	v_mul_f32_e32 v0, v2, v1
	v_and_b32_e32 v20, 0x7f800000, v0
	v_cmp_ne_u64_e32 vcc, s[62:63], v[20:21]
                                        ; implicit-def: $vgpr18
	s_and_saveexec_b64 s[28:29], vcc
	s_xor_b64 s[34:35], exec, s[28:29]
	s_cbranch_execz .LBB6_6672
; %bb.6655:                             ;   in Loop: Header=BB6_6130 Depth=3
	v_and_b32_e32 v20, 0x7fffffff, v0
	v_cmp_gt_u64_e32 vcc, s[78:79], v[20:21]
	v_and_b32_sdwa v17, v0, s80 dst_sel:DWORD dst_unused:UNUSED_PAD src0_sel:BYTE_3 src1_sel:DWORD
                                        ; implicit-def: $vgpr18
	s_and_saveexec_b64 s[28:29], vcc
	s_xor_b64 s[36:37], exec, s[28:29]
	s_cbranch_execz .LBB6_6669
; %bb.6656:                             ;   in Loop: Header=BB6_6130 Depth=3
	v_cmp_ne_u32_e32 vcc, 0, v0
	v_mov_b32_e32 v18, 0
	s_and_saveexec_b64 s[38:39], vcc
	s_cbranch_execz .LBB6_6668
; %bb.6657:                             ;   in Loop: Header=BB6_6130 Depth=3
	v_bfe_u32 v18, v0, 23, 8
	v_and_b32_e32 v1, 0x7fffff, v0
	v_cmp_gt_u32_e64 s[28:29], s47, v18
	v_sub_u32_e32 v0, 0x79, v18
	v_cmp_eq_u32_e32 vcc, 0, v18
	v_cndmask_b32_e64 v0, 0, v0, s[28:29]
	v_mov_b32_e32 v19, 0x78
	v_cndmask_b32_e32 v19, v0, v19, vcc
	v_or_b32_e32 v2, 0x800000, v1
	v_add_u32_e32 v0, 20, v19
	v_cndmask_b32_e32 v20, v2, v1, vcc
	v_lshlrev_b64 v[0:1], v0, -1
	v_add_u32_e32 v2, 19, v19
	v_lshlrev_b64 v[23:24], v2, 1
	v_bfi_b32 v1, v1, 0, 0
	v_bfi_b32 v0, v0, 0, v20
	v_cmp_eq_u64_e64 s[28:29], v[0:1], v[23:24]
	v_lshrrev_b64 v[0:1], v19, v[20:21]
	v_mov_b32_e32 v2, v1
	v_mov_b32_e32 v1, v0
	s_and_saveexec_b64 s[48:49], s[28:29]
; %bb.6658:                             ;   in Loop: Header=BB6_6130 Depth=3
	v_bfe_u32 v1, v0, 20, 1
	v_add_co_u32_e64 v1, s[28:29], v0, v1
	v_add_co_u32_e64 v1, s[28:29], -1, v1
; %bb.6659:                             ;   in Loop: Header=BB6_6130 Depth=3
	s_or_b64 exec, exec, s[48:49]
	v_add_u32_e32 v2, 0xffffff81, v18
	v_mov_b32_e32 v18, 0xffffff82
	v_cndmask_b32_e32 v2, v2, v18, vcc
	v_lshrrev_b32_e32 v18, 23, v0
	v_add3_u32 v19, v19, v2, v18
	v_add_u32_e32 v18, 6, v19
	v_and_b32_e32 v1, 0xfffff, v1
	v_add_u32_e32 v20, v1, v0
	v_cmp_ne_u32_e32 vcc, 0, v18
                                        ; implicit-def: $vgpr0_vgpr1
                                        ; implicit-def: $vgpr2
	s_and_saveexec_b64 s[28:29], vcc
	s_xor_b64 s[28:29], exec, s[28:29]
; %bb.6660:                             ;   in Loop: Header=BB6_6130 Depth=3
	v_cmp_lt_u64_e32 vcc, s[88:89], v[20:21]
	v_add_u32_e32 v0, 7, v19
	v_cndmask_b32_e32 v2, v18, v0, vcc
	v_cndmask_b32_e64 v0, 0, 1, vcc
	v_lshrrev_b64 v[0:1], v0, v[20:21]
; %bb.6661:                             ;   in Loop: Header=BB6_6130 Depth=3
	s_andn2_saveexec_b64 s[28:29], s[28:29]
; %bb.6662:                             ;   in Loop: Header=BB6_6130 Depth=3
	v_mov_b32_e32 v0, v20
	v_bfe_u32 v2, v20, 23, 1
	v_mov_b32_e32 v1, v21
; %bb.6663:                             ;   in Loop: Header=BB6_6130 Depth=3
	s_or_b64 exec, exec, s[28:29]
	v_lshrrev_b64 v[0:1], 20, v[0:1]
	v_cmp_gt_i32_e32 vcc, 16, v2
	v_cndmask_b32_e32 v1, 0, v1, vcc
	v_cndmask_b32_e32 v0, 7, v0, vcc
	v_cmp_ne_u64_e32 vcc, 0, v[0:1]
	v_cmp_ne_u32_e64 s[28:29], 0, v2
	s_or_b64 s[28:29], s[28:29], vcc
                                        ; implicit-def: $vgpr18
	s_and_saveexec_b64 vcc, s[28:29]
	s_xor_b64 s[28:29], exec, vcc
; %bb.6664:                             ;   in Loop: Header=BB6_6130 Depth=3
	v_min_i32_e32 v1, 15, v2
	v_lshl_or_b32 v1, v1, 3, v17
	v_and_or_b32 v18, v0, 7, v1
                                        ; implicit-def: $vgpr17
; %bb.6665:                             ;   in Loop: Header=BB6_6130 Depth=3
	s_andn2_saveexec_b64 s[28:29], s[28:29]
; %bb.6666:                             ;   in Loop: Header=BB6_6130 Depth=3
	v_mov_b32_e32 v18, v17
; %bb.6667:                             ;   in Loop: Header=BB6_6130 Depth=3
	s_or_b64 exec, exec, s[28:29]
.LBB6_6668:                             ;   in Loop: Header=BB6_6130 Depth=3
	s_or_b64 exec, exec, s[38:39]
                                        ; implicit-def: $vgpr17
.LBB6_6669:                             ;   in Loop: Header=BB6_6130 Depth=3
	s_andn2_saveexec_b64 s[28:29], s[36:37]
; %bb.6670:                             ;   in Loop: Header=BB6_6130 Depth=3
	v_or_b32_e32 v18, 0x7e, v17
; %bb.6671:                             ;   in Loop: Header=BB6_6130 Depth=3
	s_or_b64 exec, exec, s[28:29]
                                        ; implicit-def: $vgpr0
.LBB6_6672:                             ;   in Loop: Header=BB6_6130 Depth=3
	s_andn2_saveexec_b64 s[28:29], s[34:35]
; %bb.6673:                             ;   in Loop: Header=BB6_6130 Depth=3
	v_or_b32_sdwa v18, v0, s81 dst_sel:DWORD dst_unused:UNUSED_PAD src0_sel:BYTE_3 src1_sel:DWORD
; %bb.6674:                             ;   in Loop: Header=BB6_6130 Depth=3
	s_or_b64 exec, exec, s[28:29]
	v_and_b32_e32 v0, 0xff, v30
	v_cmp_ne_u16_e32 vcc, 0, v0
	v_mov_b32_e32 v1, 0
	v_mov_b32_e32 v2, 0
	s_and_saveexec_b64 s[28:29], vcc
	s_cbranch_execz .LBB6_6680
; %bb.6675:                             ;   in Loop: Header=BB6_6130 Depth=3
	v_cmp_ne_u16_e32 vcc, s80, v0
	v_bfrev_b32_e32 v2, 1
	s_and_saveexec_b64 s[34:35], vcc
	s_cbranch_execz .LBB6_6679
; %bb.6676:                             ;   in Loop: Header=BB6_6130 Depth=3
	v_and_b32_e32 v17, 0x7f, v30
	v_cmp_ne_u32_e32 vcc, s81, v17
	v_mov_b32_e32 v2, 0x7f800001
	s_and_saveexec_b64 s[36:37], vcc
	s_cbranch_execz .LBB6_6678
; %bb.6677:                             ;   in Loop: Header=BB6_6130 Depth=3
	v_and_b32_e32 v2, 7, v0
	v_lshrrev_b32_e32 v23, 3, v17
	v_cmp_gt_u32_e32 vcc, 8, v17
	v_ffbh_u32_e32 v17, v2
	v_min_u32_e32 v17, 32, v17
	v_subrev_u32_e32 v19, 28, v17
	v_lshlrev_b64 v[19:20], v19, v[0:1]
	v_sub_u32_e32 v0, 29, v17
	v_and_b32_e32 v17, 7, v19
	v_cndmask_b32_e32 v0, v23, v0, vcc
	v_cndmask_b32_e32 v2, v2, v17, vcc
	v_lshlrev_b32_e32 v17, 24, v30
	v_bfrev_b32_e32 v19, 60
	v_lshlrev_b32_e32 v2, 20, v2
	v_and_b32_e32 v17, 0x80000000, v17
	v_lshl_add_u32 v0, v0, 23, v19
	v_or3_b32 v2, v17, v0, v2
.LBB6_6678:                             ;   in Loop: Header=BB6_6130 Depth=3
	s_or_b64 exec, exec, s[36:37]
.LBB6_6679:                             ;   in Loop: Header=BB6_6130 Depth=3
	s_or_b64 exec, exec, s[34:35]
.LBB6_6680:                             ;   in Loop: Header=BB6_6130 Depth=3
	s_or_b64 exec, exec, s[28:29]
	v_and_b32_e32 v0, 0xff, v7
	v_cmp_ne_u16_e32 vcc, 0, v0
	s_and_saveexec_b64 s[28:29], vcc
	s_cbranch_execz .LBB6_6686
; %bb.6681:                             ;   in Loop: Header=BB6_6130 Depth=3
	v_cmp_ne_u16_e32 vcc, s80, v0
	v_bfrev_b32_e32 v1, 1
	s_and_saveexec_b64 s[34:35], vcc
	s_cbranch_execz .LBB6_6685
; %bb.6682:                             ;   in Loop: Header=BB6_6130 Depth=3
	v_and_b32_e32 v17, 0x7f, v7
	v_cmp_ne_u32_e32 vcc, s81, v17
	v_mov_b32_e32 v1, 0x7f800001
	s_and_saveexec_b64 s[36:37], vcc
	s_cbranch_execz .LBB6_6684
; %bb.6683:                             ;   in Loop: Header=BB6_6130 Depth=3
	v_and_b32_e32 v19, 7, v0
	v_ffbh_u32_e32 v1, v19
	v_lshrrev_b32_e32 v20, 3, v17
	v_cmp_gt_u32_e32 vcc, 8, v17
	v_min_u32_e32 v17, 32, v1
	v_subrev_u32_e32 v1, 28, v17
	v_lshlrev_b64 v[0:1], v1, v[0:1]
	v_sub_u32_e32 v1, 29, v17
	v_and_b32_e32 v0, 7, v0
	v_cndmask_b32_e32 v1, v20, v1, vcc
	v_cndmask_b32_e32 v0, v19, v0, vcc
	v_lshlrev_b32_e32 v7, 24, v7
	v_bfrev_b32_e32 v17, 60
	v_lshlrev_b32_e32 v0, 20, v0
	v_and_b32_e32 v7, 0x80000000, v7
	v_lshl_add_u32 v1, v1, 23, v17
	v_or3_b32 v1, v7, v1, v0
.LBB6_6684:                             ;   in Loop: Header=BB6_6130 Depth=3
	s_or_b64 exec, exec, s[36:37]
.LBB6_6685:                             ;   in Loop: Header=BB6_6130 Depth=3
	s_or_b64 exec, exec, s[34:35]
.LBB6_6686:                             ;   in Loop: Header=BB6_6130 Depth=3
	s_or_b64 exec, exec, s[28:29]
	v_mul_f32_e32 v0, v2, v1
	v_and_b32_e32 v20, 0x7f800000, v0
	v_cmp_ne_u64_e32 vcc, s[62:63], v[20:21]
                                        ; implicit-def: $vgpr7
	s_and_saveexec_b64 s[28:29], vcc
	s_xor_b64 s[34:35], exec, s[28:29]
	s_cbranch_execz .LBB6_6704
; %bb.6687:                             ;   in Loop: Header=BB6_6130 Depth=3
	v_and_b32_e32 v20, 0x7fffffff, v0
	v_cmp_gt_u64_e32 vcc, s[78:79], v[20:21]
	v_and_b32_sdwa v17, v0, s80 dst_sel:DWORD dst_unused:UNUSED_PAD src0_sel:BYTE_3 src1_sel:DWORD
                                        ; implicit-def: $vgpr7
	s_and_saveexec_b64 s[28:29], vcc
	s_xor_b64 s[36:37], exec, s[28:29]
	s_cbranch_execz .LBB6_6701
; %bb.6688:                             ;   in Loop: Header=BB6_6130 Depth=3
	v_cmp_ne_u32_e32 vcc, 0, v0
	v_mov_b32_e32 v7, 0
	s_and_saveexec_b64 s[38:39], vcc
	s_cbranch_execz .LBB6_6700
; %bb.6689:                             ;   in Loop: Header=BB6_6130 Depth=3
	v_bfe_u32 v7, v0, 23, 8
	v_and_b32_e32 v1, 0x7fffff, v0
	v_cmp_gt_u32_e64 s[28:29], s47, v7
	v_sub_u32_e32 v0, 0x79, v7
	v_cmp_eq_u32_e32 vcc, 0, v7
	v_cndmask_b32_e64 v0, 0, v0, s[28:29]
	v_mov_b32_e32 v19, 0x78
	v_cndmask_b32_e32 v19, v0, v19, vcc
	v_or_b32_e32 v2, 0x800000, v1
	v_add_u32_e32 v0, 20, v19
	v_cndmask_b32_e32 v20, v2, v1, vcc
	v_lshlrev_b64 v[0:1], v0, -1
	v_add_u32_e32 v2, 19, v19
	v_lshlrev_b64 v[23:24], v2, 1
	v_bfi_b32 v1, v1, 0, 0
	v_bfi_b32 v0, v0, 0, v20
	v_cmp_eq_u64_e64 s[28:29], v[0:1], v[23:24]
	v_lshrrev_b64 v[0:1], v19, v[20:21]
	v_mov_b32_e32 v2, v1
	v_mov_b32_e32 v1, v0
	s_and_saveexec_b64 s[48:49], s[28:29]
; %bb.6690:                             ;   in Loop: Header=BB6_6130 Depth=3
	v_bfe_u32 v1, v0, 20, 1
	v_add_co_u32_e64 v1, s[28:29], v0, v1
	v_add_co_u32_e64 v1, s[28:29], -1, v1
; %bb.6691:                             ;   in Loop: Header=BB6_6130 Depth=3
	s_or_b64 exec, exec, s[48:49]
	v_add_u32_e32 v2, 0xffffff81, v7
	v_mov_b32_e32 v7, 0xffffff82
	v_cndmask_b32_e32 v2, v2, v7, vcc
	v_lshrrev_b32_e32 v7, 23, v0
	v_add3_u32 v19, v19, v2, v7
	v_add_u32_e32 v7, 6, v19
	v_and_b32_e32 v1, 0xfffff, v1
	v_add_u32_e32 v20, v1, v0
	v_cmp_ne_u32_e32 vcc, 0, v7
                                        ; implicit-def: $vgpr0_vgpr1
                                        ; implicit-def: $vgpr2
	s_and_saveexec_b64 s[28:29], vcc
	s_xor_b64 s[28:29], exec, s[28:29]
; %bb.6692:                             ;   in Loop: Header=BB6_6130 Depth=3
	v_cmp_lt_u64_e32 vcc, s[88:89], v[20:21]
	v_add_u32_e32 v0, 7, v19
	v_cndmask_b32_e32 v2, v7, v0, vcc
	v_cndmask_b32_e64 v0, 0, 1, vcc
	v_lshrrev_b64 v[0:1], v0, v[20:21]
; %bb.6693:                             ;   in Loop: Header=BB6_6130 Depth=3
	s_andn2_saveexec_b64 s[28:29], s[28:29]
; %bb.6694:                             ;   in Loop: Header=BB6_6130 Depth=3
	v_mov_b32_e32 v0, v20
	v_bfe_u32 v2, v20, 23, 1
	v_mov_b32_e32 v1, v21
; %bb.6695:                             ;   in Loop: Header=BB6_6130 Depth=3
	s_or_b64 exec, exec, s[28:29]
	v_lshrrev_b64 v[0:1], 20, v[0:1]
	v_cmp_gt_i32_e32 vcc, 16, v2
	v_cndmask_b32_e32 v1, 0, v1, vcc
	v_cndmask_b32_e32 v0, 7, v0, vcc
	v_cmp_ne_u64_e32 vcc, 0, v[0:1]
	v_cmp_ne_u32_e64 s[28:29], 0, v2
	s_or_b64 s[28:29], s[28:29], vcc
                                        ; implicit-def: $vgpr7
	s_and_saveexec_b64 vcc, s[28:29]
	s_xor_b64 s[28:29], exec, vcc
; %bb.6696:                             ;   in Loop: Header=BB6_6130 Depth=3
	v_min_i32_e32 v1, 15, v2
	v_lshl_or_b32 v1, v1, 3, v17
	v_and_or_b32 v7, v0, 7, v1
                                        ; implicit-def: $vgpr17
; %bb.6697:                             ;   in Loop: Header=BB6_6130 Depth=3
	s_andn2_saveexec_b64 s[28:29], s[28:29]
; %bb.6698:                             ;   in Loop: Header=BB6_6130 Depth=3
	v_mov_b32_e32 v7, v17
; %bb.6699:                             ;   in Loop: Header=BB6_6130 Depth=3
	s_or_b64 exec, exec, s[28:29]
.LBB6_6700:                             ;   in Loop: Header=BB6_6130 Depth=3
	s_or_b64 exec, exec, s[38:39]
                                        ; implicit-def: $vgpr17
.LBB6_6701:                             ;   in Loop: Header=BB6_6130 Depth=3
	s_andn2_saveexec_b64 s[28:29], s[36:37]
; %bb.6702:                             ;   in Loop: Header=BB6_6130 Depth=3
	v_or_b32_e32 v7, 0x7e, v17
; %bb.6703:                             ;   in Loop: Header=BB6_6130 Depth=3
	s_or_b64 exec, exec, s[28:29]
                                        ; implicit-def: $vgpr0
.LBB6_6704:                             ;   in Loop: Header=BB6_6130 Depth=3
	s_andn2_saveexec_b64 s[28:29], s[34:35]
; %bb.6705:                             ;   in Loop: Header=BB6_6130 Depth=3
	v_or_b32_sdwa v7, v0, s81 dst_sel:DWORD dst_unused:UNUSED_PAD src0_sel:BYTE_3 src1_sel:DWORD
; %bb.6706:                             ;   in Loop: Header=BB6_6130 Depth=3
	s_or_b64 exec, exec, s[28:29]
	v_and_b32_e32 v0, 0xff, v3
	v_cmp_ne_u16_e32 vcc, 0, v0
	v_mov_b32_e32 v1, 0
	v_mov_b32_e32 v2, 0
	s_and_saveexec_b64 s[28:29], vcc
	s_cbranch_execz .LBB6_6712
; %bb.6707:                             ;   in Loop: Header=BB6_6130 Depth=3
	v_cmp_ne_u16_e32 vcc, s80, v0
	v_bfrev_b32_e32 v2, 1
	s_and_saveexec_b64 s[34:35], vcc
	s_cbranch_execz .LBB6_6711
; %bb.6708:                             ;   in Loop: Header=BB6_6130 Depth=3
	v_and_b32_e32 v17, 0x7f, v3
	v_cmp_ne_u32_e32 vcc, s81, v17
	v_mov_b32_e32 v2, 0x7f800001
	s_and_saveexec_b64 s[36:37], vcc
	s_cbranch_execz .LBB6_6710
; %bb.6709:                             ;   in Loop: Header=BB6_6130 Depth=3
	v_and_b32_e32 v2, 7, v0
	v_lshrrev_b32_e32 v23, 3, v17
	v_cmp_gt_u32_e32 vcc, 8, v17
	v_ffbh_u32_e32 v17, v2
	v_min_u32_e32 v17, 32, v17
	v_subrev_u32_e32 v19, 28, v17
	v_lshlrev_b64 v[19:20], v19, v[0:1]
	v_sub_u32_e32 v0, 29, v17
	v_and_b32_e32 v17, 7, v19
	v_cndmask_b32_e32 v0, v23, v0, vcc
	v_cndmask_b32_e32 v2, v2, v17, vcc
	v_lshlrev_b32_e32 v3, 24, v3
	v_bfrev_b32_e32 v17, 60
	v_lshlrev_b32_e32 v2, 20, v2
	v_and_b32_e32 v3, 0x80000000, v3
	v_lshl_add_u32 v0, v0, 23, v17
	v_or3_b32 v2, v3, v0, v2
.LBB6_6710:                             ;   in Loop: Header=BB6_6130 Depth=3
	s_or_b64 exec, exec, s[36:37]
.LBB6_6711:                             ;   in Loop: Header=BB6_6130 Depth=3
	s_or_b64 exec, exec, s[34:35]
.LBB6_6712:                             ;   in Loop: Header=BB6_6130 Depth=3
	s_or_b64 exec, exec, s[28:29]
	v_and_b32_e32 v0, 0xff, v15
	v_cmp_ne_u16_e32 vcc, 0, v0
	s_and_saveexec_b64 s[28:29], vcc
	s_cbranch_execz .LBB6_6718
; %bb.6713:                             ;   in Loop: Header=BB6_6130 Depth=3
	v_cmp_ne_u16_e32 vcc, s80, v0
	v_bfrev_b32_e32 v1, 1
	s_and_saveexec_b64 s[34:35], vcc
	s_cbranch_execz .LBB6_6717
; %bb.6714:                             ;   in Loop: Header=BB6_6130 Depth=3
	v_and_b32_e32 v3, 0x7f, v15
	v_cmp_ne_u32_e32 vcc, s81, v3
	v_mov_b32_e32 v1, 0x7f800001
	s_and_saveexec_b64 s[36:37], vcc
	s_cbranch_execz .LBB6_6716
; %bb.6715:                             ;   in Loop: Header=BB6_6130 Depth=3
	v_and_b32_e32 v17, 7, v0
	v_ffbh_u32_e32 v1, v17
	v_lshrrev_b32_e32 v19, 3, v3
	v_cmp_gt_u32_e32 vcc, 8, v3
	v_min_u32_e32 v3, 32, v1
	v_subrev_u32_e32 v1, 28, v3
	v_lshlrev_b64 v[0:1], v1, v[0:1]
	v_sub_u32_e32 v1, 29, v3
	v_and_b32_e32 v0, 7, v0
	v_cndmask_b32_e32 v1, v19, v1, vcc
	v_cndmask_b32_e32 v0, v17, v0, vcc
	v_lshlrev_b32_e32 v3, 24, v15
	v_bfrev_b32_e32 v15, 60
	v_lshlrev_b32_e32 v0, 20, v0
	v_and_b32_e32 v3, 0x80000000, v3
	v_lshl_add_u32 v1, v1, 23, v15
	v_or3_b32 v1, v3, v1, v0
.LBB6_6716:                             ;   in Loop: Header=BB6_6130 Depth=3
	s_or_b64 exec, exec, s[36:37]
.LBB6_6717:                             ;   in Loop: Header=BB6_6130 Depth=3
	s_or_b64 exec, exec, s[34:35]
.LBB6_6718:                             ;   in Loop: Header=BB6_6130 Depth=3
	s_or_b64 exec, exec, s[28:29]
	v_mul_f32_e32 v0, v2, v1
	v_and_b32_e32 v20, 0x7f800000, v0
	v_cmp_ne_u64_e32 vcc, s[62:63], v[20:21]
                                        ; implicit-def: $vgpr3
	s_and_saveexec_b64 s[28:29], vcc
	s_xor_b64 s[34:35], exec, s[28:29]
	s_cbranch_execz .LBB6_6736
; %bb.6719:                             ;   in Loop: Header=BB6_6130 Depth=3
	v_and_b32_e32 v20, 0x7fffffff, v0
	v_cmp_gt_u64_e32 vcc, s[78:79], v[20:21]
	v_and_b32_sdwa v15, v0, s80 dst_sel:DWORD dst_unused:UNUSED_PAD src0_sel:BYTE_3 src1_sel:DWORD
                                        ; implicit-def: $vgpr3
	s_and_saveexec_b64 s[28:29], vcc
	s_xor_b64 s[36:37], exec, s[28:29]
	s_cbranch_execz .LBB6_6733
; %bb.6720:                             ;   in Loop: Header=BB6_6130 Depth=3
	v_cmp_ne_u32_e32 vcc, 0, v0
	v_mov_b32_e32 v3, 0
	s_and_saveexec_b64 s[38:39], vcc
	s_cbranch_execz .LBB6_6732
; %bb.6721:                             ;   in Loop: Header=BB6_6130 Depth=3
	v_bfe_u32 v3, v0, 23, 8
	v_and_b32_e32 v1, 0x7fffff, v0
	v_cmp_gt_u32_e64 s[28:29], s47, v3
	v_sub_u32_e32 v0, 0x79, v3
	v_cmp_eq_u32_e32 vcc, 0, v3
	v_cndmask_b32_e64 v0, 0, v0, s[28:29]
	v_mov_b32_e32 v17, 0x78
	v_cndmask_b32_e32 v17, v0, v17, vcc
	v_or_b32_e32 v2, 0x800000, v1
	v_add_u32_e32 v0, 20, v17
	v_cndmask_b32_e32 v20, v2, v1, vcc
	v_lshlrev_b64 v[0:1], v0, -1
	v_add_u32_e32 v2, 19, v17
	v_lshlrev_b64 v[23:24], v2, 1
	v_bfi_b32 v1, v1, 0, 0
	v_bfi_b32 v0, v0, 0, v20
	v_cmp_eq_u64_e64 s[28:29], v[0:1], v[23:24]
	v_lshrrev_b64 v[0:1], v17, v[20:21]
	v_mov_b32_e32 v2, v1
	v_mov_b32_e32 v1, v0
	s_and_saveexec_b64 s[48:49], s[28:29]
; %bb.6722:                             ;   in Loop: Header=BB6_6130 Depth=3
	v_bfe_u32 v1, v0, 20, 1
	v_add_co_u32_e64 v1, s[28:29], v0, v1
	v_add_co_u32_e64 v1, s[28:29], -1, v1
; %bb.6723:                             ;   in Loop: Header=BB6_6130 Depth=3
	s_or_b64 exec, exec, s[48:49]
	v_add_u32_e32 v2, 0xffffff81, v3
	v_mov_b32_e32 v3, 0xffffff82
	v_cndmask_b32_e32 v2, v2, v3, vcc
	v_lshrrev_b32_e32 v3, 23, v0
	v_add3_u32 v17, v17, v2, v3
	v_add_u32_e32 v3, 6, v17
	v_and_b32_e32 v1, 0xfffff, v1
	v_add_u32_e32 v20, v1, v0
	v_cmp_ne_u32_e32 vcc, 0, v3
                                        ; implicit-def: $vgpr0_vgpr1
                                        ; implicit-def: $vgpr2
	s_and_saveexec_b64 s[28:29], vcc
	s_xor_b64 s[28:29], exec, s[28:29]
; %bb.6724:                             ;   in Loop: Header=BB6_6130 Depth=3
	v_cmp_lt_u64_e32 vcc, s[88:89], v[20:21]
	v_add_u32_e32 v0, 7, v17
	v_cndmask_b32_e32 v2, v3, v0, vcc
	v_cndmask_b32_e64 v0, 0, 1, vcc
	v_lshrrev_b64 v[0:1], v0, v[20:21]
; %bb.6725:                             ;   in Loop: Header=BB6_6130 Depth=3
	s_andn2_saveexec_b64 s[28:29], s[28:29]
; %bb.6726:                             ;   in Loop: Header=BB6_6130 Depth=3
	v_mov_b32_e32 v0, v20
	v_bfe_u32 v2, v20, 23, 1
	v_mov_b32_e32 v1, v21
; %bb.6727:                             ;   in Loop: Header=BB6_6130 Depth=3
	s_or_b64 exec, exec, s[28:29]
	v_lshrrev_b64 v[0:1], 20, v[0:1]
	v_cmp_gt_i32_e32 vcc, 16, v2
	v_cndmask_b32_e32 v1, 0, v1, vcc
	v_cndmask_b32_e32 v0, 7, v0, vcc
	v_cmp_ne_u64_e32 vcc, 0, v[0:1]
	v_cmp_ne_u32_e64 s[28:29], 0, v2
	s_or_b64 s[28:29], s[28:29], vcc
                                        ; implicit-def: $vgpr3
	s_and_saveexec_b64 vcc, s[28:29]
	s_xor_b64 s[28:29], exec, vcc
; %bb.6728:                             ;   in Loop: Header=BB6_6130 Depth=3
	v_min_i32_e32 v1, 15, v2
	v_lshl_or_b32 v1, v1, 3, v15
	v_and_or_b32 v3, v0, 7, v1
                                        ; implicit-def: $vgpr15
; %bb.6729:                             ;   in Loop: Header=BB6_6130 Depth=3
	s_andn2_saveexec_b64 s[28:29], s[28:29]
; %bb.6730:                             ;   in Loop: Header=BB6_6130 Depth=3
	v_mov_b32_e32 v3, v15
; %bb.6731:                             ;   in Loop: Header=BB6_6130 Depth=3
	s_or_b64 exec, exec, s[28:29]
.LBB6_6732:                             ;   in Loop: Header=BB6_6130 Depth=3
	s_or_b64 exec, exec, s[38:39]
                                        ; implicit-def: $vgpr15
.LBB6_6733:                             ;   in Loop: Header=BB6_6130 Depth=3
	s_andn2_saveexec_b64 s[28:29], s[36:37]
; %bb.6734:                             ;   in Loop: Header=BB6_6130 Depth=3
	v_or_b32_e32 v3, 0x7e, v15
; %bb.6735:                             ;   in Loop: Header=BB6_6130 Depth=3
	s_or_b64 exec, exec, s[28:29]
                                        ; implicit-def: $vgpr0
.LBB6_6736:                             ;   in Loop: Header=BB6_6130 Depth=3
	s_andn2_saveexec_b64 s[28:29], s[34:35]
; %bb.6737:                             ;   in Loop: Header=BB6_6130 Depth=3
	v_or_b32_sdwa v3, v0, s81 dst_sel:DWORD dst_unused:UNUSED_PAD src0_sel:BYTE_3 src1_sel:DWORD
; %bb.6738:                             ;   in Loop: Header=BB6_6130 Depth=3
	s_or_b64 exec, exec, s[28:29]
	v_and_b32_e32 v0, 0xff, v61
	v_cmp_ne_u16_e32 vcc, 0, v0
	v_mov_b32_e32 v1, 0
	v_mov_b32_e32 v2, 0
	s_and_saveexec_b64 s[28:29], vcc
	s_cbranch_execz .LBB6_6744
; %bb.6739:                             ;   in Loop: Header=BB6_6130 Depth=3
	v_cmp_ne_u16_e32 vcc, s80, v0
	v_bfrev_b32_e32 v2, 1
	s_and_saveexec_b64 s[34:35], vcc
	s_cbranch_execz .LBB6_6743
; %bb.6740:                             ;   in Loop: Header=BB6_6130 Depth=3
	v_and_b32_e32 v15, 0x7f, v61
	v_cmp_ne_u32_e32 vcc, s81, v15
	v_mov_b32_e32 v2, 0x7f800001
	s_and_saveexec_b64 s[36:37], vcc
	s_cbranch_execz .LBB6_6742
; %bb.6741:                             ;   in Loop: Header=BB6_6130 Depth=3
	v_and_b32_e32 v2, 7, v0
	v_lshrrev_b32_e32 v17, 3, v15
	v_cmp_gt_u32_e32 vcc, 8, v15
	v_ffbh_u32_e32 v15, v2
	v_min_u32_e32 v15, 32, v15
	v_subrev_u32_e32 v19, 28, v15
	v_lshlrev_b64 v[19:20], v19, v[0:1]
	v_sub_u32_e32 v0, 29, v15
	v_and_b32_e32 v15, 7, v19
	v_cndmask_b32_e32 v0, v17, v0, vcc
	v_cndmask_b32_e32 v2, v2, v15, vcc
	v_lshlrev_b32_e32 v15, 24, v61
	v_bfrev_b32_e32 v17, 60
	v_lshlrev_b32_e32 v2, 20, v2
	v_and_b32_e32 v15, 0x80000000, v15
	v_lshl_add_u32 v0, v0, 23, v17
	v_or3_b32 v2, v15, v0, v2
.LBB6_6742:                             ;   in Loop: Header=BB6_6130 Depth=3
	s_or_b64 exec, exec, s[36:37]
.LBB6_6743:                             ;   in Loop: Header=BB6_6130 Depth=3
	s_or_b64 exec, exec, s[34:35]
.LBB6_6744:                             ;   in Loop: Header=BB6_6130 Depth=3
	s_or_b64 exec, exec, s[28:29]
	v_and_b32_e32 v0, 0xff, v59
	v_cmp_ne_u16_e32 vcc, 0, v0
	s_and_saveexec_b64 s[28:29], vcc
	s_cbranch_execz .LBB6_6750
; %bb.6745:                             ;   in Loop: Header=BB6_6130 Depth=3
	v_cmp_ne_u16_e32 vcc, s80, v0
	v_bfrev_b32_e32 v1, 1
	s_and_saveexec_b64 s[34:35], vcc
	s_cbranch_execz .LBB6_6749
; %bb.6746:                             ;   in Loop: Header=BB6_6130 Depth=3
	v_and_b32_e32 v15, 0x7f, v59
	v_cmp_ne_u32_e32 vcc, s81, v15
	v_mov_b32_e32 v1, 0x7f800001
	s_and_saveexec_b64 s[36:37], vcc
	s_cbranch_execz .LBB6_6748
; %bb.6747:                             ;   in Loop: Header=BB6_6130 Depth=3
	v_and_b32_e32 v17, 7, v0
	v_ffbh_u32_e32 v1, v17
	v_lshrrev_b32_e32 v19, 3, v15
	v_cmp_gt_u32_e32 vcc, 8, v15
	v_min_u32_e32 v15, 32, v1
	v_subrev_u32_e32 v1, 28, v15
	v_lshlrev_b64 v[0:1], v1, v[0:1]
	v_sub_u32_e32 v1, 29, v15
	v_and_b32_e32 v0, 7, v0
	v_cndmask_b32_e32 v1, v19, v1, vcc
	v_cndmask_b32_e32 v0, v17, v0, vcc
	v_lshlrev_b32_e32 v15, 24, v59
	v_bfrev_b32_e32 v17, 60
	v_lshlrev_b32_e32 v0, 20, v0
	v_and_b32_e32 v15, 0x80000000, v15
	v_lshl_add_u32 v1, v1, 23, v17
	v_or3_b32 v1, v15, v1, v0
.LBB6_6748:                             ;   in Loop: Header=BB6_6130 Depth=3
	s_or_b64 exec, exec, s[36:37]
.LBB6_6749:                             ;   in Loop: Header=BB6_6130 Depth=3
	s_or_b64 exec, exec, s[34:35]
.LBB6_6750:                             ;   in Loop: Header=BB6_6130 Depth=3
	s_or_b64 exec, exec, s[28:29]
	v_mul_f32_e32 v0, v2, v1
	v_and_b32_e32 v20, 0x7f800000, v0
	v_cmp_ne_u64_e32 vcc, s[62:63], v[20:21]
                                        ; implicit-def: $vgpr15
	s_and_saveexec_b64 s[28:29], vcc
	s_xor_b64 s[34:35], exec, s[28:29]
	s_cbranch_execz .LBB6_6768
; %bb.6751:                             ;   in Loop: Header=BB6_6130 Depth=3
	v_and_b32_e32 v20, 0x7fffffff, v0
	v_cmp_gt_u64_e32 vcc, s[78:79], v[20:21]
	v_and_b32_sdwa v17, v0, s80 dst_sel:DWORD dst_unused:UNUSED_PAD src0_sel:BYTE_3 src1_sel:DWORD
                                        ; implicit-def: $vgpr15
	s_and_saveexec_b64 s[28:29], vcc
	s_xor_b64 s[36:37], exec, s[28:29]
	s_cbranch_execz .LBB6_6765
; %bb.6752:                             ;   in Loop: Header=BB6_6130 Depth=3
	v_cmp_ne_u32_e32 vcc, 0, v0
	v_mov_b32_e32 v15, 0
	s_and_saveexec_b64 s[38:39], vcc
	s_cbranch_execz .LBB6_6764
; %bb.6753:                             ;   in Loop: Header=BB6_6130 Depth=3
	v_bfe_u32 v15, v0, 23, 8
	v_and_b32_e32 v1, 0x7fffff, v0
	v_cmp_gt_u32_e64 s[28:29], s47, v15
	v_sub_u32_e32 v0, 0x79, v15
	v_cmp_eq_u32_e32 vcc, 0, v15
	v_cndmask_b32_e64 v0, 0, v0, s[28:29]
	v_mov_b32_e32 v19, 0x78
	v_cndmask_b32_e32 v19, v0, v19, vcc
	v_or_b32_e32 v2, 0x800000, v1
	v_add_u32_e32 v0, 20, v19
	v_cndmask_b32_e32 v20, v2, v1, vcc
	v_lshlrev_b64 v[0:1], v0, -1
	v_add_u32_e32 v2, 19, v19
	v_lshlrev_b64 v[23:24], v2, 1
	v_bfi_b32 v1, v1, 0, 0
	v_bfi_b32 v0, v0, 0, v20
	v_cmp_eq_u64_e64 s[28:29], v[0:1], v[23:24]
	v_lshrrev_b64 v[0:1], v19, v[20:21]
	v_mov_b32_e32 v2, v1
	v_mov_b32_e32 v1, v0
	s_and_saveexec_b64 s[48:49], s[28:29]
; %bb.6754:                             ;   in Loop: Header=BB6_6130 Depth=3
	v_bfe_u32 v1, v0, 20, 1
	v_add_co_u32_e64 v1, s[28:29], v0, v1
	v_add_co_u32_e64 v1, s[28:29], -1, v1
; %bb.6755:                             ;   in Loop: Header=BB6_6130 Depth=3
	s_or_b64 exec, exec, s[48:49]
	v_add_u32_e32 v2, 0xffffff81, v15
	v_mov_b32_e32 v15, 0xffffff82
	v_cndmask_b32_e32 v2, v2, v15, vcc
	v_lshrrev_b32_e32 v15, 23, v0
	v_add3_u32 v19, v19, v2, v15
	v_add_u32_e32 v15, 6, v19
	v_and_b32_e32 v1, 0xfffff, v1
	v_add_u32_e32 v20, v1, v0
	v_cmp_ne_u32_e32 vcc, 0, v15
                                        ; implicit-def: $vgpr0_vgpr1
                                        ; implicit-def: $vgpr2
	s_and_saveexec_b64 s[28:29], vcc
	s_xor_b64 s[28:29], exec, s[28:29]
; %bb.6756:                             ;   in Loop: Header=BB6_6130 Depth=3
	v_cmp_lt_u64_e32 vcc, s[88:89], v[20:21]
	v_add_u32_e32 v0, 7, v19
	v_cndmask_b32_e32 v2, v15, v0, vcc
	v_cndmask_b32_e64 v0, 0, 1, vcc
	v_lshrrev_b64 v[0:1], v0, v[20:21]
; %bb.6757:                             ;   in Loop: Header=BB6_6130 Depth=3
	s_andn2_saveexec_b64 s[28:29], s[28:29]
; %bb.6758:                             ;   in Loop: Header=BB6_6130 Depth=3
	v_mov_b32_e32 v0, v20
	v_bfe_u32 v2, v20, 23, 1
	v_mov_b32_e32 v1, v21
; %bb.6759:                             ;   in Loop: Header=BB6_6130 Depth=3
	s_or_b64 exec, exec, s[28:29]
	v_lshrrev_b64 v[0:1], 20, v[0:1]
	v_cmp_gt_i32_e32 vcc, 16, v2
	v_cndmask_b32_e32 v1, 0, v1, vcc
	v_cndmask_b32_e32 v0, 7, v0, vcc
	v_cmp_ne_u64_e32 vcc, 0, v[0:1]
	v_cmp_ne_u32_e64 s[28:29], 0, v2
	s_or_b64 s[28:29], s[28:29], vcc
                                        ; implicit-def: $vgpr15
	s_and_saveexec_b64 vcc, s[28:29]
	s_xor_b64 s[28:29], exec, vcc
; %bb.6760:                             ;   in Loop: Header=BB6_6130 Depth=3
	v_min_i32_e32 v1, 15, v2
	v_lshl_or_b32 v1, v1, 3, v17
	v_and_or_b32 v15, v0, 7, v1
                                        ; implicit-def: $vgpr17
; %bb.6761:                             ;   in Loop: Header=BB6_6130 Depth=3
	s_andn2_saveexec_b64 s[28:29], s[28:29]
; %bb.6762:                             ;   in Loop: Header=BB6_6130 Depth=3
	v_mov_b32_e32 v15, v17
; %bb.6763:                             ;   in Loop: Header=BB6_6130 Depth=3
	s_or_b64 exec, exec, s[28:29]
.LBB6_6764:                             ;   in Loop: Header=BB6_6130 Depth=3
	s_or_b64 exec, exec, s[38:39]
                                        ; implicit-def: $vgpr17
.LBB6_6765:                             ;   in Loop: Header=BB6_6130 Depth=3
	s_andn2_saveexec_b64 s[28:29], s[36:37]
; %bb.6766:                             ;   in Loop: Header=BB6_6130 Depth=3
	v_or_b32_e32 v15, 0x7e, v17
; %bb.6767:                             ;   in Loop: Header=BB6_6130 Depth=3
	s_or_b64 exec, exec, s[28:29]
                                        ; implicit-def: $vgpr0
.LBB6_6768:                             ;   in Loop: Header=BB6_6130 Depth=3
	s_andn2_saveexec_b64 s[28:29], s[34:35]
; %bb.6769:                             ;   in Loop: Header=BB6_6130 Depth=3
	v_or_b32_sdwa v15, v0, s81 dst_sel:DWORD dst_unused:UNUSED_PAD src0_sel:BYTE_3 src1_sel:DWORD
; %bb.6770:                             ;   in Loop: Header=BB6_6130 Depth=3
	s_or_b64 exec, exec, s[28:29]
	v_and_b32_e32 v0, 0xff, v58
	v_cmp_ne_u16_e32 vcc, 0, v0
	v_mov_b32_e32 v1, 0
	v_mov_b32_e32 v2, 0
	s_and_saveexec_b64 s[28:29], vcc
	s_cbranch_execz .LBB6_6776
; %bb.6771:                             ;   in Loop: Header=BB6_6130 Depth=3
	v_cmp_ne_u16_e32 vcc, s80, v0
	v_bfrev_b32_e32 v2, 1
	s_and_saveexec_b64 s[34:35], vcc
	s_cbranch_execz .LBB6_6775
; %bb.6772:                             ;   in Loop: Header=BB6_6130 Depth=3
	v_and_b32_e32 v17, 0x7f, v58
	v_cmp_ne_u32_e32 vcc, s81, v17
	v_mov_b32_e32 v2, 0x7f800001
	s_and_saveexec_b64 s[36:37], vcc
	s_cbranch_execz .LBB6_6774
; %bb.6773:                             ;   in Loop: Header=BB6_6130 Depth=3
	v_and_b32_e32 v2, 7, v0
	v_lshrrev_b32_e32 v23, 3, v17
	v_cmp_gt_u32_e32 vcc, 8, v17
	v_ffbh_u32_e32 v17, v2
	v_min_u32_e32 v17, 32, v17
	v_subrev_u32_e32 v19, 28, v17
	v_lshlrev_b64 v[19:20], v19, v[0:1]
	v_sub_u32_e32 v0, 29, v17
	v_and_b32_e32 v17, 7, v19
	v_cndmask_b32_e32 v0, v23, v0, vcc
	v_cndmask_b32_e32 v2, v2, v17, vcc
	v_lshlrev_b32_e32 v17, 24, v58
	v_bfrev_b32_e32 v19, 60
	v_lshlrev_b32_e32 v2, 20, v2
	v_and_b32_e32 v17, 0x80000000, v17
	v_lshl_add_u32 v0, v0, 23, v19
	v_or3_b32 v2, v17, v0, v2
.LBB6_6774:                             ;   in Loop: Header=BB6_6130 Depth=3
	s_or_b64 exec, exec, s[36:37]
.LBB6_6775:                             ;   in Loop: Header=BB6_6130 Depth=3
	s_or_b64 exec, exec, s[34:35]
.LBB6_6776:                             ;   in Loop: Header=BB6_6130 Depth=3
	s_or_b64 exec, exec, s[28:29]
	v_and_b32_e32 v0, 0xff, v56
	v_cmp_ne_u16_e32 vcc, 0, v0
	s_and_saveexec_b64 s[28:29], vcc
	s_cbranch_execz .LBB6_6782
; %bb.6777:                             ;   in Loop: Header=BB6_6130 Depth=3
	v_cmp_ne_u16_e32 vcc, s80, v0
	v_bfrev_b32_e32 v1, 1
	s_and_saveexec_b64 s[34:35], vcc
	s_cbranch_execz .LBB6_6781
; %bb.6778:                             ;   in Loop: Header=BB6_6130 Depth=3
	v_and_b32_e32 v17, 0x7f, v56
	v_cmp_ne_u32_e32 vcc, s81, v17
	v_mov_b32_e32 v1, 0x7f800001
	s_and_saveexec_b64 s[36:37], vcc
	s_cbranch_execz .LBB6_6780
; %bb.6779:                             ;   in Loop: Header=BB6_6130 Depth=3
	v_and_b32_e32 v19, 7, v0
	v_ffbh_u32_e32 v1, v19
	v_lshrrev_b32_e32 v20, 3, v17
	v_cmp_gt_u32_e32 vcc, 8, v17
	v_min_u32_e32 v17, 32, v1
	v_subrev_u32_e32 v1, 28, v17
	v_lshlrev_b64 v[0:1], v1, v[0:1]
	v_sub_u32_e32 v1, 29, v17
	v_and_b32_e32 v0, 7, v0
	v_cndmask_b32_e32 v1, v20, v1, vcc
	v_cndmask_b32_e32 v0, v19, v0, vcc
	v_lshlrev_b32_e32 v17, 24, v56
	v_bfrev_b32_e32 v19, 60
	v_lshlrev_b32_e32 v0, 20, v0
	v_and_b32_e32 v17, 0x80000000, v17
	v_lshl_add_u32 v1, v1, 23, v19
	v_or3_b32 v1, v17, v1, v0
.LBB6_6780:                             ;   in Loop: Header=BB6_6130 Depth=3
	s_or_b64 exec, exec, s[36:37]
.LBB6_6781:                             ;   in Loop: Header=BB6_6130 Depth=3
	s_or_b64 exec, exec, s[34:35]
.LBB6_6782:                             ;   in Loop: Header=BB6_6130 Depth=3
	s_or_b64 exec, exec, s[28:29]
	v_mul_f32_e32 v0, v2, v1
	v_and_b32_e32 v20, 0x7f800000, v0
	v_cmp_ne_u64_e32 vcc, s[62:63], v[20:21]
                                        ; implicit-def: $vgpr19
	s_and_saveexec_b64 s[28:29], vcc
	s_xor_b64 s[34:35], exec, s[28:29]
	s_cbranch_execz .LBB6_6800
; %bb.6783:                             ;   in Loop: Header=BB6_6130 Depth=3
	v_and_b32_e32 v20, 0x7fffffff, v0
	v_cmp_gt_u64_e32 vcc, s[78:79], v[20:21]
	v_and_b32_sdwa v17, v0, s80 dst_sel:DWORD dst_unused:UNUSED_PAD src0_sel:BYTE_3 src1_sel:DWORD
                                        ; implicit-def: $vgpr19
	s_and_saveexec_b64 s[28:29], vcc
	s_xor_b64 s[36:37], exec, s[28:29]
	s_cbranch_execz .LBB6_6797
; %bb.6784:                             ;   in Loop: Header=BB6_6130 Depth=3
	v_cmp_ne_u32_e32 vcc, 0, v0
	v_mov_b32_e32 v19, 0
	s_and_saveexec_b64 s[38:39], vcc
	s_cbranch_execz .LBB6_6796
; %bb.6785:                             ;   in Loop: Header=BB6_6130 Depth=3
	v_bfe_u32 v19, v0, 23, 8
	v_and_b32_e32 v1, 0x7fffff, v0
	v_cmp_gt_u32_e64 s[28:29], s47, v19
	v_sub_u32_e32 v0, 0x79, v19
	v_cmp_eq_u32_e32 vcc, 0, v19
	v_cndmask_b32_e64 v0, 0, v0, s[28:29]
	v_mov_b32_e32 v20, 0x78
	v_cndmask_b32_e32 v23, v0, v20, vcc
	v_or_b32_e32 v2, 0x800000, v1
	v_add_u32_e32 v0, 20, v23
	v_cndmask_b32_e32 v20, v2, v1, vcc
	v_lshlrev_b64 v[0:1], v0, -1
	v_add_u32_e32 v2, 19, v23
	v_lshlrev_b64 v[26:27], v2, 1
	v_bfi_b32 v1, v1, 0, 0
	v_bfi_b32 v0, v0, 0, v20
	v_cmp_eq_u64_e64 s[28:29], v[0:1], v[26:27]
	v_lshrrev_b64 v[0:1], v23, v[20:21]
	v_mov_b32_e32 v2, v1
	v_mov_b32_e32 v1, v0
	s_and_saveexec_b64 s[48:49], s[28:29]
; %bb.6786:                             ;   in Loop: Header=BB6_6130 Depth=3
	v_bfe_u32 v1, v0, 20, 1
	v_add_co_u32_e64 v1, s[28:29], v0, v1
	v_add_co_u32_e64 v1, s[28:29], -1, v1
; %bb.6787:                             ;   in Loop: Header=BB6_6130 Depth=3
	s_or_b64 exec, exec, s[48:49]
	v_add_u32_e32 v2, 0xffffff81, v19
	v_mov_b32_e32 v19, 0xffffff82
	v_cndmask_b32_e32 v2, v2, v19, vcc
	v_lshrrev_b32_e32 v19, 23, v0
	v_add3_u32 v23, v23, v2, v19
	v_add_u32_e32 v19, 6, v23
	v_and_b32_e32 v1, 0xfffff, v1
	v_add_u32_e32 v20, v1, v0
	v_cmp_ne_u32_e32 vcc, 0, v19
                                        ; implicit-def: $vgpr0_vgpr1
                                        ; implicit-def: $vgpr2
	s_and_saveexec_b64 s[28:29], vcc
	s_xor_b64 s[28:29], exec, s[28:29]
; %bb.6788:                             ;   in Loop: Header=BB6_6130 Depth=3
	v_cmp_lt_u64_e32 vcc, s[88:89], v[20:21]
	v_add_u32_e32 v0, 7, v23
	v_cndmask_b32_e32 v2, v19, v0, vcc
	v_cndmask_b32_e64 v0, 0, 1, vcc
	v_lshrrev_b64 v[0:1], v0, v[20:21]
; %bb.6789:                             ;   in Loop: Header=BB6_6130 Depth=3
	s_andn2_saveexec_b64 s[28:29], s[28:29]
; %bb.6790:                             ;   in Loop: Header=BB6_6130 Depth=3
	v_mov_b32_e32 v0, v20
	v_bfe_u32 v2, v20, 23, 1
	v_mov_b32_e32 v1, v21
; %bb.6791:                             ;   in Loop: Header=BB6_6130 Depth=3
	s_or_b64 exec, exec, s[28:29]
	v_lshrrev_b64 v[0:1], 20, v[0:1]
	v_cmp_gt_i32_e32 vcc, 16, v2
	v_cndmask_b32_e32 v1, 0, v1, vcc
	v_cndmask_b32_e32 v0, 7, v0, vcc
	v_cmp_ne_u64_e32 vcc, 0, v[0:1]
	v_cmp_ne_u32_e64 s[28:29], 0, v2
	s_or_b64 s[28:29], s[28:29], vcc
                                        ; implicit-def: $vgpr19
	s_and_saveexec_b64 vcc, s[28:29]
	s_xor_b64 s[28:29], exec, vcc
; %bb.6792:                             ;   in Loop: Header=BB6_6130 Depth=3
	v_min_i32_e32 v1, 15, v2
	v_lshl_or_b32 v1, v1, 3, v17
	v_and_or_b32 v19, v0, 7, v1
                                        ; implicit-def: $vgpr17
; %bb.6793:                             ;   in Loop: Header=BB6_6130 Depth=3
	s_andn2_saveexec_b64 s[28:29], s[28:29]
; %bb.6794:                             ;   in Loop: Header=BB6_6130 Depth=3
	v_mov_b32_e32 v19, v17
; %bb.6795:                             ;   in Loop: Header=BB6_6130 Depth=3
	s_or_b64 exec, exec, s[28:29]
.LBB6_6796:                             ;   in Loop: Header=BB6_6130 Depth=3
	s_or_b64 exec, exec, s[38:39]
                                        ; implicit-def: $vgpr17
.LBB6_6797:                             ;   in Loop: Header=BB6_6130 Depth=3
	s_andn2_saveexec_b64 s[28:29], s[36:37]
; %bb.6798:                             ;   in Loop: Header=BB6_6130 Depth=3
	v_or_b32_e32 v19, 0x7e, v17
; %bb.6799:                             ;   in Loop: Header=BB6_6130 Depth=3
	s_or_b64 exec, exec, s[28:29]
                                        ; implicit-def: $vgpr0
.LBB6_6800:                             ;   in Loop: Header=BB6_6130 Depth=3
	s_andn2_saveexec_b64 s[28:29], s[34:35]
; %bb.6801:                             ;   in Loop: Header=BB6_6130 Depth=3
	v_or_b32_sdwa v19, v0, s81 dst_sel:DWORD dst_unused:UNUSED_PAD src0_sel:BYTE_3 src1_sel:DWORD
; %bb.6802:                             ;   in Loop: Header=BB6_6130 Depth=3
	s_or_b64 exec, exec, s[28:29]
	v_and_b32_e32 v0, 0xff, v45
	v_cmp_ne_u16_e32 vcc, 0, v0
	v_mov_b32_e32 v1, 0
	v_mov_b32_e32 v2, 0
	s_and_saveexec_b64 s[28:29], vcc
	s_cbranch_execz .LBB6_6808
; %bb.6803:                             ;   in Loop: Header=BB6_6130 Depth=3
	v_cmp_ne_u16_e32 vcc, s80, v0
	v_bfrev_b32_e32 v2, 1
	s_and_saveexec_b64 s[34:35], vcc
	s_cbranch_execz .LBB6_6807
; %bb.6804:                             ;   in Loop: Header=BB6_6130 Depth=3
	v_and_b32_e32 v17, 0x7f, v45
	v_cmp_ne_u32_e32 vcc, s81, v17
	v_mov_b32_e32 v2, 0x7f800001
	s_and_saveexec_b64 s[36:37], vcc
	s_cbranch_execz .LBB6_6806
; %bb.6805:                             ;   in Loop: Header=BB6_6130 Depth=3
	v_and_b32_e32 v2, 7, v0
	v_lshrrev_b32_e32 v20, 3, v17
	v_cmp_gt_u32_e32 vcc, 8, v17
	v_ffbh_u32_e32 v17, v2
	v_min_u32_e32 v17, 32, v17
	v_subrev_u32_e32 v23, 28, v17
	v_lshlrev_b64 v[23:24], v23, v[0:1]
	v_sub_u32_e32 v0, 29, v17
	v_and_b32_e32 v17, 7, v23
	v_cndmask_b32_e32 v0, v20, v0, vcc
	v_cndmask_b32_e32 v2, v2, v17, vcc
	v_lshlrev_b32_e32 v17, 24, v45
	v_bfrev_b32_e32 v20, 60
	v_lshlrev_b32_e32 v2, 20, v2
	v_and_b32_e32 v17, 0x80000000, v17
	v_lshl_add_u32 v0, v0, 23, v20
	v_or3_b32 v2, v17, v0, v2
.LBB6_6806:                             ;   in Loop: Header=BB6_6130 Depth=3
	s_or_b64 exec, exec, s[36:37]
.LBB6_6807:                             ;   in Loop: Header=BB6_6130 Depth=3
	s_or_b64 exec, exec, s[34:35]
.LBB6_6808:                             ;   in Loop: Header=BB6_6130 Depth=3
	s_or_b64 exec, exec, s[28:29]
	v_and_b32_e32 v0, 0xff, v43
	v_cmp_ne_u16_e32 vcc, 0, v0
	s_and_saveexec_b64 s[28:29], vcc
	s_cbranch_execz .LBB6_6814
; %bb.6809:                             ;   in Loop: Header=BB6_6130 Depth=3
	v_cmp_ne_u16_e32 vcc, s80, v0
	v_bfrev_b32_e32 v1, 1
	s_and_saveexec_b64 s[34:35], vcc
	s_cbranch_execz .LBB6_6813
; %bb.6810:                             ;   in Loop: Header=BB6_6130 Depth=3
	v_and_b32_e32 v17, 0x7f, v43
	v_cmp_ne_u32_e32 vcc, s81, v17
	v_mov_b32_e32 v1, 0x7f800001
	s_and_saveexec_b64 s[36:37], vcc
	s_cbranch_execz .LBB6_6812
; %bb.6811:                             ;   in Loop: Header=BB6_6130 Depth=3
	v_and_b32_e32 v20, 7, v0
	v_ffbh_u32_e32 v1, v20
	v_lshrrev_b32_e32 v23, 3, v17
	v_cmp_gt_u32_e32 vcc, 8, v17
	v_min_u32_e32 v17, 32, v1
	v_subrev_u32_e32 v1, 28, v17
	v_lshlrev_b64 v[0:1], v1, v[0:1]
	v_sub_u32_e32 v1, 29, v17
	v_and_b32_e32 v0, 7, v0
	v_cndmask_b32_e32 v1, v23, v1, vcc
	v_cndmask_b32_e32 v0, v20, v0, vcc
	v_lshlrev_b32_e32 v17, 24, v43
	v_bfrev_b32_e32 v20, 60
	v_lshlrev_b32_e32 v0, 20, v0
	v_and_b32_e32 v17, 0x80000000, v17
	v_lshl_add_u32 v1, v1, 23, v20
	v_or3_b32 v1, v17, v1, v0
.LBB6_6812:                             ;   in Loop: Header=BB6_6130 Depth=3
	s_or_b64 exec, exec, s[36:37]
.LBB6_6813:                             ;   in Loop: Header=BB6_6130 Depth=3
	s_or_b64 exec, exec, s[34:35]
.LBB6_6814:                             ;   in Loop: Header=BB6_6130 Depth=3
	s_or_b64 exec, exec, s[28:29]
	v_mul_f32_e32 v0, v2, v1
	v_and_b32_e32 v20, 0x7f800000, v0
	v_cmp_ne_u64_e32 vcc, s[62:63], v[20:21]
                                        ; implicit-def: $vgpr23
	s_and_saveexec_b64 s[28:29], vcc
	s_xor_b64 s[34:35], exec, s[28:29]
	s_cbranch_execz .LBB6_6832
; %bb.6815:                             ;   in Loop: Header=BB6_6130 Depth=3
	v_and_b32_e32 v20, 0x7fffffff, v0
	v_cmp_gt_u64_e32 vcc, s[78:79], v[20:21]
	v_and_b32_sdwa v17, v0, s80 dst_sel:DWORD dst_unused:UNUSED_PAD src0_sel:BYTE_3 src1_sel:DWORD
                                        ; implicit-def: $vgpr23
	s_and_saveexec_b64 s[28:29], vcc
	s_xor_b64 s[36:37], exec, s[28:29]
	s_cbranch_execz .LBB6_6829
; %bb.6816:                             ;   in Loop: Header=BB6_6130 Depth=3
	v_cmp_ne_u32_e32 vcc, 0, v0
	v_mov_b32_e32 v23, 0
	s_and_saveexec_b64 s[38:39], vcc
	s_cbranch_execz .LBB6_6828
; %bb.6817:                             ;   in Loop: Header=BB6_6130 Depth=3
	v_bfe_u32 v23, v0, 23, 8
	v_and_b32_e32 v1, 0x7fffff, v0
	v_cmp_gt_u32_e64 s[28:29], s47, v23
	v_sub_u32_e32 v0, 0x79, v23
	v_cmp_eq_u32_e32 vcc, 0, v23
	v_cndmask_b32_e64 v0, 0, v0, s[28:29]
	v_mov_b32_e32 v20, 0x78
	v_cndmask_b32_e32 v24, v0, v20, vcc
	v_or_b32_e32 v2, 0x800000, v1
	v_add_u32_e32 v0, 20, v24
	v_cndmask_b32_e32 v20, v2, v1, vcc
	v_lshlrev_b64 v[0:1], v0, -1
	v_add_u32_e32 v2, 19, v24
	v_lshlrev_b64 v[26:27], v2, 1
	v_bfi_b32 v1, v1, 0, 0
	v_bfi_b32 v0, v0, 0, v20
	v_cmp_eq_u64_e64 s[28:29], v[0:1], v[26:27]
	v_lshrrev_b64 v[0:1], v24, v[20:21]
	v_mov_b32_e32 v2, v1
	v_mov_b32_e32 v1, v0
	s_and_saveexec_b64 s[48:49], s[28:29]
; %bb.6818:                             ;   in Loop: Header=BB6_6130 Depth=3
	v_bfe_u32 v1, v0, 20, 1
	v_add_co_u32_e64 v1, s[28:29], v0, v1
	v_add_co_u32_e64 v1, s[28:29], -1, v1
; %bb.6819:                             ;   in Loop: Header=BB6_6130 Depth=3
	s_or_b64 exec, exec, s[48:49]
	v_add_u32_e32 v2, 0xffffff81, v23
	v_mov_b32_e32 v20, 0xffffff82
	v_cndmask_b32_e32 v2, v2, v20, vcc
	v_lshrrev_b32_e32 v20, 23, v0
	v_add3_u32 v24, v24, v2, v20
	v_add_u32_e32 v23, 6, v24
	v_and_b32_e32 v1, 0xfffff, v1
	v_add_u32_e32 v20, v1, v0
	v_cmp_ne_u32_e32 vcc, 0, v23
                                        ; implicit-def: $vgpr0_vgpr1
                                        ; implicit-def: $vgpr2
	s_and_saveexec_b64 s[28:29], vcc
	s_xor_b64 s[28:29], exec, s[28:29]
; %bb.6820:                             ;   in Loop: Header=BB6_6130 Depth=3
	v_cmp_lt_u64_e32 vcc, s[88:89], v[20:21]
	v_add_u32_e32 v0, 7, v24
	v_cndmask_b32_e32 v2, v23, v0, vcc
	v_cndmask_b32_e64 v0, 0, 1, vcc
	v_lshrrev_b64 v[0:1], v0, v[20:21]
; %bb.6821:                             ;   in Loop: Header=BB6_6130 Depth=3
	s_andn2_saveexec_b64 s[28:29], s[28:29]
; %bb.6822:                             ;   in Loop: Header=BB6_6130 Depth=3
	v_mov_b32_e32 v0, v20
	v_bfe_u32 v2, v20, 23, 1
	v_mov_b32_e32 v1, v21
; %bb.6823:                             ;   in Loop: Header=BB6_6130 Depth=3
	s_or_b64 exec, exec, s[28:29]
	v_lshrrev_b64 v[0:1], 20, v[0:1]
	v_cmp_gt_i32_e32 vcc, 16, v2
	v_cndmask_b32_e32 v1, 0, v1, vcc
	v_cndmask_b32_e32 v0, 7, v0, vcc
	v_cmp_ne_u64_e32 vcc, 0, v[0:1]
	v_cmp_ne_u32_e64 s[28:29], 0, v2
	s_or_b64 s[28:29], s[28:29], vcc
                                        ; implicit-def: $vgpr23
	s_and_saveexec_b64 vcc, s[28:29]
	s_xor_b64 s[28:29], exec, vcc
; %bb.6824:                             ;   in Loop: Header=BB6_6130 Depth=3
	v_min_i32_e32 v1, 15, v2
	v_lshl_or_b32 v1, v1, 3, v17
	v_and_or_b32 v23, v0, 7, v1
                                        ; implicit-def: $vgpr17
; %bb.6825:                             ;   in Loop: Header=BB6_6130 Depth=3
	s_andn2_saveexec_b64 s[28:29], s[28:29]
; %bb.6826:                             ;   in Loop: Header=BB6_6130 Depth=3
	v_mov_b32_e32 v23, v17
; %bb.6827:                             ;   in Loop: Header=BB6_6130 Depth=3
	s_or_b64 exec, exec, s[28:29]
.LBB6_6828:                             ;   in Loop: Header=BB6_6130 Depth=3
	s_or_b64 exec, exec, s[38:39]
                                        ; implicit-def: $vgpr17
.LBB6_6829:                             ;   in Loop: Header=BB6_6130 Depth=3
	s_andn2_saveexec_b64 s[28:29], s[36:37]
; %bb.6830:                             ;   in Loop: Header=BB6_6130 Depth=3
	v_or_b32_e32 v23, 0x7e, v17
; %bb.6831:                             ;   in Loop: Header=BB6_6130 Depth=3
	s_or_b64 exec, exec, s[28:29]
                                        ; implicit-def: $vgpr0
.LBB6_6832:                             ;   in Loop: Header=BB6_6130 Depth=3
	s_andn2_saveexec_b64 s[28:29], s[34:35]
; %bb.6833:                             ;   in Loop: Header=BB6_6130 Depth=3
	v_or_b32_sdwa v23, v0, s81 dst_sel:DWORD dst_unused:UNUSED_PAD src0_sel:BYTE_3 src1_sel:DWORD
; %bb.6834:                             ;   in Loop: Header=BB6_6130 Depth=3
	s_or_b64 exec, exec, s[28:29]
	v_and_b32_e32 v0, 0xff, v41
	v_cmp_ne_u16_e32 vcc, 0, v0
	v_mov_b32_e32 v1, 0
	v_mov_b32_e32 v2, 0
	s_and_saveexec_b64 s[28:29], vcc
	s_cbranch_execz .LBB6_6840
; %bb.6835:                             ;   in Loop: Header=BB6_6130 Depth=3
	v_cmp_ne_u16_e32 vcc, s80, v0
	v_bfrev_b32_e32 v2, 1
	s_and_saveexec_b64 s[34:35], vcc
	s_cbranch_execz .LBB6_6839
; %bb.6836:                             ;   in Loop: Header=BB6_6130 Depth=3
	v_and_b32_e32 v17, 0x7f, v41
	v_cmp_ne_u32_e32 vcc, s81, v17
	v_mov_b32_e32 v2, 0x7f800001
	s_and_saveexec_b64 s[36:37], vcc
	s_cbranch_execz .LBB6_6838
; %bb.6837:                             ;   in Loop: Header=BB6_6130 Depth=3
	v_and_b32_e32 v2, 7, v0
	v_lshrrev_b32_e32 v20, 3, v17
	v_cmp_gt_u32_e32 vcc, 8, v17
	v_ffbh_u32_e32 v17, v2
	v_min_u32_e32 v17, 32, v17
	v_subrev_u32_e32 v24, 28, v17
	v_lshlrev_b64 v[26:27], v24, v[0:1]
	v_sub_u32_e32 v0, 29, v17
	v_and_b32_e32 v17, 7, v26
	v_cndmask_b32_e32 v0, v20, v0, vcc
	v_cndmask_b32_e32 v2, v2, v17, vcc
	v_lshlrev_b32_e32 v17, 24, v41
	v_bfrev_b32_e32 v20, 60
	v_lshlrev_b32_e32 v2, 20, v2
	v_and_b32_e32 v17, 0x80000000, v17
	v_lshl_add_u32 v0, v0, 23, v20
	v_or3_b32 v2, v17, v0, v2
.LBB6_6838:                             ;   in Loop: Header=BB6_6130 Depth=3
	s_or_b64 exec, exec, s[36:37]
.LBB6_6839:                             ;   in Loop: Header=BB6_6130 Depth=3
	s_or_b64 exec, exec, s[34:35]
.LBB6_6840:                             ;   in Loop: Header=BB6_6130 Depth=3
	s_or_b64 exec, exec, s[28:29]
	buffer_load_dword v0, off, s[0:3], s33 offset:168 ; 4-byte Folded Reload
	s_waitcnt vmcnt(0)
	v_and_b32_e32 v0, 0xff, v0
	v_cmp_ne_u16_e32 vcc, 0, v0
	s_and_saveexec_b64 s[28:29], vcc
	s_cbranch_execz .LBB6_6846
; %bb.6841:                             ;   in Loop: Header=BB6_6130 Depth=3
	v_cmp_ne_u16_e32 vcc, s80, v0
	v_bfrev_b32_e32 v1, 1
	s_and_saveexec_b64 s[34:35], vcc
	s_cbranch_execz .LBB6_6845
; %bb.6842:                             ;   in Loop: Header=BB6_6130 Depth=3
	buffer_load_dword v26, off, s[0:3], s33 offset:168 ; 4-byte Folded Reload
	v_mov_b32_e32 v1, 0x7f800001
	s_waitcnt vmcnt(0)
	v_and_b32_e32 v17, 0x7f, v26
	v_cmp_ne_u32_e32 vcc, s81, v17
	s_and_saveexec_b64 s[36:37], vcc
	s_cbranch_execz .LBB6_6844
; %bb.6843:                             ;   in Loop: Header=BB6_6130 Depth=3
	v_and_b32_e32 v20, 7, v0
	v_ffbh_u32_e32 v1, v20
	v_lshrrev_b32_e32 v24, 3, v17
	v_cmp_gt_u32_e32 vcc, 8, v17
	v_min_u32_e32 v17, 32, v1
	v_subrev_u32_e32 v1, 28, v17
	v_lshlrev_b64 v[0:1], v1, v[0:1]
	v_sub_u32_e32 v1, 29, v17
	v_and_b32_e32 v0, 7, v0
	v_cndmask_b32_e32 v1, v24, v1, vcc
	v_cndmask_b32_e32 v0, v20, v0, vcc
	v_lshlrev_b32_e32 v17, 24, v26
	v_bfrev_b32_e32 v20, 60
	v_lshlrev_b32_e32 v0, 20, v0
	v_and_b32_e32 v17, 0x80000000, v17
	v_lshl_add_u32 v1, v1, 23, v20
	v_or3_b32 v1, v17, v1, v0
.LBB6_6844:                             ;   in Loop: Header=BB6_6130 Depth=3
	s_or_b64 exec, exec, s[36:37]
.LBB6_6845:                             ;   in Loop: Header=BB6_6130 Depth=3
	s_or_b64 exec, exec, s[34:35]
.LBB6_6846:                             ;   in Loop: Header=BB6_6130 Depth=3
	s_or_b64 exec, exec, s[28:29]
	v_mul_f32_e32 v0, v2, v1
	v_and_b32_e32 v20, 0x7f800000, v0
	v_cmp_ne_u64_e32 vcc, s[62:63], v[20:21]
                                        ; implicit-def: $vgpr24
	s_and_saveexec_b64 s[28:29], vcc
	s_xor_b64 s[34:35], exec, s[28:29]
	s_cbranch_execz .LBB6_6864
; %bb.6847:                             ;   in Loop: Header=BB6_6130 Depth=3
	v_and_b32_e32 v20, 0x7fffffff, v0
	v_cmp_gt_u64_e32 vcc, s[78:79], v[20:21]
	v_and_b32_sdwa v17, v0, s80 dst_sel:DWORD dst_unused:UNUSED_PAD src0_sel:BYTE_3 src1_sel:DWORD
                                        ; implicit-def: $vgpr24
	s_and_saveexec_b64 s[28:29], vcc
	s_xor_b64 s[36:37], exec, s[28:29]
	s_cbranch_execz .LBB6_6861
; %bb.6848:                             ;   in Loop: Header=BB6_6130 Depth=3
	v_cmp_ne_u32_e32 vcc, 0, v0
	v_mov_b32_e32 v24, 0
	s_and_saveexec_b64 s[38:39], vcc
	s_cbranch_execz .LBB6_6860
; %bb.6849:                             ;   in Loop: Header=BB6_6130 Depth=3
	v_bfe_u32 v24, v0, 23, 8
	v_and_b32_e32 v1, 0x7fffff, v0
	v_cmp_gt_u32_e64 s[28:29], s47, v24
	v_sub_u32_e32 v0, 0x79, v24
	v_cmp_eq_u32_e32 vcc, 0, v24
	v_cndmask_b32_e64 v0, 0, v0, s[28:29]
	v_mov_b32_e32 v20, 0x78
	v_cndmask_b32_e32 v26, v0, v20, vcc
	v_or_b32_e32 v2, 0x800000, v1
	v_add_u32_e32 v0, 20, v26
	v_cndmask_b32_e32 v20, v2, v1, vcc
	v_lshlrev_b64 v[0:1], v0, -1
	v_add_u32_e32 v2, 19, v26
	v_lshlrev_b64 v[29:30], v2, 1
	v_bfi_b32 v1, v1, 0, 0
	v_bfi_b32 v0, v0, 0, v20
	v_cmp_eq_u64_e64 s[28:29], v[0:1], v[29:30]
	v_lshrrev_b64 v[0:1], v26, v[20:21]
	v_mov_b32_e32 v2, v1
	v_mov_b32_e32 v1, v0
	s_and_saveexec_b64 s[48:49], s[28:29]
; %bb.6850:                             ;   in Loop: Header=BB6_6130 Depth=3
	v_bfe_u32 v1, v0, 20, 1
	v_add_co_u32_e64 v1, s[28:29], v0, v1
	v_add_co_u32_e64 v1, s[28:29], -1, v1
; %bb.6851:                             ;   in Loop: Header=BB6_6130 Depth=3
	s_or_b64 exec, exec, s[48:49]
	v_add_u32_e32 v2, 0xffffff81, v24
	v_mov_b32_e32 v20, 0xffffff82
	v_cndmask_b32_e32 v2, v2, v20, vcc
	v_lshrrev_b32_e32 v20, 23, v0
	v_add3_u32 v26, v26, v2, v20
	v_add_u32_e32 v24, 6, v26
	v_and_b32_e32 v1, 0xfffff, v1
	v_add_u32_e32 v20, v1, v0
	v_cmp_ne_u32_e32 vcc, 0, v24
                                        ; implicit-def: $vgpr0_vgpr1
                                        ; implicit-def: $vgpr2
	s_and_saveexec_b64 s[28:29], vcc
	s_xor_b64 s[28:29], exec, s[28:29]
; %bb.6852:                             ;   in Loop: Header=BB6_6130 Depth=3
	v_cmp_lt_u64_e32 vcc, s[88:89], v[20:21]
	v_add_u32_e32 v0, 7, v26
	v_cndmask_b32_e32 v2, v24, v0, vcc
	v_cndmask_b32_e64 v0, 0, 1, vcc
	v_lshrrev_b64 v[0:1], v0, v[20:21]
; %bb.6853:                             ;   in Loop: Header=BB6_6130 Depth=3
	s_andn2_saveexec_b64 s[28:29], s[28:29]
; %bb.6854:                             ;   in Loop: Header=BB6_6130 Depth=3
	v_mov_b32_e32 v0, v20
	v_bfe_u32 v2, v20, 23, 1
	v_mov_b32_e32 v1, v21
; %bb.6855:                             ;   in Loop: Header=BB6_6130 Depth=3
	s_or_b64 exec, exec, s[28:29]
	v_lshrrev_b64 v[0:1], 20, v[0:1]
	v_cmp_gt_i32_e32 vcc, 16, v2
	v_cndmask_b32_e32 v1, 0, v1, vcc
	v_cndmask_b32_e32 v0, 7, v0, vcc
	v_cmp_ne_u64_e32 vcc, 0, v[0:1]
	v_cmp_ne_u32_e64 s[28:29], 0, v2
	s_or_b64 s[28:29], s[28:29], vcc
                                        ; implicit-def: $vgpr24
	s_and_saveexec_b64 vcc, s[28:29]
	s_xor_b64 s[28:29], exec, vcc
; %bb.6856:                             ;   in Loop: Header=BB6_6130 Depth=3
	v_min_i32_e32 v1, 15, v2
	v_lshl_or_b32 v1, v1, 3, v17
	v_and_or_b32 v24, v0, 7, v1
                                        ; implicit-def: $vgpr17
; %bb.6857:                             ;   in Loop: Header=BB6_6130 Depth=3
	s_andn2_saveexec_b64 s[28:29], s[28:29]
; %bb.6858:                             ;   in Loop: Header=BB6_6130 Depth=3
	v_mov_b32_e32 v24, v17
; %bb.6859:                             ;   in Loop: Header=BB6_6130 Depth=3
	s_or_b64 exec, exec, s[28:29]
.LBB6_6860:                             ;   in Loop: Header=BB6_6130 Depth=3
	s_or_b64 exec, exec, s[38:39]
                                        ; implicit-def: $vgpr17
.LBB6_6861:                             ;   in Loop: Header=BB6_6130 Depth=3
	s_andn2_saveexec_b64 s[28:29], s[36:37]
; %bb.6862:                             ;   in Loop: Header=BB6_6130 Depth=3
	v_or_b32_e32 v24, 0x7e, v17
; %bb.6863:                             ;   in Loop: Header=BB6_6130 Depth=3
	s_or_b64 exec, exec, s[28:29]
                                        ; implicit-def: $vgpr0
.LBB6_6864:                             ;   in Loop: Header=BB6_6130 Depth=3
	s_andn2_saveexec_b64 s[28:29], s[34:35]
; %bb.6865:                             ;   in Loop: Header=BB6_6130 Depth=3
	v_or_b32_sdwa v24, v0, s81 dst_sel:DWORD dst_unused:UNUSED_PAD src0_sel:BYTE_3 src1_sel:DWORD
; %bb.6866:                             ;   in Loop: Header=BB6_6130 Depth=3
	s_or_b64 exec, exec, s[28:29]
	buffer_load_dword v0, off, s[0:3], s33 offset:164 ; 4-byte Folded Reload
	v_mov_b32_e32 v1, 0
	v_mov_b32_e32 v2, 0
	s_waitcnt vmcnt(0)
	v_and_b32_e32 v0, 0xff, v0
	v_cmp_ne_u16_e32 vcc, 0, v0
	s_and_saveexec_b64 s[28:29], vcc
	s_cbranch_execz .LBB6_6872
; %bb.6867:                             ;   in Loop: Header=BB6_6130 Depth=3
	v_cmp_ne_u16_e32 vcc, s80, v0
	v_bfrev_b32_e32 v2, 1
	s_and_saveexec_b64 s[34:35], vcc
	s_cbranch_execz .LBB6_6871
; %bb.6868:                             ;   in Loop: Header=BB6_6130 Depth=3
	buffer_load_dword v29, off, s[0:3], s33 offset:164 ; 4-byte Folded Reload
	v_mov_b32_e32 v2, 0x7f800001
	s_waitcnt vmcnt(0)
	v_and_b32_e32 v17, 0x7f, v29
	v_cmp_ne_u32_e32 vcc, s81, v17
	s_and_saveexec_b64 s[36:37], vcc
	s_cbranch_execz .LBB6_6870
; %bb.6869:                             ;   in Loop: Header=BB6_6130 Depth=3
	v_and_b32_e32 v2, 7, v0
	v_lshrrev_b32_e32 v20, 3, v17
	v_cmp_gt_u32_e32 vcc, 8, v17
	v_ffbh_u32_e32 v17, v2
	v_min_u32_e32 v17, 32, v17
	v_subrev_u32_e32 v26, 28, v17
	v_lshlrev_b64 v[26:27], v26, v[0:1]
	v_sub_u32_e32 v0, 29, v17
	v_and_b32_e32 v17, 7, v26
	v_cndmask_b32_e32 v0, v20, v0, vcc
	v_cndmask_b32_e32 v2, v2, v17, vcc
	v_lshlrev_b32_e32 v17, 24, v29
	v_bfrev_b32_e32 v20, 60
	v_lshlrev_b32_e32 v2, 20, v2
	v_and_b32_e32 v17, 0x80000000, v17
	v_lshl_add_u32 v0, v0, 23, v20
	v_or3_b32 v2, v17, v0, v2
.LBB6_6870:                             ;   in Loop: Header=BB6_6130 Depth=3
	s_or_b64 exec, exec, s[36:37]
.LBB6_6871:                             ;   in Loop: Header=BB6_6130 Depth=3
	s_or_b64 exec, exec, s[34:35]
.LBB6_6872:                             ;   in Loop: Header=BB6_6130 Depth=3
	s_or_b64 exec, exec, s[28:29]
	buffer_load_dword v0, off, s[0:3], s33 offset:160 ; 4-byte Folded Reload
	s_waitcnt vmcnt(0)
	v_and_b32_e32 v0, 0xff, v0
	v_cmp_ne_u16_e32 vcc, 0, v0
	s_and_saveexec_b64 s[28:29], vcc
	s_cbranch_execz .LBB6_6878
; %bb.6873:                             ;   in Loop: Header=BB6_6130 Depth=3
	v_cmp_ne_u16_e32 vcc, s80, v0
	v_bfrev_b32_e32 v1, 1
	s_and_saveexec_b64 s[34:35], vcc
	s_cbranch_execz .LBB6_6877
; %bb.6874:                             ;   in Loop: Header=BB6_6130 Depth=3
	buffer_load_dword v27, off, s[0:3], s33 offset:160 ; 4-byte Folded Reload
	v_mov_b32_e32 v1, 0x7f800001
	s_waitcnt vmcnt(0)
	v_and_b32_e32 v17, 0x7f, v27
	v_cmp_ne_u32_e32 vcc, s81, v17
	s_and_saveexec_b64 s[36:37], vcc
	s_cbranch_execz .LBB6_6876
; %bb.6875:                             ;   in Loop: Header=BB6_6130 Depth=3
	v_and_b32_e32 v20, 7, v0
	v_ffbh_u32_e32 v1, v20
	v_lshrrev_b32_e32 v26, 3, v17
	v_cmp_gt_u32_e32 vcc, 8, v17
	v_min_u32_e32 v17, 32, v1
	v_subrev_u32_e32 v1, 28, v17
	v_lshlrev_b64 v[0:1], v1, v[0:1]
	v_sub_u32_e32 v1, 29, v17
	v_and_b32_e32 v0, 7, v0
	v_cndmask_b32_e32 v1, v26, v1, vcc
	v_cndmask_b32_e32 v0, v20, v0, vcc
	v_lshlrev_b32_e32 v17, 24, v27
	v_bfrev_b32_e32 v20, 60
	v_lshlrev_b32_e32 v0, 20, v0
	v_and_b32_e32 v17, 0x80000000, v17
	v_lshl_add_u32 v1, v1, 23, v20
	v_or3_b32 v1, v17, v1, v0
.LBB6_6876:                             ;   in Loop: Header=BB6_6130 Depth=3
	s_or_b64 exec, exec, s[36:37]
.LBB6_6877:                             ;   in Loop: Header=BB6_6130 Depth=3
	s_or_b64 exec, exec, s[34:35]
.LBB6_6878:                             ;   in Loop: Header=BB6_6130 Depth=3
	s_or_b64 exec, exec, s[28:29]
	v_mul_f32_e32 v0, v2, v1
	v_and_b32_e32 v20, 0x7f800000, v0
	v_cmp_ne_u64_e32 vcc, s[62:63], v[20:21]
                                        ; implicit-def: $vgpr26
	s_and_saveexec_b64 s[28:29], vcc
	s_xor_b64 s[34:35], exec, s[28:29]
	s_cbranch_execz .LBB6_6896
; %bb.6879:                             ;   in Loop: Header=BB6_6130 Depth=3
	v_and_b32_e32 v20, 0x7fffffff, v0
	v_cmp_gt_u64_e32 vcc, s[78:79], v[20:21]
	v_and_b32_sdwa v17, v0, s80 dst_sel:DWORD dst_unused:UNUSED_PAD src0_sel:BYTE_3 src1_sel:DWORD
                                        ; implicit-def: $vgpr26
	s_and_saveexec_b64 s[28:29], vcc
	s_xor_b64 s[36:37], exec, s[28:29]
	s_cbranch_execz .LBB6_6893
; %bb.6880:                             ;   in Loop: Header=BB6_6130 Depth=3
	v_cmp_ne_u32_e32 vcc, 0, v0
	v_mov_b32_e32 v26, 0
	s_and_saveexec_b64 s[38:39], vcc
	s_cbranch_execz .LBB6_6892
; %bb.6881:                             ;   in Loop: Header=BB6_6130 Depth=3
	v_bfe_u32 v26, v0, 23, 8
	v_and_b32_e32 v1, 0x7fffff, v0
	v_cmp_gt_u32_e64 s[28:29], s47, v26
	v_sub_u32_e32 v0, 0x79, v26
	v_cmp_eq_u32_e32 vcc, 0, v26
	v_cndmask_b32_e64 v0, 0, v0, s[28:29]
	v_mov_b32_e32 v20, 0x78
	v_cndmask_b32_e32 v27, v0, v20, vcc
	v_or_b32_e32 v2, 0x800000, v1
	v_add_u32_e32 v0, 20, v27
	v_cndmask_b32_e32 v20, v2, v1, vcc
	v_lshlrev_b64 v[0:1], v0, -1
	v_add_u32_e32 v2, 19, v27
	v_lshlrev_b64 v[29:30], v2, 1
	v_bfi_b32 v1, v1, 0, 0
	v_bfi_b32 v0, v0, 0, v20
	v_cmp_eq_u64_e64 s[28:29], v[0:1], v[29:30]
	v_lshrrev_b64 v[0:1], v27, v[20:21]
	v_mov_b32_e32 v2, v1
	v_mov_b32_e32 v1, v0
	s_and_saveexec_b64 s[48:49], s[28:29]
; %bb.6882:                             ;   in Loop: Header=BB6_6130 Depth=3
	v_bfe_u32 v1, v0, 20, 1
	v_add_co_u32_e64 v1, s[28:29], v0, v1
	v_add_co_u32_e64 v1, s[28:29], -1, v1
; %bb.6883:                             ;   in Loop: Header=BB6_6130 Depth=3
	s_or_b64 exec, exec, s[48:49]
	v_add_u32_e32 v2, 0xffffff81, v26
	v_mov_b32_e32 v20, 0xffffff82
	v_cndmask_b32_e32 v2, v2, v20, vcc
	v_lshrrev_b32_e32 v20, 23, v0
	v_add3_u32 v27, v27, v2, v20
	v_add_u32_e32 v26, 6, v27
	v_and_b32_e32 v1, 0xfffff, v1
	v_add_u32_e32 v20, v1, v0
	v_cmp_ne_u32_e32 vcc, 0, v26
                                        ; implicit-def: $vgpr0_vgpr1
                                        ; implicit-def: $vgpr2
	s_and_saveexec_b64 s[28:29], vcc
	s_xor_b64 s[28:29], exec, s[28:29]
; %bb.6884:                             ;   in Loop: Header=BB6_6130 Depth=3
	v_cmp_lt_u64_e32 vcc, s[88:89], v[20:21]
	v_add_u32_e32 v0, 7, v27
	v_cndmask_b32_e32 v2, v26, v0, vcc
	v_cndmask_b32_e64 v0, 0, 1, vcc
	v_lshrrev_b64 v[0:1], v0, v[20:21]
; %bb.6885:                             ;   in Loop: Header=BB6_6130 Depth=3
	s_andn2_saveexec_b64 s[28:29], s[28:29]
; %bb.6886:                             ;   in Loop: Header=BB6_6130 Depth=3
	v_mov_b32_e32 v0, v20
	v_bfe_u32 v2, v20, 23, 1
	v_mov_b32_e32 v1, v21
; %bb.6887:                             ;   in Loop: Header=BB6_6130 Depth=3
	s_or_b64 exec, exec, s[28:29]
	v_lshrrev_b64 v[0:1], 20, v[0:1]
	v_cmp_gt_i32_e32 vcc, 16, v2
	v_cndmask_b32_e32 v1, 0, v1, vcc
	v_cndmask_b32_e32 v0, 7, v0, vcc
	v_cmp_ne_u64_e32 vcc, 0, v[0:1]
	v_cmp_ne_u32_e64 s[28:29], 0, v2
	s_or_b64 s[28:29], s[28:29], vcc
                                        ; implicit-def: $vgpr26
	s_and_saveexec_b64 vcc, s[28:29]
	s_xor_b64 s[28:29], exec, vcc
; %bb.6888:                             ;   in Loop: Header=BB6_6130 Depth=3
	v_min_i32_e32 v1, 15, v2
	v_lshl_or_b32 v1, v1, 3, v17
	v_and_or_b32 v26, v0, 7, v1
                                        ; implicit-def: $vgpr17
; %bb.6889:                             ;   in Loop: Header=BB6_6130 Depth=3
	s_andn2_saveexec_b64 s[28:29], s[28:29]
; %bb.6890:                             ;   in Loop: Header=BB6_6130 Depth=3
	v_mov_b32_e32 v26, v17
; %bb.6891:                             ;   in Loop: Header=BB6_6130 Depth=3
	s_or_b64 exec, exec, s[28:29]
.LBB6_6892:                             ;   in Loop: Header=BB6_6130 Depth=3
	s_or_b64 exec, exec, s[38:39]
                                        ; implicit-def: $vgpr17
.LBB6_6893:                             ;   in Loop: Header=BB6_6130 Depth=3
	s_andn2_saveexec_b64 s[28:29], s[36:37]
; %bb.6894:                             ;   in Loop: Header=BB6_6130 Depth=3
	v_or_b32_e32 v26, 0x7e, v17
; %bb.6895:                             ;   in Loop: Header=BB6_6130 Depth=3
	s_or_b64 exec, exec, s[28:29]
                                        ; implicit-def: $vgpr0
.LBB6_6896:                             ;   in Loop: Header=BB6_6130 Depth=3
	s_andn2_saveexec_b64 s[28:29], s[34:35]
; %bb.6897:                             ;   in Loop: Header=BB6_6130 Depth=3
	v_or_b32_sdwa v26, v0, s81 dst_sel:DWORD dst_unused:UNUSED_PAD src0_sel:BYTE_3 src1_sel:DWORD
; %bb.6898:                             ;   in Loop: Header=BB6_6130 Depth=3
	s_or_b64 exec, exec, s[28:29]
	buffer_load_dword v0, off, s[0:3], s33 offset:156 ; 4-byte Folded Reload
	v_mov_b32_e32 v1, 0
	v_mov_b32_e32 v2, 0
	s_waitcnt vmcnt(0)
	v_and_b32_e32 v0, 0xff, v0
	v_cmp_ne_u16_e32 vcc, 0, v0
	s_and_saveexec_b64 s[28:29], vcc
	s_cbranch_execz .LBB6_6904
; %bb.6899:                             ;   in Loop: Header=BB6_6130 Depth=3
	v_cmp_ne_u16_e32 vcc, s80, v0
	v_bfrev_b32_e32 v2, 1
	s_and_saveexec_b64 s[34:35], vcc
	s_cbranch_execz .LBB6_6903
; %bb.6900:                             ;   in Loop: Header=BB6_6130 Depth=3
	buffer_load_dword v31, off, s[0:3], s33 offset:156 ; 4-byte Folded Reload
	v_mov_b32_e32 v2, 0x7f800001
	s_waitcnt vmcnt(0)
	v_and_b32_e32 v17, 0x7f, v31
	v_cmp_ne_u32_e32 vcc, s81, v17
	s_and_saveexec_b64 s[36:37], vcc
	s_cbranch_execz .LBB6_6902
; %bb.6901:                             ;   in Loop: Header=BB6_6130 Depth=3
	v_and_b32_e32 v2, 7, v0
	v_lshrrev_b32_e32 v20, 3, v17
	v_cmp_gt_u32_e32 vcc, 8, v17
	v_ffbh_u32_e32 v17, v2
	v_min_u32_e32 v17, 32, v17
	v_subrev_u32_e32 v27, 28, v17
	v_lshlrev_b64 v[29:30], v27, v[0:1]
	v_sub_u32_e32 v0, 29, v17
	v_and_b32_e32 v17, 7, v29
	v_cndmask_b32_e32 v0, v20, v0, vcc
	v_cndmask_b32_e32 v2, v2, v17, vcc
	v_lshlrev_b32_e32 v17, 24, v31
	v_bfrev_b32_e32 v20, 60
	v_lshlrev_b32_e32 v2, 20, v2
	v_and_b32_e32 v17, 0x80000000, v17
	v_lshl_add_u32 v0, v0, 23, v20
	v_or3_b32 v2, v17, v0, v2
.LBB6_6902:                             ;   in Loop: Header=BB6_6130 Depth=3
	s_or_b64 exec, exec, s[36:37]
.LBB6_6903:                             ;   in Loop: Header=BB6_6130 Depth=3
	s_or_b64 exec, exec, s[34:35]
.LBB6_6904:                             ;   in Loop: Header=BB6_6130 Depth=3
	s_or_b64 exec, exec, s[28:29]
	buffer_load_dword v0, off, s[0:3], s33 offset:152 ; 4-byte Folded Reload
	s_waitcnt vmcnt(0)
	v_and_b32_e32 v0, 0xff, v0
	v_cmp_ne_u16_e32 vcc, 0, v0
	s_and_saveexec_b64 s[28:29], vcc
	s_cbranch_execz .LBB6_6910
; %bb.6905:                             ;   in Loop: Header=BB6_6130 Depth=3
	v_cmp_ne_u16_e32 vcc, s80, v0
	v_bfrev_b32_e32 v1, 1
	s_and_saveexec_b64 s[34:35], vcc
	s_cbranch_execz .LBB6_6909
; %bb.6906:                             ;   in Loop: Header=BB6_6130 Depth=3
	buffer_load_dword v29, off, s[0:3], s33 offset:152 ; 4-byte Folded Reload
	v_mov_b32_e32 v1, 0x7f800001
	s_waitcnt vmcnt(0)
	v_and_b32_e32 v17, 0x7f, v29
	v_cmp_ne_u32_e32 vcc, s81, v17
	s_and_saveexec_b64 s[36:37], vcc
	s_cbranch_execz .LBB6_6908
; %bb.6907:                             ;   in Loop: Header=BB6_6130 Depth=3
	v_and_b32_e32 v20, 7, v0
	v_ffbh_u32_e32 v1, v20
	v_lshrrev_b32_e32 v27, 3, v17
	v_cmp_gt_u32_e32 vcc, 8, v17
	v_min_u32_e32 v17, 32, v1
	v_subrev_u32_e32 v1, 28, v17
	v_lshlrev_b64 v[0:1], v1, v[0:1]
	v_sub_u32_e32 v1, 29, v17
	v_and_b32_e32 v0, 7, v0
	v_cndmask_b32_e32 v1, v27, v1, vcc
	v_cndmask_b32_e32 v0, v20, v0, vcc
	v_lshlrev_b32_e32 v17, 24, v29
	v_bfrev_b32_e32 v20, 60
	v_lshlrev_b32_e32 v0, 20, v0
	v_and_b32_e32 v17, 0x80000000, v17
	v_lshl_add_u32 v1, v1, 23, v20
	v_or3_b32 v1, v17, v1, v0
.LBB6_6908:                             ;   in Loop: Header=BB6_6130 Depth=3
	s_or_b64 exec, exec, s[36:37]
.LBB6_6909:                             ;   in Loop: Header=BB6_6130 Depth=3
	s_or_b64 exec, exec, s[34:35]
.LBB6_6910:                             ;   in Loop: Header=BB6_6130 Depth=3
	s_or_b64 exec, exec, s[28:29]
	v_mul_f32_e32 v0, v2, v1
	v_and_b32_e32 v20, 0x7f800000, v0
	v_cmp_ne_u64_e32 vcc, s[62:63], v[20:21]
                                        ; implicit-def: $vgpr27
	s_and_saveexec_b64 s[28:29], vcc
	s_xor_b64 s[34:35], exec, s[28:29]
	s_cbranch_execz .LBB6_6928
; %bb.6911:                             ;   in Loop: Header=BB6_6130 Depth=3
	v_and_b32_e32 v20, 0x7fffffff, v0
	v_cmp_gt_u64_e32 vcc, s[78:79], v[20:21]
	v_and_b32_sdwa v17, v0, s80 dst_sel:DWORD dst_unused:UNUSED_PAD src0_sel:BYTE_3 src1_sel:DWORD
                                        ; implicit-def: $vgpr27
	s_and_saveexec_b64 s[28:29], vcc
	s_xor_b64 s[36:37], exec, s[28:29]
	s_cbranch_execz .LBB6_6925
; %bb.6912:                             ;   in Loop: Header=BB6_6130 Depth=3
	v_cmp_ne_u32_e32 vcc, 0, v0
	v_mov_b32_e32 v27, 0
	s_and_saveexec_b64 s[38:39], vcc
	s_cbranch_execz .LBB6_6924
; %bb.6913:                             ;   in Loop: Header=BB6_6130 Depth=3
	v_bfe_u32 v27, v0, 23, 8
	v_and_b32_e32 v1, 0x7fffff, v0
	v_cmp_gt_u32_e64 s[28:29], s47, v27
	v_sub_u32_e32 v0, 0x79, v27
	v_cmp_eq_u32_e32 vcc, 0, v27
	v_cndmask_b32_e64 v0, 0, v0, s[28:29]
	v_mov_b32_e32 v20, 0x78
	v_cndmask_b32_e32 v29, v0, v20, vcc
	v_or_b32_e32 v2, 0x800000, v1
	v_add_u32_e32 v0, 20, v29
	v_cndmask_b32_e32 v20, v2, v1, vcc
	v_lshlrev_b64 v[0:1], v0, -1
	v_add_u32_e32 v2, 19, v29
	v_lshlrev_b64 v[30:31], v2, 1
	v_bfi_b32 v1, v1, 0, 0
	v_bfi_b32 v0, v0, 0, v20
	v_cmp_eq_u64_e64 s[28:29], v[0:1], v[30:31]
	v_lshrrev_b64 v[0:1], v29, v[20:21]
	v_mov_b32_e32 v2, v1
	v_mov_b32_e32 v1, v0
	s_and_saveexec_b64 s[48:49], s[28:29]
; %bb.6914:                             ;   in Loop: Header=BB6_6130 Depth=3
	v_bfe_u32 v1, v0, 20, 1
	v_add_co_u32_e64 v1, s[28:29], v0, v1
	v_add_co_u32_e64 v1, s[28:29], -1, v1
; %bb.6915:                             ;   in Loop: Header=BB6_6130 Depth=3
	s_or_b64 exec, exec, s[48:49]
	v_add_u32_e32 v2, 0xffffff81, v27
	v_mov_b32_e32 v20, 0xffffff82
	v_cndmask_b32_e32 v2, v2, v20, vcc
	v_lshrrev_b32_e32 v20, 23, v0
	v_add3_u32 v29, v29, v2, v20
	v_add_u32_e32 v27, 6, v29
	v_and_b32_e32 v1, 0xfffff, v1
	v_add_u32_e32 v20, v1, v0
	v_cmp_ne_u32_e32 vcc, 0, v27
                                        ; implicit-def: $vgpr0_vgpr1
                                        ; implicit-def: $vgpr2
	s_and_saveexec_b64 s[28:29], vcc
	s_xor_b64 s[28:29], exec, s[28:29]
; %bb.6916:                             ;   in Loop: Header=BB6_6130 Depth=3
	v_cmp_lt_u64_e32 vcc, s[88:89], v[20:21]
	v_add_u32_e32 v0, 7, v29
	v_cndmask_b32_e32 v2, v27, v0, vcc
	v_cndmask_b32_e64 v0, 0, 1, vcc
	v_lshrrev_b64 v[0:1], v0, v[20:21]
; %bb.6917:                             ;   in Loop: Header=BB6_6130 Depth=3
	s_andn2_saveexec_b64 s[28:29], s[28:29]
; %bb.6918:                             ;   in Loop: Header=BB6_6130 Depth=3
	v_mov_b32_e32 v0, v20
	v_bfe_u32 v2, v20, 23, 1
	v_mov_b32_e32 v1, v21
; %bb.6919:                             ;   in Loop: Header=BB6_6130 Depth=3
	s_or_b64 exec, exec, s[28:29]
	v_lshrrev_b64 v[0:1], 20, v[0:1]
	v_cmp_gt_i32_e32 vcc, 16, v2
	v_cndmask_b32_e32 v1, 0, v1, vcc
	v_cndmask_b32_e32 v0, 7, v0, vcc
	v_cmp_ne_u64_e32 vcc, 0, v[0:1]
	v_cmp_ne_u32_e64 s[28:29], 0, v2
	s_or_b64 s[28:29], s[28:29], vcc
                                        ; implicit-def: $vgpr27
	s_and_saveexec_b64 vcc, s[28:29]
	s_xor_b64 s[28:29], exec, vcc
; %bb.6920:                             ;   in Loop: Header=BB6_6130 Depth=3
	v_min_i32_e32 v1, 15, v2
	v_lshl_or_b32 v1, v1, 3, v17
	v_and_or_b32 v27, v0, 7, v1
                                        ; implicit-def: $vgpr17
; %bb.6921:                             ;   in Loop: Header=BB6_6130 Depth=3
	s_andn2_saveexec_b64 s[28:29], s[28:29]
; %bb.6922:                             ;   in Loop: Header=BB6_6130 Depth=3
	v_mov_b32_e32 v27, v17
; %bb.6923:                             ;   in Loop: Header=BB6_6130 Depth=3
	s_or_b64 exec, exec, s[28:29]
.LBB6_6924:                             ;   in Loop: Header=BB6_6130 Depth=3
	s_or_b64 exec, exec, s[38:39]
                                        ; implicit-def: $vgpr17
.LBB6_6925:                             ;   in Loop: Header=BB6_6130 Depth=3
	s_andn2_saveexec_b64 s[28:29], s[36:37]
; %bb.6926:                             ;   in Loop: Header=BB6_6130 Depth=3
	v_or_b32_e32 v27, 0x7e, v17
; %bb.6927:                             ;   in Loop: Header=BB6_6130 Depth=3
	s_or_b64 exec, exec, s[28:29]
                                        ; implicit-def: $vgpr0
.LBB6_6928:                             ;   in Loop: Header=BB6_6130 Depth=3
	s_andn2_saveexec_b64 s[28:29], s[34:35]
; %bb.6929:                             ;   in Loop: Header=BB6_6130 Depth=3
	v_or_b32_sdwa v27, v0, s81 dst_sel:DWORD dst_unused:UNUSED_PAD src0_sel:BYTE_3 src1_sel:DWORD
; %bb.6930:                             ;   in Loop: Header=BB6_6130 Depth=3
	s_or_b64 exec, exec, s[28:29]
	buffer_load_dword v0, off, s[0:3], s33 offset:148 ; 4-byte Folded Reload
	v_mov_b32_e32 v1, 0
	v_mov_b32_e32 v2, 0
	s_waitcnt vmcnt(0)
	v_and_b32_e32 v0, 0xff, v0
	v_cmp_ne_u16_e32 vcc, 0, v0
	s_and_saveexec_b64 s[28:29], vcc
	s_cbranch_execz .LBB6_6936
; %bb.6931:                             ;   in Loop: Header=BB6_6130 Depth=3
	v_cmp_ne_u16_e32 vcc, s80, v0
	v_bfrev_b32_e32 v2, 1
	s_and_saveexec_b64 s[34:35], vcc
	s_cbranch_execz .LBB6_6935
; %bb.6932:                             ;   in Loop: Header=BB6_6130 Depth=3
	buffer_load_dword v31, off, s[0:3], s33 offset:148 ; 4-byte Folded Reload
	v_mov_b32_e32 v2, 0x7f800001
	s_waitcnt vmcnt(0)
	v_and_b32_e32 v17, 0x7f, v31
	v_cmp_ne_u32_e32 vcc, s81, v17
	s_and_saveexec_b64 s[36:37], vcc
	s_cbranch_execz .LBB6_6934
; %bb.6933:                             ;   in Loop: Header=BB6_6130 Depth=3
	v_and_b32_e32 v2, 7, v0
	v_lshrrev_b32_e32 v20, 3, v17
	v_cmp_gt_u32_e32 vcc, 8, v17
	v_ffbh_u32_e32 v17, v2
	v_min_u32_e32 v17, 32, v17
	v_subrev_u32_e32 v29, 28, v17
	v_lshlrev_b64 v[29:30], v29, v[0:1]
	v_sub_u32_e32 v0, 29, v17
	v_and_b32_e32 v17, 7, v29
	v_cndmask_b32_e32 v0, v20, v0, vcc
	v_cndmask_b32_e32 v2, v2, v17, vcc
	v_lshlrev_b32_e32 v17, 24, v31
	v_bfrev_b32_e32 v20, 60
	v_lshlrev_b32_e32 v2, 20, v2
	v_and_b32_e32 v17, 0x80000000, v17
	v_lshl_add_u32 v0, v0, 23, v20
	v_or3_b32 v2, v17, v0, v2
.LBB6_6934:                             ;   in Loop: Header=BB6_6130 Depth=3
	s_or_b64 exec, exec, s[36:37]
.LBB6_6935:                             ;   in Loop: Header=BB6_6130 Depth=3
	s_or_b64 exec, exec, s[34:35]
.LBB6_6936:                             ;   in Loop: Header=BB6_6130 Depth=3
	s_or_b64 exec, exec, s[28:29]
	buffer_load_dword v0, off, s[0:3], s33 offset:144 ; 4-byte Folded Reload
	s_waitcnt vmcnt(0)
	v_and_b32_e32 v0, 0xff, v0
	v_cmp_ne_u16_e32 vcc, 0, v0
	s_and_saveexec_b64 s[28:29], vcc
	s_cbranch_execz .LBB6_6942
; %bb.6937:                             ;   in Loop: Header=BB6_6130 Depth=3
	v_cmp_ne_u16_e32 vcc, s80, v0
	v_bfrev_b32_e32 v1, 1
	s_and_saveexec_b64 s[34:35], vcc
	s_cbranch_execz .LBB6_6941
; %bb.6938:                             ;   in Loop: Header=BB6_6130 Depth=3
	buffer_load_dword v30, off, s[0:3], s33 offset:144 ; 4-byte Folded Reload
	v_mov_b32_e32 v1, 0x7f800001
	s_waitcnt vmcnt(0)
	v_and_b32_e32 v17, 0x7f, v30
	v_cmp_ne_u32_e32 vcc, s81, v17
	s_and_saveexec_b64 s[36:37], vcc
	s_cbranch_execz .LBB6_6940
; %bb.6939:                             ;   in Loop: Header=BB6_6130 Depth=3
	v_and_b32_e32 v20, 7, v0
	v_ffbh_u32_e32 v1, v20
	v_lshrrev_b32_e32 v29, 3, v17
	v_cmp_gt_u32_e32 vcc, 8, v17
	v_min_u32_e32 v17, 32, v1
	v_subrev_u32_e32 v1, 28, v17
	v_lshlrev_b64 v[0:1], v1, v[0:1]
	v_sub_u32_e32 v1, 29, v17
	v_and_b32_e32 v0, 7, v0
	v_cndmask_b32_e32 v1, v29, v1, vcc
	v_cndmask_b32_e32 v0, v20, v0, vcc
	v_lshlrev_b32_e32 v17, 24, v30
	v_bfrev_b32_e32 v20, 60
	v_lshlrev_b32_e32 v0, 20, v0
	v_and_b32_e32 v17, 0x80000000, v17
	v_lshl_add_u32 v1, v1, 23, v20
	v_or3_b32 v1, v17, v1, v0
.LBB6_6940:                             ;   in Loop: Header=BB6_6130 Depth=3
	s_or_b64 exec, exec, s[36:37]
.LBB6_6941:                             ;   in Loop: Header=BB6_6130 Depth=3
	s_or_b64 exec, exec, s[34:35]
.LBB6_6942:                             ;   in Loop: Header=BB6_6130 Depth=3
	s_or_b64 exec, exec, s[28:29]
	v_mul_f32_e32 v0, v2, v1
	v_and_b32_e32 v20, 0x7f800000, v0
	v_cmp_ne_u64_e32 vcc, s[62:63], v[20:21]
                                        ; implicit-def: $vgpr29
	s_and_saveexec_b64 s[28:29], vcc
	s_xor_b64 s[34:35], exec, s[28:29]
	s_cbranch_execz .LBB6_6960
; %bb.6943:                             ;   in Loop: Header=BB6_6130 Depth=3
	v_and_b32_e32 v20, 0x7fffffff, v0
	v_cmp_gt_u64_e32 vcc, s[78:79], v[20:21]
	v_and_b32_sdwa v17, v0, s80 dst_sel:DWORD dst_unused:UNUSED_PAD src0_sel:BYTE_3 src1_sel:DWORD
                                        ; implicit-def: $vgpr29
	s_and_saveexec_b64 s[28:29], vcc
	s_xor_b64 s[36:37], exec, s[28:29]
	s_cbranch_execz .LBB6_6957
; %bb.6944:                             ;   in Loop: Header=BB6_6130 Depth=3
	v_cmp_ne_u32_e32 vcc, 0, v0
	v_mov_b32_e32 v29, 0
	s_and_saveexec_b64 s[38:39], vcc
	s_cbranch_execz .LBB6_6956
; %bb.6945:                             ;   in Loop: Header=BB6_6130 Depth=3
	v_bfe_u32 v29, v0, 23, 8
	v_and_b32_e32 v1, 0x7fffff, v0
	v_cmp_gt_u32_e64 s[28:29], s47, v29
	v_sub_u32_e32 v0, 0x79, v29
	v_cmp_eq_u32_e32 vcc, 0, v29
	v_cndmask_b32_e64 v0, 0, v0, s[28:29]
	v_mov_b32_e32 v20, 0x78
	v_cndmask_b32_e32 v30, v0, v20, vcc
	v_or_b32_e32 v2, 0x800000, v1
	v_add_u32_e32 v0, 20, v30
	v_cndmask_b32_e32 v20, v2, v1, vcc
	v_lshlrev_b64 v[0:1], v0, -1
	v_add_u32_e32 v2, 19, v30
	v_lshlrev_b64 v[33:34], v2, 1
	v_bfi_b32 v1, v1, 0, 0
	v_bfi_b32 v0, v0, 0, v20
	v_cmp_eq_u64_e64 s[28:29], v[0:1], v[33:34]
	v_lshrrev_b64 v[0:1], v30, v[20:21]
	v_mov_b32_e32 v2, v1
	v_mov_b32_e32 v1, v0
	s_and_saveexec_b64 s[48:49], s[28:29]
; %bb.6946:                             ;   in Loop: Header=BB6_6130 Depth=3
	v_bfe_u32 v1, v0, 20, 1
	v_add_co_u32_e64 v1, s[28:29], v0, v1
	v_add_co_u32_e64 v1, s[28:29], -1, v1
; %bb.6947:                             ;   in Loop: Header=BB6_6130 Depth=3
	s_or_b64 exec, exec, s[48:49]
	v_add_u32_e32 v2, 0xffffff81, v29
	v_mov_b32_e32 v20, 0xffffff82
	v_cndmask_b32_e32 v2, v2, v20, vcc
	v_lshrrev_b32_e32 v20, 23, v0
	v_add3_u32 v30, v30, v2, v20
	v_add_u32_e32 v29, 6, v30
	v_and_b32_e32 v1, 0xfffff, v1
	v_add_u32_e32 v20, v1, v0
	v_cmp_ne_u32_e32 vcc, 0, v29
                                        ; implicit-def: $vgpr0_vgpr1
                                        ; implicit-def: $vgpr2
	s_and_saveexec_b64 s[28:29], vcc
	s_xor_b64 s[28:29], exec, s[28:29]
; %bb.6948:                             ;   in Loop: Header=BB6_6130 Depth=3
	v_cmp_lt_u64_e32 vcc, s[88:89], v[20:21]
	v_add_u32_e32 v0, 7, v30
	v_cndmask_b32_e32 v2, v29, v0, vcc
	v_cndmask_b32_e64 v0, 0, 1, vcc
	v_lshrrev_b64 v[0:1], v0, v[20:21]
; %bb.6949:                             ;   in Loop: Header=BB6_6130 Depth=3
	s_andn2_saveexec_b64 s[28:29], s[28:29]
; %bb.6950:                             ;   in Loop: Header=BB6_6130 Depth=3
	v_mov_b32_e32 v0, v20
	v_bfe_u32 v2, v20, 23, 1
	v_mov_b32_e32 v1, v21
; %bb.6951:                             ;   in Loop: Header=BB6_6130 Depth=3
	s_or_b64 exec, exec, s[28:29]
	v_lshrrev_b64 v[0:1], 20, v[0:1]
	v_cmp_gt_i32_e32 vcc, 16, v2
	v_cndmask_b32_e32 v1, 0, v1, vcc
	v_cndmask_b32_e32 v0, 7, v0, vcc
	v_cmp_ne_u64_e32 vcc, 0, v[0:1]
	v_cmp_ne_u32_e64 s[28:29], 0, v2
	s_or_b64 s[28:29], s[28:29], vcc
                                        ; implicit-def: $vgpr29
	s_and_saveexec_b64 vcc, s[28:29]
	s_xor_b64 s[28:29], exec, vcc
; %bb.6952:                             ;   in Loop: Header=BB6_6130 Depth=3
	v_min_i32_e32 v1, 15, v2
	v_lshl_or_b32 v1, v1, 3, v17
	v_and_or_b32 v29, v0, 7, v1
                                        ; implicit-def: $vgpr17
; %bb.6953:                             ;   in Loop: Header=BB6_6130 Depth=3
	s_andn2_saveexec_b64 s[28:29], s[28:29]
; %bb.6954:                             ;   in Loop: Header=BB6_6130 Depth=3
	v_mov_b32_e32 v29, v17
; %bb.6955:                             ;   in Loop: Header=BB6_6130 Depth=3
	s_or_b64 exec, exec, s[28:29]
.LBB6_6956:                             ;   in Loop: Header=BB6_6130 Depth=3
	s_or_b64 exec, exec, s[38:39]
                                        ; implicit-def: $vgpr17
.LBB6_6957:                             ;   in Loop: Header=BB6_6130 Depth=3
	s_andn2_saveexec_b64 s[28:29], s[36:37]
; %bb.6958:                             ;   in Loop: Header=BB6_6130 Depth=3
	v_or_b32_e32 v29, 0x7e, v17
; %bb.6959:                             ;   in Loop: Header=BB6_6130 Depth=3
	s_or_b64 exec, exec, s[28:29]
                                        ; implicit-def: $vgpr0
.LBB6_6960:                             ;   in Loop: Header=BB6_6130 Depth=3
	s_andn2_saveexec_b64 s[28:29], s[34:35]
; %bb.6961:                             ;   in Loop: Header=BB6_6130 Depth=3
	v_or_b32_sdwa v29, v0, s81 dst_sel:DWORD dst_unused:UNUSED_PAD src0_sel:BYTE_3 src1_sel:DWORD
; %bb.6962:                             ;   in Loop: Header=BB6_6130 Depth=3
	s_or_b64 exec, exec, s[28:29]
	buffer_load_dword v0, off, s[0:3], s33 offset:140 ; 4-byte Folded Reload
	v_mov_b32_e32 v1, 0
	v_mov_b32_e32 v2, 0
	s_waitcnt vmcnt(0)
	v_and_b32_e32 v0, 0xff, v0
	v_cmp_ne_u16_e32 vcc, 0, v0
	s_and_saveexec_b64 s[28:29], vcc
	s_cbranch_execz .LBB6_6968
; %bb.6963:                             ;   in Loop: Header=BB6_6130 Depth=3
	v_cmp_ne_u16_e32 vcc, s80, v0
	v_bfrev_b32_e32 v2, 1
	s_and_saveexec_b64 s[34:35], vcc
	s_cbranch_execz .LBB6_6967
; %bb.6964:                             ;   in Loop: Header=BB6_6130 Depth=3
	buffer_load_dword v33, off, s[0:3], s33 offset:140 ; 4-byte Folded Reload
	v_mov_b32_e32 v2, 0x7f800001
	s_waitcnt vmcnt(0)
	v_and_b32_e32 v17, 0x7f, v33
	v_cmp_ne_u32_e32 vcc, s81, v17
	s_and_saveexec_b64 s[36:37], vcc
	s_cbranch_execz .LBB6_6966
; %bb.6965:                             ;   in Loop: Header=BB6_6130 Depth=3
	v_and_b32_e32 v2, 7, v0
	v_lshrrev_b32_e32 v20, 3, v17
	v_cmp_gt_u32_e32 vcc, 8, v17
	v_ffbh_u32_e32 v17, v2
	v_min_u32_e32 v17, 32, v17
	v_subrev_u32_e32 v30, 28, v17
	v_lshlrev_b64 v[30:31], v30, v[0:1]
	v_sub_u32_e32 v0, 29, v17
	v_and_b32_e32 v17, 7, v30
	v_cndmask_b32_e32 v0, v20, v0, vcc
	v_cndmask_b32_e32 v2, v2, v17, vcc
	v_lshlrev_b32_e32 v17, 24, v33
	v_bfrev_b32_e32 v20, 60
	v_lshlrev_b32_e32 v2, 20, v2
	v_and_b32_e32 v17, 0x80000000, v17
	v_lshl_add_u32 v0, v0, 23, v20
	v_or3_b32 v2, v17, v0, v2
.LBB6_6966:                             ;   in Loop: Header=BB6_6130 Depth=3
	s_or_b64 exec, exec, s[36:37]
.LBB6_6967:                             ;   in Loop: Header=BB6_6130 Depth=3
	s_or_b64 exec, exec, s[34:35]
.LBB6_6968:                             ;   in Loop: Header=BB6_6130 Depth=3
	s_or_b64 exec, exec, s[28:29]
	buffer_load_dword v0, off, s[0:3], s33 offset:136 ; 4-byte Folded Reload
	s_waitcnt vmcnt(0)
	v_and_b32_e32 v0, 0xff, v0
	v_cmp_ne_u16_e32 vcc, 0, v0
	s_and_saveexec_b64 s[28:29], vcc
	s_cbranch_execz .LBB6_6974
; %bb.6969:                             ;   in Loop: Header=BB6_6130 Depth=3
	v_cmp_ne_u16_e32 vcc, s80, v0
	v_bfrev_b32_e32 v1, 1
	s_and_saveexec_b64 s[34:35], vcc
	s_cbranch_execz .LBB6_6973
; %bb.6970:                             ;   in Loop: Header=BB6_6130 Depth=3
	buffer_load_dword v31, off, s[0:3], s33 offset:136 ; 4-byte Folded Reload
	v_mov_b32_e32 v1, 0x7f800001
	s_waitcnt vmcnt(0)
	v_and_b32_e32 v17, 0x7f, v31
	v_cmp_ne_u32_e32 vcc, s81, v17
	s_and_saveexec_b64 s[36:37], vcc
	s_cbranch_execz .LBB6_6972
; %bb.6971:                             ;   in Loop: Header=BB6_6130 Depth=3
	v_and_b32_e32 v20, 7, v0
	v_ffbh_u32_e32 v1, v20
	v_lshrrev_b32_e32 v30, 3, v17
	v_cmp_gt_u32_e32 vcc, 8, v17
	v_min_u32_e32 v17, 32, v1
	v_subrev_u32_e32 v1, 28, v17
	v_lshlrev_b64 v[0:1], v1, v[0:1]
	v_sub_u32_e32 v1, 29, v17
	v_and_b32_e32 v0, 7, v0
	v_cndmask_b32_e32 v1, v30, v1, vcc
	v_cndmask_b32_e32 v0, v20, v0, vcc
	v_lshlrev_b32_e32 v17, 24, v31
	v_bfrev_b32_e32 v20, 60
	v_lshlrev_b32_e32 v0, 20, v0
	v_and_b32_e32 v17, 0x80000000, v17
	v_lshl_add_u32 v1, v1, 23, v20
	v_or3_b32 v1, v17, v1, v0
.LBB6_6972:                             ;   in Loop: Header=BB6_6130 Depth=3
	s_or_b64 exec, exec, s[36:37]
.LBB6_6973:                             ;   in Loop: Header=BB6_6130 Depth=3
	s_or_b64 exec, exec, s[34:35]
.LBB6_6974:                             ;   in Loop: Header=BB6_6130 Depth=3
	s_or_b64 exec, exec, s[28:29]
	v_mul_f32_e32 v0, v2, v1
	v_and_b32_e32 v20, 0x7f800000, v0
	v_cmp_ne_u64_e32 vcc, s[62:63], v[20:21]
                                        ; implicit-def: $vgpr30
	s_and_saveexec_b64 s[28:29], vcc
	s_xor_b64 s[34:35], exec, s[28:29]
	s_cbranch_execz .LBB6_6992
; %bb.6975:                             ;   in Loop: Header=BB6_6130 Depth=3
	v_and_b32_e32 v20, 0x7fffffff, v0
	v_cmp_gt_u64_e32 vcc, s[78:79], v[20:21]
	v_and_b32_sdwa v17, v0, s80 dst_sel:DWORD dst_unused:UNUSED_PAD src0_sel:BYTE_3 src1_sel:DWORD
                                        ; implicit-def: $vgpr30
	s_and_saveexec_b64 s[28:29], vcc
	s_xor_b64 s[36:37], exec, s[28:29]
	s_cbranch_execz .LBB6_6989
; %bb.6976:                             ;   in Loop: Header=BB6_6130 Depth=3
	v_cmp_ne_u32_e32 vcc, 0, v0
	v_mov_b32_e32 v30, 0
	s_and_saveexec_b64 s[38:39], vcc
	s_cbranch_execz .LBB6_6988
; %bb.6977:                             ;   in Loop: Header=BB6_6130 Depth=3
	v_bfe_u32 v30, v0, 23, 8
	v_and_b32_e32 v1, 0x7fffff, v0
	v_cmp_gt_u32_e64 s[28:29], s47, v30
	v_sub_u32_e32 v0, 0x79, v30
	v_cmp_eq_u32_e32 vcc, 0, v30
	v_cndmask_b32_e64 v0, 0, v0, s[28:29]
	v_mov_b32_e32 v20, 0x78
	v_cndmask_b32_e32 v31, v0, v20, vcc
	v_or_b32_e32 v2, 0x800000, v1
	v_add_u32_e32 v0, 20, v31
	v_cndmask_b32_e32 v20, v2, v1, vcc
	v_lshlrev_b64 v[0:1], v0, -1
	v_add_u32_e32 v2, 19, v31
	v_lshlrev_b64 v[33:34], v2, 1
	v_bfi_b32 v1, v1, 0, 0
	v_bfi_b32 v0, v0, 0, v20
	v_cmp_eq_u64_e64 s[28:29], v[0:1], v[33:34]
	v_lshrrev_b64 v[0:1], v31, v[20:21]
	v_mov_b32_e32 v2, v1
	v_mov_b32_e32 v1, v0
	s_and_saveexec_b64 s[48:49], s[28:29]
; %bb.6978:                             ;   in Loop: Header=BB6_6130 Depth=3
	v_bfe_u32 v1, v0, 20, 1
	v_add_co_u32_e64 v1, s[28:29], v0, v1
	v_add_co_u32_e64 v1, s[28:29], -1, v1
; %bb.6979:                             ;   in Loop: Header=BB6_6130 Depth=3
	s_or_b64 exec, exec, s[48:49]
	v_add_u32_e32 v2, 0xffffff81, v30
	v_mov_b32_e32 v20, 0xffffff82
	v_cndmask_b32_e32 v2, v2, v20, vcc
	v_lshrrev_b32_e32 v20, 23, v0
	v_add3_u32 v31, v31, v2, v20
	v_add_u32_e32 v30, 6, v31
	v_and_b32_e32 v1, 0xfffff, v1
	v_add_u32_e32 v20, v1, v0
	v_cmp_ne_u32_e32 vcc, 0, v30
                                        ; implicit-def: $vgpr0_vgpr1
                                        ; implicit-def: $vgpr2
	s_and_saveexec_b64 s[28:29], vcc
	s_xor_b64 s[28:29], exec, s[28:29]
; %bb.6980:                             ;   in Loop: Header=BB6_6130 Depth=3
	v_cmp_lt_u64_e32 vcc, s[88:89], v[20:21]
	v_add_u32_e32 v0, 7, v31
	v_cndmask_b32_e32 v2, v30, v0, vcc
	v_cndmask_b32_e64 v0, 0, 1, vcc
	v_lshrrev_b64 v[0:1], v0, v[20:21]
; %bb.6981:                             ;   in Loop: Header=BB6_6130 Depth=3
	s_andn2_saveexec_b64 s[28:29], s[28:29]
; %bb.6982:                             ;   in Loop: Header=BB6_6130 Depth=3
	v_mov_b32_e32 v0, v20
	v_bfe_u32 v2, v20, 23, 1
	v_mov_b32_e32 v1, v21
; %bb.6983:                             ;   in Loop: Header=BB6_6130 Depth=3
	s_or_b64 exec, exec, s[28:29]
	v_lshrrev_b64 v[0:1], 20, v[0:1]
	v_cmp_gt_i32_e32 vcc, 16, v2
	v_cndmask_b32_e32 v1, 0, v1, vcc
	v_cndmask_b32_e32 v0, 7, v0, vcc
	v_cmp_ne_u64_e32 vcc, 0, v[0:1]
	v_cmp_ne_u32_e64 s[28:29], 0, v2
	s_or_b64 s[28:29], s[28:29], vcc
                                        ; implicit-def: $vgpr30
	s_and_saveexec_b64 vcc, s[28:29]
	s_xor_b64 s[28:29], exec, vcc
; %bb.6984:                             ;   in Loop: Header=BB6_6130 Depth=3
	v_min_i32_e32 v1, 15, v2
	v_lshl_or_b32 v1, v1, 3, v17
	v_and_or_b32 v30, v0, 7, v1
                                        ; implicit-def: $vgpr17
; %bb.6985:                             ;   in Loop: Header=BB6_6130 Depth=3
	s_andn2_saveexec_b64 s[28:29], s[28:29]
; %bb.6986:                             ;   in Loop: Header=BB6_6130 Depth=3
	v_mov_b32_e32 v30, v17
; %bb.6987:                             ;   in Loop: Header=BB6_6130 Depth=3
	s_or_b64 exec, exec, s[28:29]
.LBB6_6988:                             ;   in Loop: Header=BB6_6130 Depth=3
	s_or_b64 exec, exec, s[38:39]
                                        ; implicit-def: $vgpr17
.LBB6_6989:                             ;   in Loop: Header=BB6_6130 Depth=3
	s_andn2_saveexec_b64 s[28:29], s[36:37]
; %bb.6990:                             ;   in Loop: Header=BB6_6130 Depth=3
	v_or_b32_e32 v30, 0x7e, v17
; %bb.6991:                             ;   in Loop: Header=BB6_6130 Depth=3
	s_or_b64 exec, exec, s[28:29]
                                        ; implicit-def: $vgpr0
.LBB6_6992:                             ;   in Loop: Header=BB6_6130 Depth=3
	s_andn2_saveexec_b64 s[28:29], s[34:35]
; %bb.6993:                             ;   in Loop: Header=BB6_6130 Depth=3
	v_or_b32_sdwa v30, v0, s81 dst_sel:DWORD dst_unused:UNUSED_PAD src0_sel:BYTE_3 src1_sel:DWORD
; %bb.6994:                             ;   in Loop: Header=BB6_6130 Depth=3
	s_or_b64 exec, exec, s[28:29]
	buffer_load_dword v0, off, s[0:3], s33 offset:132 ; 4-byte Folded Reload
	v_mov_b32_e32 v1, 0
	v_mov_b32_e32 v2, 0
	s_waitcnt vmcnt(0)
	v_and_b32_e32 v0, 0xff, v0
	v_cmp_ne_u16_e32 vcc, 0, v0
	s_and_saveexec_b64 s[28:29], vcc
	s_cbranch_execz .LBB6_7000
; %bb.6995:                             ;   in Loop: Header=BB6_6130 Depth=3
	v_cmp_ne_u16_e32 vcc, s80, v0
	v_bfrev_b32_e32 v2, 1
	s_and_saveexec_b64 s[34:35], vcc
	s_cbranch_execz .LBB6_6999
; %bb.6996:                             ;   in Loop: Header=BB6_6130 Depth=3
	buffer_load_dword v36, off, s[0:3], s33 offset:132 ; 4-byte Folded Reload
	v_mov_b32_e32 v2, 0x7f800001
	s_waitcnt vmcnt(0)
	v_and_b32_e32 v17, 0x7f, v36
	v_cmp_ne_u32_e32 vcc, s81, v17
	s_and_saveexec_b64 s[36:37], vcc
	s_cbranch_execz .LBB6_6998
; %bb.6997:                             ;   in Loop: Header=BB6_6130 Depth=3
	v_and_b32_e32 v2, 7, v0
	v_lshrrev_b32_e32 v20, 3, v17
	v_cmp_gt_u32_e32 vcc, 8, v17
	v_ffbh_u32_e32 v17, v2
	v_min_u32_e32 v17, 32, v17
	v_subrev_u32_e32 v31, 28, v17
	v_lshlrev_b64 v[33:34], v31, v[0:1]
	v_sub_u32_e32 v0, 29, v17
	v_and_b32_e32 v17, 7, v33
	v_cndmask_b32_e32 v0, v20, v0, vcc
	v_cndmask_b32_e32 v2, v2, v17, vcc
	v_lshlrev_b32_e32 v17, 24, v36
	v_bfrev_b32_e32 v20, 60
	v_lshlrev_b32_e32 v2, 20, v2
	v_and_b32_e32 v17, 0x80000000, v17
	v_lshl_add_u32 v0, v0, 23, v20
	v_or3_b32 v2, v17, v0, v2
.LBB6_6998:                             ;   in Loop: Header=BB6_6130 Depth=3
	s_or_b64 exec, exec, s[36:37]
.LBB6_6999:                             ;   in Loop: Header=BB6_6130 Depth=3
	s_or_b64 exec, exec, s[34:35]
.LBB6_7000:                             ;   in Loop: Header=BB6_6130 Depth=3
	s_or_b64 exec, exec, s[28:29]
	buffer_load_dword v0, off, s[0:3], s33 offset:128 ; 4-byte Folded Reload
	s_waitcnt vmcnt(0)
	v_and_b32_e32 v0, 0xff, v0
	v_cmp_ne_u16_e32 vcc, 0, v0
	s_and_saveexec_b64 s[28:29], vcc
	s_cbranch_execz .LBB6_7006
; %bb.7001:                             ;   in Loop: Header=BB6_6130 Depth=3
	v_cmp_ne_u16_e32 vcc, s80, v0
	v_bfrev_b32_e32 v1, 1
	s_and_saveexec_b64 s[34:35], vcc
	s_cbranch_execz .LBB6_7005
; %bb.7002:                             ;   in Loop: Header=BB6_6130 Depth=3
	buffer_load_dword v33, off, s[0:3], s33 offset:128 ; 4-byte Folded Reload
	v_mov_b32_e32 v1, 0x7f800001
	s_waitcnt vmcnt(0)
	v_and_b32_e32 v17, 0x7f, v33
	v_cmp_ne_u32_e32 vcc, s81, v17
	s_and_saveexec_b64 s[36:37], vcc
	s_cbranch_execz .LBB6_7004
; %bb.7003:                             ;   in Loop: Header=BB6_6130 Depth=3
	v_and_b32_e32 v20, 7, v0
	v_ffbh_u32_e32 v1, v20
	v_lshrrev_b32_e32 v31, 3, v17
	v_cmp_gt_u32_e32 vcc, 8, v17
	v_min_u32_e32 v17, 32, v1
	v_subrev_u32_e32 v1, 28, v17
	v_lshlrev_b64 v[0:1], v1, v[0:1]
	v_sub_u32_e32 v1, 29, v17
	v_and_b32_e32 v0, 7, v0
	v_cndmask_b32_e32 v1, v31, v1, vcc
	v_cndmask_b32_e32 v0, v20, v0, vcc
	v_lshlrev_b32_e32 v17, 24, v33
	v_bfrev_b32_e32 v20, 60
	v_lshlrev_b32_e32 v0, 20, v0
	v_and_b32_e32 v17, 0x80000000, v17
	v_lshl_add_u32 v1, v1, 23, v20
	v_or3_b32 v1, v17, v1, v0
.LBB6_7004:                             ;   in Loop: Header=BB6_6130 Depth=3
	s_or_b64 exec, exec, s[36:37]
.LBB6_7005:                             ;   in Loop: Header=BB6_6130 Depth=3
	s_or_b64 exec, exec, s[34:35]
.LBB6_7006:                             ;   in Loop: Header=BB6_6130 Depth=3
	s_or_b64 exec, exec, s[28:29]
	v_mul_f32_e32 v0, v2, v1
	v_and_b32_e32 v20, 0x7f800000, v0
	v_cmp_ne_u64_e32 vcc, s[62:63], v[20:21]
                                        ; implicit-def: $vgpr31
	s_and_saveexec_b64 s[28:29], vcc
	s_xor_b64 s[34:35], exec, s[28:29]
	s_cbranch_execz .LBB6_7024
; %bb.7007:                             ;   in Loop: Header=BB6_6130 Depth=3
	v_and_b32_e32 v20, 0x7fffffff, v0
	v_cmp_gt_u64_e32 vcc, s[78:79], v[20:21]
	v_and_b32_sdwa v17, v0, s80 dst_sel:DWORD dst_unused:UNUSED_PAD src0_sel:BYTE_3 src1_sel:DWORD
                                        ; implicit-def: $vgpr31
	s_and_saveexec_b64 s[28:29], vcc
	s_xor_b64 s[36:37], exec, s[28:29]
	s_cbranch_execz .LBB6_7021
; %bb.7008:                             ;   in Loop: Header=BB6_6130 Depth=3
	v_cmp_ne_u32_e32 vcc, 0, v0
	v_mov_b32_e32 v31, 0
	s_and_saveexec_b64 s[38:39], vcc
	s_cbranch_execz .LBB6_7020
; %bb.7009:                             ;   in Loop: Header=BB6_6130 Depth=3
	v_bfe_u32 v31, v0, 23, 8
	v_and_b32_e32 v1, 0x7fffff, v0
	v_cmp_gt_u32_e64 s[28:29], s47, v31
	v_sub_u32_e32 v0, 0x79, v31
	v_cmp_eq_u32_e32 vcc, 0, v31
	v_cndmask_b32_e64 v0, 0, v0, s[28:29]
	v_mov_b32_e32 v20, 0x78
	v_cndmask_b32_e32 v33, v0, v20, vcc
	v_or_b32_e32 v2, 0x800000, v1
	v_add_u32_e32 v0, 20, v33
	v_cndmask_b32_e32 v20, v2, v1, vcc
	v_lshlrev_b64 v[0:1], v0, -1
	v_add_u32_e32 v2, 19, v33
	v_lshlrev_b64 v[36:37], v2, 1
	v_bfi_b32 v1, v1, 0, 0
	v_bfi_b32 v0, v0, 0, v20
	v_cmp_eq_u64_e64 s[28:29], v[0:1], v[36:37]
	v_lshrrev_b64 v[0:1], v33, v[20:21]
	v_mov_b32_e32 v2, v1
	v_mov_b32_e32 v1, v0
	s_and_saveexec_b64 s[48:49], s[28:29]
; %bb.7010:                             ;   in Loop: Header=BB6_6130 Depth=3
	v_bfe_u32 v1, v0, 20, 1
	v_add_co_u32_e64 v1, s[28:29], v0, v1
	v_add_co_u32_e64 v1, s[28:29], -1, v1
; %bb.7011:                             ;   in Loop: Header=BB6_6130 Depth=3
	s_or_b64 exec, exec, s[48:49]
	v_add_u32_e32 v2, 0xffffff81, v31
	v_mov_b32_e32 v20, 0xffffff82
	v_cndmask_b32_e32 v2, v2, v20, vcc
	v_lshrrev_b32_e32 v20, 23, v0
	v_add3_u32 v33, v33, v2, v20
	v_add_u32_e32 v31, 6, v33
	v_and_b32_e32 v1, 0xfffff, v1
	v_add_u32_e32 v20, v1, v0
	v_cmp_ne_u32_e32 vcc, 0, v31
                                        ; implicit-def: $vgpr0_vgpr1
                                        ; implicit-def: $vgpr2
	s_and_saveexec_b64 s[28:29], vcc
	s_xor_b64 s[28:29], exec, s[28:29]
; %bb.7012:                             ;   in Loop: Header=BB6_6130 Depth=3
	v_cmp_lt_u64_e32 vcc, s[88:89], v[20:21]
	v_add_u32_e32 v0, 7, v33
	v_cndmask_b32_e32 v2, v31, v0, vcc
	v_cndmask_b32_e64 v0, 0, 1, vcc
	v_lshrrev_b64 v[0:1], v0, v[20:21]
; %bb.7013:                             ;   in Loop: Header=BB6_6130 Depth=3
	s_andn2_saveexec_b64 s[28:29], s[28:29]
; %bb.7014:                             ;   in Loop: Header=BB6_6130 Depth=3
	v_mov_b32_e32 v0, v20
	v_bfe_u32 v2, v20, 23, 1
	v_mov_b32_e32 v1, v21
; %bb.7015:                             ;   in Loop: Header=BB6_6130 Depth=3
	s_or_b64 exec, exec, s[28:29]
	v_lshrrev_b64 v[0:1], 20, v[0:1]
	v_cmp_gt_i32_e32 vcc, 16, v2
	v_cndmask_b32_e32 v1, 0, v1, vcc
	v_cndmask_b32_e32 v0, 7, v0, vcc
	v_cmp_ne_u64_e32 vcc, 0, v[0:1]
	v_cmp_ne_u32_e64 s[28:29], 0, v2
	s_or_b64 s[28:29], s[28:29], vcc
                                        ; implicit-def: $vgpr31
	s_and_saveexec_b64 vcc, s[28:29]
	s_xor_b64 s[28:29], exec, vcc
; %bb.7016:                             ;   in Loop: Header=BB6_6130 Depth=3
	v_min_i32_e32 v1, 15, v2
	v_lshl_or_b32 v1, v1, 3, v17
	v_and_or_b32 v31, v0, 7, v1
                                        ; implicit-def: $vgpr17
; %bb.7017:                             ;   in Loop: Header=BB6_6130 Depth=3
	s_andn2_saveexec_b64 s[28:29], s[28:29]
; %bb.7018:                             ;   in Loop: Header=BB6_6130 Depth=3
	v_mov_b32_e32 v31, v17
; %bb.7019:                             ;   in Loop: Header=BB6_6130 Depth=3
	s_or_b64 exec, exec, s[28:29]
.LBB6_7020:                             ;   in Loop: Header=BB6_6130 Depth=3
	s_or_b64 exec, exec, s[38:39]
                                        ; implicit-def: $vgpr17
.LBB6_7021:                             ;   in Loop: Header=BB6_6130 Depth=3
	s_andn2_saveexec_b64 s[28:29], s[36:37]
; %bb.7022:                             ;   in Loop: Header=BB6_6130 Depth=3
	v_or_b32_e32 v31, 0x7e, v17
; %bb.7023:                             ;   in Loop: Header=BB6_6130 Depth=3
	s_or_b64 exec, exec, s[28:29]
                                        ; implicit-def: $vgpr0
.LBB6_7024:                             ;   in Loop: Header=BB6_6130 Depth=3
	s_andn2_saveexec_b64 s[28:29], s[34:35]
; %bb.7025:                             ;   in Loop: Header=BB6_6130 Depth=3
	v_or_b32_sdwa v31, v0, s81 dst_sel:DWORD dst_unused:UNUSED_PAD src0_sel:BYTE_3 src1_sel:DWORD
; %bb.7026:                             ;   in Loop: Header=BB6_6130 Depth=3
	s_or_b64 exec, exec, s[28:29]
	buffer_load_dword v0, off, s[0:3], s33 offset:124 ; 4-byte Folded Reload
	v_mov_b32_e32 v1, 0
	v_mov_b32_e32 v2, 0
	s_waitcnt vmcnt(0)
	v_and_b32_e32 v0, 0xff, v0
	v_cmp_ne_u16_e32 vcc, 0, v0
	s_and_saveexec_b64 s[28:29], vcc
	s_cbranch_execz .LBB6_7032
; %bb.7027:                             ;   in Loop: Header=BB6_6130 Depth=3
	v_cmp_ne_u16_e32 vcc, s80, v0
	v_bfrev_b32_e32 v2, 1
	s_and_saveexec_b64 s[34:35], vcc
	s_cbranch_execz .LBB6_7031
; %bb.7028:                             ;   in Loop: Header=BB6_6130 Depth=3
	buffer_load_dword v36, off, s[0:3], s33 offset:124 ; 4-byte Folded Reload
	v_mov_b32_e32 v2, 0x7f800001
	s_waitcnt vmcnt(0)
	v_and_b32_e32 v17, 0x7f, v36
	v_cmp_ne_u32_e32 vcc, s81, v17
	s_and_saveexec_b64 s[36:37], vcc
	s_cbranch_execz .LBB6_7030
; %bb.7029:                             ;   in Loop: Header=BB6_6130 Depth=3
	v_and_b32_e32 v2, 7, v0
	v_lshrrev_b32_e32 v20, 3, v17
	v_cmp_gt_u32_e32 vcc, 8, v17
	v_ffbh_u32_e32 v17, v2
	v_min_u32_e32 v17, 32, v17
	v_subrev_u32_e32 v33, 28, v17
	v_lshlrev_b64 v[33:34], v33, v[0:1]
	v_sub_u32_e32 v0, 29, v17
	v_and_b32_e32 v17, 7, v33
	v_cndmask_b32_e32 v0, v20, v0, vcc
	v_cndmask_b32_e32 v2, v2, v17, vcc
	v_lshlrev_b32_e32 v17, 24, v36
	v_bfrev_b32_e32 v20, 60
	v_lshlrev_b32_e32 v2, 20, v2
	v_and_b32_e32 v17, 0x80000000, v17
	v_lshl_add_u32 v0, v0, 23, v20
	v_or3_b32 v2, v17, v0, v2
.LBB6_7030:                             ;   in Loop: Header=BB6_6130 Depth=3
	s_or_b64 exec, exec, s[36:37]
.LBB6_7031:                             ;   in Loop: Header=BB6_6130 Depth=3
	s_or_b64 exec, exec, s[34:35]
.LBB6_7032:                             ;   in Loop: Header=BB6_6130 Depth=3
	s_or_b64 exec, exec, s[28:29]
	buffer_load_dword v0, off, s[0:3], s33 offset:120 ; 4-byte Folded Reload
	s_waitcnt vmcnt(0)
	v_and_b32_e32 v0, 0xff, v0
	v_cmp_ne_u16_e32 vcc, 0, v0
	s_and_saveexec_b64 s[28:29], vcc
	s_cbranch_execz .LBB6_7038
; %bb.7033:                             ;   in Loop: Header=BB6_6130 Depth=3
	v_cmp_ne_u16_e32 vcc, s80, v0
	v_bfrev_b32_e32 v1, 1
	s_and_saveexec_b64 s[34:35], vcc
	s_cbranch_execz .LBB6_7037
; %bb.7034:                             ;   in Loop: Header=BB6_6130 Depth=3
	buffer_load_dword v34, off, s[0:3], s33 offset:120 ; 4-byte Folded Reload
	v_mov_b32_e32 v1, 0x7f800001
	s_waitcnt vmcnt(0)
	v_and_b32_e32 v17, 0x7f, v34
	v_cmp_ne_u32_e32 vcc, s81, v17
	s_and_saveexec_b64 s[36:37], vcc
	s_cbranch_execz .LBB6_7036
; %bb.7035:                             ;   in Loop: Header=BB6_6130 Depth=3
	v_and_b32_e32 v20, 7, v0
	v_ffbh_u32_e32 v1, v20
	v_lshrrev_b32_e32 v33, 3, v17
	v_cmp_gt_u32_e32 vcc, 8, v17
	v_min_u32_e32 v17, 32, v1
	v_subrev_u32_e32 v1, 28, v17
	v_lshlrev_b64 v[0:1], v1, v[0:1]
	v_sub_u32_e32 v1, 29, v17
	v_and_b32_e32 v0, 7, v0
	v_cndmask_b32_e32 v1, v33, v1, vcc
	v_cndmask_b32_e32 v0, v20, v0, vcc
	v_lshlrev_b32_e32 v17, 24, v34
	v_bfrev_b32_e32 v20, 60
	v_lshlrev_b32_e32 v0, 20, v0
	v_and_b32_e32 v17, 0x80000000, v17
	v_lshl_add_u32 v1, v1, 23, v20
	v_or3_b32 v1, v17, v1, v0
.LBB6_7036:                             ;   in Loop: Header=BB6_6130 Depth=3
	s_or_b64 exec, exec, s[36:37]
.LBB6_7037:                             ;   in Loop: Header=BB6_6130 Depth=3
	s_or_b64 exec, exec, s[34:35]
.LBB6_7038:                             ;   in Loop: Header=BB6_6130 Depth=3
	s_or_b64 exec, exec, s[28:29]
	v_mul_f32_e32 v0, v2, v1
	v_and_b32_e32 v20, 0x7f800000, v0
	v_cmp_ne_u64_e32 vcc, s[62:63], v[20:21]
                                        ; implicit-def: $vgpr33
	s_and_saveexec_b64 s[28:29], vcc
	s_xor_b64 s[34:35], exec, s[28:29]
	s_cbranch_execz .LBB6_7056
; %bb.7039:                             ;   in Loop: Header=BB6_6130 Depth=3
	v_and_b32_e32 v20, 0x7fffffff, v0
	v_cmp_gt_u64_e32 vcc, s[78:79], v[20:21]
	v_and_b32_sdwa v17, v0, s80 dst_sel:DWORD dst_unused:UNUSED_PAD src0_sel:BYTE_3 src1_sel:DWORD
                                        ; implicit-def: $vgpr33
	s_and_saveexec_b64 s[28:29], vcc
	s_xor_b64 s[36:37], exec, s[28:29]
	s_cbranch_execz .LBB6_7053
; %bb.7040:                             ;   in Loop: Header=BB6_6130 Depth=3
	v_cmp_ne_u32_e32 vcc, 0, v0
	v_mov_b32_e32 v33, 0
	s_and_saveexec_b64 s[38:39], vcc
	s_cbranch_execz .LBB6_7052
; %bb.7041:                             ;   in Loop: Header=BB6_6130 Depth=3
	v_bfe_u32 v33, v0, 23, 8
	v_and_b32_e32 v1, 0x7fffff, v0
	v_cmp_gt_u32_e64 s[28:29], s47, v33
	v_sub_u32_e32 v0, 0x79, v33
	v_cmp_eq_u32_e32 vcc, 0, v33
	v_cndmask_b32_e64 v0, 0, v0, s[28:29]
	v_mov_b32_e32 v20, 0x78
	v_cndmask_b32_e32 v34, v0, v20, vcc
	v_or_b32_e32 v2, 0x800000, v1
	v_add_u32_e32 v0, 20, v34
	v_cndmask_b32_e32 v20, v2, v1, vcc
	v_lshlrev_b64 v[0:1], v0, -1
	v_add_u32_e32 v2, 19, v34
	v_lshlrev_b64 v[36:37], v2, 1
	v_bfi_b32 v1, v1, 0, 0
	v_bfi_b32 v0, v0, 0, v20
	v_cmp_eq_u64_e64 s[28:29], v[0:1], v[36:37]
	v_lshrrev_b64 v[0:1], v34, v[20:21]
	v_mov_b32_e32 v2, v1
	v_mov_b32_e32 v1, v0
	s_and_saveexec_b64 s[48:49], s[28:29]
; %bb.7042:                             ;   in Loop: Header=BB6_6130 Depth=3
	v_bfe_u32 v1, v0, 20, 1
	v_add_co_u32_e64 v1, s[28:29], v0, v1
	v_add_co_u32_e64 v1, s[28:29], -1, v1
; %bb.7043:                             ;   in Loop: Header=BB6_6130 Depth=3
	s_or_b64 exec, exec, s[48:49]
	v_add_u32_e32 v2, 0xffffff81, v33
	v_mov_b32_e32 v20, 0xffffff82
	v_cndmask_b32_e32 v2, v2, v20, vcc
	v_lshrrev_b32_e32 v20, 23, v0
	v_add3_u32 v34, v34, v2, v20
	v_add_u32_e32 v33, 6, v34
	v_and_b32_e32 v1, 0xfffff, v1
	v_add_u32_e32 v20, v1, v0
	v_cmp_ne_u32_e32 vcc, 0, v33
                                        ; implicit-def: $vgpr0_vgpr1
                                        ; implicit-def: $vgpr2
	s_and_saveexec_b64 s[28:29], vcc
	s_xor_b64 s[28:29], exec, s[28:29]
; %bb.7044:                             ;   in Loop: Header=BB6_6130 Depth=3
	v_cmp_lt_u64_e32 vcc, s[88:89], v[20:21]
	v_add_u32_e32 v0, 7, v34
	v_cndmask_b32_e32 v2, v33, v0, vcc
	v_cndmask_b32_e64 v0, 0, 1, vcc
	v_lshrrev_b64 v[0:1], v0, v[20:21]
; %bb.7045:                             ;   in Loop: Header=BB6_6130 Depth=3
	s_andn2_saveexec_b64 s[28:29], s[28:29]
; %bb.7046:                             ;   in Loop: Header=BB6_6130 Depth=3
	v_mov_b32_e32 v0, v20
	v_bfe_u32 v2, v20, 23, 1
	v_mov_b32_e32 v1, v21
; %bb.7047:                             ;   in Loop: Header=BB6_6130 Depth=3
	s_or_b64 exec, exec, s[28:29]
	v_lshrrev_b64 v[0:1], 20, v[0:1]
	v_cmp_gt_i32_e32 vcc, 16, v2
	v_cndmask_b32_e32 v1, 0, v1, vcc
	v_cndmask_b32_e32 v0, 7, v0, vcc
	v_cmp_ne_u64_e32 vcc, 0, v[0:1]
	v_cmp_ne_u32_e64 s[28:29], 0, v2
	s_or_b64 s[28:29], s[28:29], vcc
                                        ; implicit-def: $vgpr33
	s_and_saveexec_b64 vcc, s[28:29]
	s_xor_b64 s[28:29], exec, vcc
; %bb.7048:                             ;   in Loop: Header=BB6_6130 Depth=3
	v_min_i32_e32 v1, 15, v2
	v_lshl_or_b32 v1, v1, 3, v17
	v_and_or_b32 v33, v0, 7, v1
                                        ; implicit-def: $vgpr17
; %bb.7049:                             ;   in Loop: Header=BB6_6130 Depth=3
	s_andn2_saveexec_b64 s[28:29], s[28:29]
; %bb.7050:                             ;   in Loop: Header=BB6_6130 Depth=3
	v_mov_b32_e32 v33, v17
; %bb.7051:                             ;   in Loop: Header=BB6_6130 Depth=3
	s_or_b64 exec, exec, s[28:29]
.LBB6_7052:                             ;   in Loop: Header=BB6_6130 Depth=3
	s_or_b64 exec, exec, s[38:39]
                                        ; implicit-def: $vgpr17
.LBB6_7053:                             ;   in Loop: Header=BB6_6130 Depth=3
	s_andn2_saveexec_b64 s[28:29], s[36:37]
; %bb.7054:                             ;   in Loop: Header=BB6_6130 Depth=3
	v_or_b32_e32 v33, 0x7e, v17
; %bb.7055:                             ;   in Loop: Header=BB6_6130 Depth=3
	s_or_b64 exec, exec, s[28:29]
                                        ; implicit-def: $vgpr0
.LBB6_7056:                             ;   in Loop: Header=BB6_6130 Depth=3
	s_andn2_saveexec_b64 s[28:29], s[34:35]
; %bb.7057:                             ;   in Loop: Header=BB6_6130 Depth=3
	v_or_b32_sdwa v33, v0, s81 dst_sel:DWORD dst_unused:UNUSED_PAD src0_sel:BYTE_3 src1_sel:DWORD
; %bb.7058:                             ;   in Loop: Header=BB6_6130 Depth=3
	s_or_b64 exec, exec, s[28:29]
	buffer_load_dword v0, off, s[0:3], s33 offset:116 ; 4-byte Folded Reload
	v_mov_b32_e32 v1, 0
	v_mov_b32_e32 v2, 0
	s_waitcnt vmcnt(0)
	v_and_b32_e32 v0, 0xff, v0
	v_cmp_ne_u16_e32 vcc, 0, v0
	s_and_saveexec_b64 s[28:29], vcc
	s_cbranch_execz .LBB6_7064
; %bb.7059:                             ;   in Loop: Header=BB6_6130 Depth=3
	v_cmp_ne_u16_e32 vcc, s80, v0
	v_bfrev_b32_e32 v2, 1
	s_and_saveexec_b64 s[34:35], vcc
	s_cbranch_execz .LBB6_7063
; %bb.7060:                             ;   in Loop: Header=BB6_6130 Depth=3
	buffer_load_dword v39, off, s[0:3], s33 offset:116 ; 4-byte Folded Reload
	v_mov_b32_e32 v2, 0x7f800001
	s_waitcnt vmcnt(0)
	v_and_b32_e32 v17, 0x7f, v39
	v_cmp_ne_u32_e32 vcc, s81, v17
	s_and_saveexec_b64 s[36:37], vcc
	s_cbranch_execz .LBB6_7062
; %bb.7061:                             ;   in Loop: Header=BB6_6130 Depth=3
	v_and_b32_e32 v2, 7, v0
	v_lshrrev_b32_e32 v20, 3, v17
	v_cmp_gt_u32_e32 vcc, 8, v17
	v_ffbh_u32_e32 v17, v2
	v_min_u32_e32 v17, 32, v17
	v_subrev_u32_e32 v34, 28, v17
	v_lshlrev_b64 v[36:37], v34, v[0:1]
	v_sub_u32_e32 v0, 29, v17
	v_and_b32_e32 v17, 7, v36
	v_cndmask_b32_e32 v0, v20, v0, vcc
	v_cndmask_b32_e32 v2, v2, v17, vcc
	v_lshlrev_b32_e32 v17, 24, v39
	v_bfrev_b32_e32 v20, 60
	v_lshlrev_b32_e32 v2, 20, v2
	v_and_b32_e32 v17, 0x80000000, v17
	v_lshl_add_u32 v0, v0, 23, v20
	v_or3_b32 v2, v17, v0, v2
.LBB6_7062:                             ;   in Loop: Header=BB6_6130 Depth=3
	s_or_b64 exec, exec, s[36:37]
.LBB6_7063:                             ;   in Loop: Header=BB6_6130 Depth=3
	s_or_b64 exec, exec, s[34:35]
.LBB6_7064:                             ;   in Loop: Header=BB6_6130 Depth=3
	s_or_b64 exec, exec, s[28:29]
	buffer_load_dword v0, off, s[0:3], s33 offset:112 ; 4-byte Folded Reload
	s_waitcnt vmcnt(0)
	v_and_b32_e32 v0, 0xff, v0
	v_cmp_ne_u16_e32 vcc, 0, v0
	s_and_saveexec_b64 s[28:29], vcc
	s_cbranch_execz .LBB6_7070
; %bb.7065:                             ;   in Loop: Header=BB6_6130 Depth=3
	v_cmp_ne_u16_e32 vcc, s80, v0
	v_bfrev_b32_e32 v1, 1
	s_and_saveexec_b64 s[34:35], vcc
	s_cbranch_execz .LBB6_7069
; %bb.7066:                             ;   in Loop: Header=BB6_6130 Depth=3
	buffer_load_dword v36, off, s[0:3], s33 offset:112 ; 4-byte Folded Reload
	v_mov_b32_e32 v1, 0x7f800001
	s_waitcnt vmcnt(0)
	v_and_b32_e32 v17, 0x7f, v36
	v_cmp_ne_u32_e32 vcc, s81, v17
	s_and_saveexec_b64 s[36:37], vcc
	s_cbranch_execz .LBB6_7068
; %bb.7067:                             ;   in Loop: Header=BB6_6130 Depth=3
	v_and_b32_e32 v20, 7, v0
	v_ffbh_u32_e32 v1, v20
	v_lshrrev_b32_e32 v34, 3, v17
	v_cmp_gt_u32_e32 vcc, 8, v17
	v_min_u32_e32 v17, 32, v1
	v_subrev_u32_e32 v1, 28, v17
	v_lshlrev_b64 v[0:1], v1, v[0:1]
	v_sub_u32_e32 v1, 29, v17
	v_and_b32_e32 v0, 7, v0
	v_cndmask_b32_e32 v1, v34, v1, vcc
	v_cndmask_b32_e32 v0, v20, v0, vcc
	v_lshlrev_b32_e32 v17, 24, v36
	v_bfrev_b32_e32 v20, 60
	v_lshlrev_b32_e32 v0, 20, v0
	v_and_b32_e32 v17, 0x80000000, v17
	v_lshl_add_u32 v1, v1, 23, v20
	v_or3_b32 v1, v17, v1, v0
.LBB6_7068:                             ;   in Loop: Header=BB6_6130 Depth=3
	s_or_b64 exec, exec, s[36:37]
.LBB6_7069:                             ;   in Loop: Header=BB6_6130 Depth=3
	s_or_b64 exec, exec, s[34:35]
.LBB6_7070:                             ;   in Loop: Header=BB6_6130 Depth=3
	s_or_b64 exec, exec, s[28:29]
	v_mul_f32_e32 v0, v2, v1
	v_and_b32_e32 v20, 0x7f800000, v0
	v_cmp_ne_u64_e32 vcc, s[62:63], v[20:21]
                                        ; implicit-def: $vgpr34
	s_and_saveexec_b64 s[28:29], vcc
	s_xor_b64 s[34:35], exec, s[28:29]
	s_cbranch_execz .LBB6_7088
; %bb.7071:                             ;   in Loop: Header=BB6_6130 Depth=3
	v_and_b32_e32 v20, 0x7fffffff, v0
	v_cmp_gt_u64_e32 vcc, s[78:79], v[20:21]
	v_and_b32_sdwa v17, v0, s80 dst_sel:DWORD dst_unused:UNUSED_PAD src0_sel:BYTE_3 src1_sel:DWORD
                                        ; implicit-def: $vgpr34
	s_and_saveexec_b64 s[28:29], vcc
	s_xor_b64 s[36:37], exec, s[28:29]
	s_cbranch_execz .LBB6_7085
; %bb.7072:                             ;   in Loop: Header=BB6_6130 Depth=3
	v_cmp_ne_u32_e32 vcc, 0, v0
	v_mov_b32_e32 v34, 0
	s_and_saveexec_b64 s[38:39], vcc
	s_cbranch_execz .LBB6_7084
; %bb.7073:                             ;   in Loop: Header=BB6_6130 Depth=3
	v_bfe_u32 v34, v0, 23, 8
	v_and_b32_e32 v1, 0x7fffff, v0
	v_cmp_gt_u32_e64 s[28:29], s47, v34
	v_sub_u32_e32 v0, 0x79, v34
	v_cmp_eq_u32_e32 vcc, 0, v34
	v_cndmask_b32_e64 v0, 0, v0, s[28:29]
	v_mov_b32_e32 v20, 0x78
	v_cndmask_b32_e32 v36, v0, v20, vcc
	v_or_b32_e32 v2, 0x800000, v1
	v_add_u32_e32 v0, 20, v36
	v_cndmask_b32_e32 v20, v2, v1, vcc
	v_lshlrev_b64 v[0:1], v0, -1
	v_add_u32_e32 v2, 19, v36
	v_lshlrev_b64 v[54:55], v2, 1
	v_bfi_b32 v1, v1, 0, 0
	v_bfi_b32 v0, v0, 0, v20
	v_cmp_eq_u64_e64 s[28:29], v[0:1], v[54:55]
	v_lshrrev_b64 v[0:1], v36, v[20:21]
	v_mov_b32_e32 v2, v1
	v_mov_b32_e32 v1, v0
	s_and_saveexec_b64 s[48:49], s[28:29]
; %bb.7074:                             ;   in Loop: Header=BB6_6130 Depth=3
	v_bfe_u32 v1, v0, 20, 1
	v_add_co_u32_e64 v1, s[28:29], v0, v1
	v_add_co_u32_e64 v1, s[28:29], -1, v1
; %bb.7075:                             ;   in Loop: Header=BB6_6130 Depth=3
	s_or_b64 exec, exec, s[48:49]
	v_add_u32_e32 v2, 0xffffff81, v34
	v_mov_b32_e32 v20, 0xffffff82
	v_cndmask_b32_e32 v2, v2, v20, vcc
	v_lshrrev_b32_e32 v20, 23, v0
	v_add3_u32 v36, v36, v2, v20
	v_add_u32_e32 v34, 6, v36
	v_and_b32_e32 v1, 0xfffff, v1
	v_add_u32_e32 v20, v1, v0
	v_cmp_ne_u32_e32 vcc, 0, v34
                                        ; implicit-def: $vgpr0_vgpr1
                                        ; implicit-def: $vgpr2
	s_and_saveexec_b64 s[28:29], vcc
	s_xor_b64 s[28:29], exec, s[28:29]
; %bb.7076:                             ;   in Loop: Header=BB6_6130 Depth=3
	v_cmp_lt_u64_e32 vcc, s[88:89], v[20:21]
	v_add_u32_e32 v0, 7, v36
	v_cndmask_b32_e32 v2, v34, v0, vcc
	v_cndmask_b32_e64 v0, 0, 1, vcc
	v_lshrrev_b64 v[0:1], v0, v[20:21]
; %bb.7077:                             ;   in Loop: Header=BB6_6130 Depth=3
	s_or_saveexec_b64 s[28:29], s[28:29]
	buffer_load_dword v55, off, s[0:3], s33 offset:96 ; 4-byte Folded Reload
	buffer_load_dword v52, off, s[0:3], s33 offset:100 ; 4-byte Folded Reload
	buffer_load_dword v54, off, s[0:3], s33 offset:104 ; 4-byte Folded Reload
	s_xor_b64 exec, exec, s[28:29]
; %bb.7078:                             ;   in Loop: Header=BB6_6130 Depth=3
	v_mov_b32_e32 v0, v20
	v_bfe_u32 v2, v20, 23, 1
	v_mov_b32_e32 v1, v21
; %bb.7079:                             ;   in Loop: Header=BB6_6130 Depth=3
	s_or_b64 exec, exec, s[28:29]
	v_lshrrev_b64 v[0:1], 20, v[0:1]
	v_cmp_gt_i32_e32 vcc, 16, v2
	v_cndmask_b32_e32 v1, 0, v1, vcc
	v_cndmask_b32_e32 v0, 7, v0, vcc
	v_cmp_ne_u64_e32 vcc, 0, v[0:1]
	v_cmp_ne_u32_e64 s[28:29], 0, v2
	s_or_b64 s[28:29], s[28:29], vcc
                                        ; implicit-def: $vgpr34
	s_and_saveexec_b64 vcc, s[28:29]
	s_xor_b64 s[28:29], exec, vcc
; %bb.7080:                             ;   in Loop: Header=BB6_6130 Depth=3
	v_min_i32_e32 v1, 15, v2
	v_lshl_or_b32 v1, v1, 3, v17
	v_and_or_b32 v34, v0, 7, v1
                                        ; implicit-def: $vgpr17
; %bb.7081:                             ;   in Loop: Header=BB6_6130 Depth=3
	s_andn2_saveexec_b64 s[28:29], s[28:29]
; %bb.7082:                             ;   in Loop: Header=BB6_6130 Depth=3
	v_mov_b32_e32 v34, v17
; %bb.7083:                             ;   in Loop: Header=BB6_6130 Depth=3
	s_or_b64 exec, exec, s[28:29]
.LBB6_7084:                             ;   in Loop: Header=BB6_6130 Depth=3
	s_or_b64 exec, exec, s[38:39]
                                        ; implicit-def: $vgpr17
.LBB6_7085:                             ;   in Loop: Header=BB6_6130 Depth=3
	s_andn2_saveexec_b64 s[28:29], s[36:37]
; %bb.7086:                             ;   in Loop: Header=BB6_6130 Depth=3
	v_or_b32_e32 v34, 0x7e, v17
; %bb.7087:                             ;   in Loop: Header=BB6_6130 Depth=3
	s_or_b64 exec, exec, s[28:29]
                                        ; implicit-def: $vgpr0
.LBB6_7088:                             ;   in Loop: Header=BB6_6130 Depth=3
	s_andn2_saveexec_b64 s[28:29], s[34:35]
; %bb.7089:                             ;   in Loop: Header=BB6_6130 Depth=3
	v_or_b32_sdwa v34, v0, s81 dst_sel:DWORD dst_unused:UNUSED_PAD src0_sel:BYTE_3 src1_sel:DWORD
; %bb.7090:                             ;   in Loop: Header=BB6_6130 Depth=3
	s_or_b64 exec, exec, s[28:29]
	buffer_load_dword v0, off, s[0:3], s33 offset:108 ; 4-byte Folded Reload
	v_mov_b32_e32 v1, 0
	v_mov_b32_e32 v2, 0
	s_waitcnt vmcnt(0)
	v_and_b32_e32 v0, 0xff, v0
	v_cmp_ne_u16_e32 vcc, 0, v0
	s_and_saveexec_b64 s[28:29], vcc
	s_cbranch_execz .LBB6_7096
; %bb.7091:                             ;   in Loop: Header=BB6_6130 Depth=3
	v_cmp_ne_u16_e32 vcc, s80, v0
	v_bfrev_b32_e32 v2, 1
	s_and_saveexec_b64 s[34:35], vcc
	s_cbranch_execz .LBB6_7095
; %bb.7092:                             ;   in Loop: Header=BB6_6130 Depth=3
	buffer_load_dword v39, off, s[0:3], s33 offset:108 ; 4-byte Folded Reload
	v_mov_b32_e32 v2, 0x7f800001
	s_waitcnt vmcnt(0)
	v_and_b32_e32 v17, 0x7f, v39
	v_cmp_ne_u32_e32 vcc, s81, v17
	s_and_saveexec_b64 s[36:37], vcc
	s_cbranch_execz .LBB6_7094
; %bb.7093:                             ;   in Loop: Header=BB6_6130 Depth=3
	v_and_b32_e32 v2, 7, v0
	v_lshrrev_b32_e32 v20, 3, v17
	v_cmp_gt_u32_e32 vcc, 8, v17
	v_ffbh_u32_e32 v17, v2
	v_min_u32_e32 v17, 32, v17
	v_subrev_u32_e32 v36, 28, v17
	v_lshlrev_b64 v[36:37], v36, v[0:1]
	v_sub_u32_e32 v0, 29, v17
	v_and_b32_e32 v17, 7, v36
	v_cndmask_b32_e32 v0, v20, v0, vcc
	v_cndmask_b32_e32 v2, v2, v17, vcc
	v_lshlrev_b32_e32 v17, 24, v39
	v_bfrev_b32_e32 v20, 60
	v_lshlrev_b32_e32 v2, 20, v2
	v_and_b32_e32 v17, 0x80000000, v17
	v_lshl_add_u32 v0, v0, 23, v20
	v_or3_b32 v2, v17, v0, v2
.LBB6_7094:                             ;   in Loop: Header=BB6_6130 Depth=3
	s_or_b64 exec, exec, s[36:37]
.LBB6_7095:                             ;   in Loop: Header=BB6_6130 Depth=3
	s_or_b64 exec, exec, s[34:35]
.LBB6_7096:                             ;   in Loop: Header=BB6_6130 Depth=3
	s_or_b64 exec, exec, s[28:29]
	v_and_b32_e32 v0, 0xff, v54
	v_cmp_ne_u16_e32 vcc, 0, v0
	s_and_saveexec_b64 s[28:29], vcc
	s_cbranch_execz .LBB6_7102
; %bb.7097:                             ;   in Loop: Header=BB6_6130 Depth=3
	v_cmp_ne_u16_e32 vcc, s80, v0
	v_bfrev_b32_e32 v1, 1
	s_and_saveexec_b64 s[34:35], vcc
	s_cbranch_execz .LBB6_7101
; %bb.7098:                             ;   in Loop: Header=BB6_6130 Depth=3
	v_and_b32_e32 v17, 0x7f, v54
	v_cmp_ne_u32_e32 vcc, s81, v17
	v_mov_b32_e32 v1, 0x7f800001
	s_and_saveexec_b64 s[36:37], vcc
	s_cbranch_execz .LBB6_7100
; %bb.7099:                             ;   in Loop: Header=BB6_6130 Depth=3
	v_and_b32_e32 v20, 7, v0
	v_ffbh_u32_e32 v1, v20
	v_lshrrev_b32_e32 v36, 3, v17
	v_cmp_gt_u32_e32 vcc, 8, v17
	v_min_u32_e32 v17, 32, v1
	v_subrev_u32_e32 v1, 28, v17
	v_lshlrev_b64 v[0:1], v1, v[0:1]
	v_sub_u32_e32 v1, 29, v17
	v_and_b32_e32 v0, 7, v0
	v_cndmask_b32_e32 v1, v36, v1, vcc
	v_cndmask_b32_e32 v0, v20, v0, vcc
	v_lshlrev_b32_e32 v17, 24, v54
	v_bfrev_b32_e32 v20, 60
	v_lshlrev_b32_e32 v0, 20, v0
	v_and_b32_e32 v17, 0x80000000, v17
	v_lshl_add_u32 v1, v1, 23, v20
	v_or3_b32 v1, v17, v1, v0
.LBB6_7100:                             ;   in Loop: Header=BB6_6130 Depth=3
	s_or_b64 exec, exec, s[36:37]
.LBB6_7101:                             ;   in Loop: Header=BB6_6130 Depth=3
	s_or_b64 exec, exec, s[34:35]
.LBB6_7102:                             ;   in Loop: Header=BB6_6130 Depth=3
	s_or_b64 exec, exec, s[28:29]
	v_mul_f32_e32 v0, v2, v1
	v_and_b32_e32 v20, 0x7f800000, v0
	v_cmp_ne_u64_e32 vcc, s[62:63], v[20:21]
                                        ; implicit-def: $vgpr36
	s_and_saveexec_b64 s[28:29], vcc
	s_xor_b64 s[34:35], exec, s[28:29]
	s_cbranch_execz .LBB6_7120
; %bb.7103:                             ;   in Loop: Header=BB6_6130 Depth=3
	v_and_b32_e32 v20, 0x7fffffff, v0
	v_cmp_gt_u64_e32 vcc, s[78:79], v[20:21]
	v_and_b32_sdwa v17, v0, s80 dst_sel:DWORD dst_unused:UNUSED_PAD src0_sel:BYTE_3 src1_sel:DWORD
                                        ; implicit-def: $vgpr36
	s_and_saveexec_b64 s[28:29], vcc
	s_xor_b64 s[36:37], exec, s[28:29]
	s_cbranch_execz .LBB6_7117
; %bb.7104:                             ;   in Loop: Header=BB6_6130 Depth=3
	v_cmp_ne_u32_e32 vcc, 0, v0
	v_mov_b32_e32 v36, 0
	s_and_saveexec_b64 s[38:39], vcc
	s_cbranch_execz .LBB6_7116
; %bb.7105:                             ;   in Loop: Header=BB6_6130 Depth=3
	v_bfe_u32 v36, v0, 23, 8
	v_and_b32_e32 v1, 0x7fffff, v0
	v_cmp_gt_u32_e64 s[28:29], s47, v36
	v_sub_u32_e32 v0, 0x79, v36
	v_cmp_eq_u32_e32 vcc, 0, v36
	v_cndmask_b32_e64 v0, 0, v0, s[28:29]
	v_mov_b32_e32 v20, 0x78
	v_cndmask_b32_e32 v37, v0, v20, vcc
	v_or_b32_e32 v2, 0x800000, v1
	v_add_u32_e32 v0, 20, v37
	v_cndmask_b32_e32 v20, v2, v1, vcc
	v_lshlrev_b64 v[0:1], v0, -1
	v_add_u32_e32 v2, 19, v37
	v_lshlrev_b64 v[54:55], v2, 1
	v_bfi_b32 v1, v1, 0, 0
	v_bfi_b32 v0, v0, 0, v20
	v_cmp_eq_u64_e64 s[28:29], v[0:1], v[54:55]
	v_lshrrev_b64 v[0:1], v37, v[20:21]
	v_mov_b32_e32 v2, v1
	v_mov_b32_e32 v1, v0
	s_and_saveexec_b64 s[48:49], s[28:29]
; %bb.7106:                             ;   in Loop: Header=BB6_6130 Depth=3
	v_bfe_u32 v1, v0, 20, 1
	v_add_co_u32_e64 v1, s[28:29], v0, v1
	v_add_co_u32_e64 v1, s[28:29], -1, v1
; %bb.7107:                             ;   in Loop: Header=BB6_6130 Depth=3
	s_or_b64 exec, exec, s[48:49]
	v_add_u32_e32 v2, 0xffffff81, v36
	v_mov_b32_e32 v20, 0xffffff82
	v_cndmask_b32_e32 v2, v2, v20, vcc
	v_lshrrev_b32_e32 v20, 23, v0
	v_add3_u32 v37, v37, v2, v20
	v_add_u32_e32 v36, 6, v37
	v_and_b32_e32 v1, 0xfffff, v1
	v_add_u32_e32 v20, v1, v0
	v_cmp_ne_u32_e32 vcc, 0, v36
                                        ; implicit-def: $vgpr0_vgpr1
                                        ; implicit-def: $vgpr2
	s_and_saveexec_b64 s[28:29], vcc
	s_xor_b64 s[28:29], exec, s[28:29]
; %bb.7108:                             ;   in Loop: Header=BB6_6130 Depth=3
	v_cmp_lt_u64_e32 vcc, s[88:89], v[20:21]
	v_add_u32_e32 v0, 7, v37
	v_cndmask_b32_e32 v2, v36, v0, vcc
	v_cndmask_b32_e64 v0, 0, 1, vcc
	v_lshrrev_b64 v[0:1], v0, v[20:21]
; %bb.7109:                             ;   in Loop: Header=BB6_6130 Depth=3
	s_or_saveexec_b64 s[28:29], s[28:29]
	buffer_load_dword v55, off, s[0:3], s33 offset:96 ; 4-byte Folded Reload
	buffer_load_dword v52, off, s[0:3], s33 offset:100 ; 4-byte Folded Reload
	s_xor_b64 exec, exec, s[28:29]
; %bb.7110:                             ;   in Loop: Header=BB6_6130 Depth=3
	v_mov_b32_e32 v0, v20
	v_bfe_u32 v2, v20, 23, 1
	v_mov_b32_e32 v1, v21
; %bb.7111:                             ;   in Loop: Header=BB6_6130 Depth=3
	s_or_b64 exec, exec, s[28:29]
	v_lshrrev_b64 v[0:1], 20, v[0:1]
	v_cmp_gt_i32_e32 vcc, 16, v2
	v_cndmask_b32_e32 v1, 0, v1, vcc
	v_cndmask_b32_e32 v0, 7, v0, vcc
	v_cmp_ne_u64_e32 vcc, 0, v[0:1]
	v_cmp_ne_u32_e64 s[28:29], 0, v2
	s_or_b64 s[28:29], s[28:29], vcc
                                        ; implicit-def: $vgpr36
	s_and_saveexec_b64 vcc, s[28:29]
	s_xor_b64 s[28:29], exec, vcc
; %bb.7112:                             ;   in Loop: Header=BB6_6130 Depth=3
	v_min_i32_e32 v1, 15, v2
	v_lshl_or_b32 v1, v1, 3, v17
	v_and_or_b32 v36, v0, 7, v1
                                        ; implicit-def: $vgpr17
; %bb.7113:                             ;   in Loop: Header=BB6_6130 Depth=3
	s_andn2_saveexec_b64 s[28:29], s[28:29]
; %bb.7114:                             ;   in Loop: Header=BB6_6130 Depth=3
	v_mov_b32_e32 v36, v17
; %bb.7115:                             ;   in Loop: Header=BB6_6130 Depth=3
	s_or_b64 exec, exec, s[28:29]
.LBB6_7116:                             ;   in Loop: Header=BB6_6130 Depth=3
	s_or_b64 exec, exec, s[38:39]
                                        ; implicit-def: $vgpr17
.LBB6_7117:                             ;   in Loop: Header=BB6_6130 Depth=3
	s_andn2_saveexec_b64 s[28:29], s[36:37]
; %bb.7118:                             ;   in Loop: Header=BB6_6130 Depth=3
	v_or_b32_e32 v36, 0x7e, v17
; %bb.7119:                             ;   in Loop: Header=BB6_6130 Depth=3
	s_or_b64 exec, exec, s[28:29]
                                        ; implicit-def: $vgpr0
.LBB6_7120:                             ;   in Loop: Header=BB6_6130 Depth=3
	s_andn2_saveexec_b64 s[28:29], s[34:35]
; %bb.7121:                             ;   in Loop: Header=BB6_6130 Depth=3
	v_or_b32_sdwa v36, v0, s81 dst_sel:DWORD dst_unused:UNUSED_PAD src0_sel:BYTE_3 src1_sel:DWORD
; %bb.7122:                             ;   in Loop: Header=BB6_6130 Depth=3
	s_or_b64 exec, exec, s[28:29]
	s_waitcnt vmcnt(0)
	v_and_b32_e32 v0, 0xff, v52
	v_cmp_ne_u16_e32 vcc, 0, v0
	v_mov_b32_e32 v1, 0
	v_mov_b32_e32 v2, 0
	s_and_saveexec_b64 s[28:29], vcc
	s_cbranch_execz .LBB6_7128
; %bb.7123:                             ;   in Loop: Header=BB6_6130 Depth=3
	v_cmp_ne_u16_e32 vcc, s80, v0
	v_bfrev_b32_e32 v2, 1
	s_and_saveexec_b64 s[34:35], vcc
	s_cbranch_execz .LBB6_7127
; %bb.7124:                             ;   in Loop: Header=BB6_6130 Depth=3
	v_and_b32_e32 v17, 0x7f, v52
	v_cmp_ne_u32_e32 vcc, s81, v17
	v_mov_b32_e32 v2, 0x7f800001
	s_and_saveexec_b64 s[36:37], vcc
	s_cbranch_execz .LBB6_7126
; %bb.7125:                             ;   in Loop: Header=BB6_6130 Depth=3
	v_and_b32_e32 v2, 7, v0
	v_lshrrev_b32_e32 v20, 3, v17
	v_cmp_gt_u32_e32 vcc, 8, v17
	v_ffbh_u32_e32 v17, v2
	v_min_u32_e32 v17, 32, v17
	v_subrev_u32_e32 v37, 28, v17
	v_lshlrev_b64 v[54:55], v37, v[0:1]
	buffer_load_dword v55, off, s[0:3], s33 offset:96 ; 4-byte Folded Reload
	v_sub_u32_e32 v0, 29, v17
	v_and_b32_e32 v17, 7, v54
	v_cndmask_b32_e32 v0, v20, v0, vcc
	v_cndmask_b32_e32 v2, v2, v17, vcc
	v_lshlrev_b32_e32 v17, 24, v52
	v_bfrev_b32_e32 v20, 60
	v_lshlrev_b32_e32 v2, 20, v2
	v_and_b32_e32 v17, 0x80000000, v17
	v_lshl_add_u32 v0, v0, 23, v20
	v_or3_b32 v2, v17, v0, v2
.LBB6_7126:                             ;   in Loop: Header=BB6_6130 Depth=3
	s_or_b64 exec, exec, s[36:37]
.LBB6_7127:                             ;   in Loop: Header=BB6_6130 Depth=3
	s_or_b64 exec, exec, s[34:35]
.LBB6_7128:                             ;   in Loop: Header=BB6_6130 Depth=3
	s_or_b64 exec, exec, s[28:29]
	s_waitcnt vmcnt(0)
	v_and_b32_e32 v0, 0xff, v55
	v_cmp_ne_u16_e32 vcc, 0, v0
	s_and_saveexec_b64 s[28:29], vcc
	s_cbranch_execz .LBB6_7134
; %bb.7129:                             ;   in Loop: Header=BB6_6130 Depth=3
	v_cmp_ne_u16_e32 vcc, s80, v0
	v_bfrev_b32_e32 v1, 1
	s_and_saveexec_b64 s[34:35], vcc
	s_cbranch_execz .LBB6_7133
; %bb.7130:                             ;   in Loop: Header=BB6_6130 Depth=3
	v_and_b32_e32 v17, 0x7f, v55
	v_cmp_ne_u32_e32 vcc, s81, v17
	v_mov_b32_e32 v1, 0x7f800001
	s_and_saveexec_b64 s[36:37], vcc
	s_cbranch_execz .LBB6_7132
; %bb.7131:                             ;   in Loop: Header=BB6_6130 Depth=3
	v_and_b32_e32 v20, 7, v0
	v_ffbh_u32_e32 v1, v20
	v_lshrrev_b32_e32 v37, 3, v17
	v_cmp_gt_u32_e32 vcc, 8, v17
	v_min_u32_e32 v17, 32, v1
	v_subrev_u32_e32 v1, 28, v17
	v_lshlrev_b64 v[0:1], v1, v[0:1]
	v_sub_u32_e32 v1, 29, v17
	v_and_b32_e32 v0, 7, v0
	v_cndmask_b32_e32 v1, v37, v1, vcc
	v_cndmask_b32_e32 v0, v20, v0, vcc
	v_lshlrev_b32_e32 v17, 24, v55
	v_bfrev_b32_e32 v20, 60
	v_lshlrev_b32_e32 v0, 20, v0
	v_and_b32_e32 v17, 0x80000000, v17
	v_lshl_add_u32 v1, v1, 23, v20
	v_or3_b32 v1, v17, v1, v0
.LBB6_7132:                             ;   in Loop: Header=BB6_6130 Depth=3
	s_or_b64 exec, exec, s[36:37]
.LBB6_7133:                             ;   in Loop: Header=BB6_6130 Depth=3
	s_or_b64 exec, exec, s[34:35]
.LBB6_7134:                             ;   in Loop: Header=BB6_6130 Depth=3
	s_or_b64 exec, exec, s[28:29]
	v_mul_f32_e32 v0, v2, v1
	v_and_b32_e32 v20, 0x7f800000, v0
	v_cmp_ne_u64_e32 vcc, s[62:63], v[20:21]
                                        ; implicit-def: $vgpr1
	s_and_saveexec_b64 s[28:29], vcc
	s_xor_b64 s[34:35], exec, s[28:29]
	s_cbranch_execz .LBB6_7152
; %bb.7135:                             ;   in Loop: Header=BB6_6130 Depth=3
	v_and_b32_e32 v20, 0x7fffffff, v0
	v_cmp_gt_u64_e32 vcc, s[78:79], v[20:21]
	v_and_b32_sdwa v17, v0, s80 dst_sel:DWORD dst_unused:UNUSED_PAD src0_sel:BYTE_3 src1_sel:DWORD
                                        ; implicit-def: $vgpr1
	s_and_saveexec_b64 s[28:29], vcc
	s_xor_b64 s[36:37], exec, s[28:29]
	s_cbranch_execz .LBB6_7149
; %bb.7136:                             ;   in Loop: Header=BB6_6130 Depth=3
	v_cmp_ne_u32_e32 vcc, 0, v0
	v_mov_b32_e32 v1, 0
	s_and_saveexec_b64 s[38:39], vcc
	s_cbranch_execz .LBB6_7148
; %bb.7137:                             ;   in Loop: Header=BB6_6130 Depth=3
	v_bfe_u32 v37, v0, 23, 8
	v_and_b32_e32 v1, 0x7fffff, v0
	v_cmp_gt_u32_e64 s[28:29], s47, v37
	v_sub_u32_e32 v0, 0x79, v37
	v_cmp_eq_u32_e32 vcc, 0, v37
	v_cndmask_b32_e64 v0, 0, v0, s[28:29]
	v_mov_b32_e32 v20, 0x78
	v_cndmask_b32_e32 v39, v0, v20, vcc
	v_or_b32_e32 v2, 0x800000, v1
	v_add_u32_e32 v0, 20, v39
	v_cndmask_b32_e32 v20, v2, v1, vcc
	v_lshlrev_b64 v[0:1], v0, -1
	v_add_u32_e32 v2, 19, v39
	v_lshlrev_b64 v[54:55], v2, 1
	v_bfi_b32 v1, v1, 0, 0
	v_bfi_b32 v0, v0, 0, v20
	v_cmp_eq_u64_e64 s[28:29], v[0:1], v[54:55]
	v_lshrrev_b64 v[0:1], v39, v[20:21]
	v_mov_b32_e32 v2, v1
	v_mov_b32_e32 v1, v0
	s_and_saveexec_b64 s[48:49], s[28:29]
; %bb.7138:                             ;   in Loop: Header=BB6_6130 Depth=3
	v_bfe_u32 v1, v0, 20, 1
	v_add_co_u32_e64 v1, s[28:29], v0, v1
	v_add_co_u32_e64 v1, s[28:29], -1, v1
; %bb.7139:                             ;   in Loop: Header=BB6_6130 Depth=3
	s_or_b64 exec, exec, s[48:49]
	v_add_u32_e32 v2, 0xffffff81, v37
	v_mov_b32_e32 v20, 0xffffff82
	v_cndmask_b32_e32 v2, v2, v20, vcc
	v_lshrrev_b32_e32 v20, 23, v0
	v_add3_u32 v39, v39, v2, v20
	v_add_u32_e32 v37, 6, v39
	v_and_b32_e32 v1, 0xfffff, v1
	v_add_u32_e32 v20, v1, v0
	v_cmp_ne_u32_e32 vcc, 0, v37
                                        ; implicit-def: $vgpr0_vgpr1
                                        ; implicit-def: $vgpr2
	s_and_saveexec_b64 s[28:29], vcc
	s_xor_b64 s[28:29], exec, s[28:29]
; %bb.7140:                             ;   in Loop: Header=BB6_6130 Depth=3
	v_cmp_lt_u64_e32 vcc, s[88:89], v[20:21]
	v_add_u32_e32 v0, 7, v39
	v_cndmask_b32_e32 v2, v37, v0, vcc
	v_cndmask_b32_e64 v0, 0, 1, vcc
	v_lshrrev_b64 v[0:1], v0, v[20:21]
; %bb.7141:                             ;   in Loop: Header=BB6_6130 Depth=3
	s_andn2_saveexec_b64 s[28:29], s[28:29]
; %bb.7142:                             ;   in Loop: Header=BB6_6130 Depth=3
	v_mov_b32_e32 v0, v20
	v_bfe_u32 v2, v20, 23, 1
	v_mov_b32_e32 v1, v21
; %bb.7143:                             ;   in Loop: Header=BB6_6130 Depth=3
	s_or_b64 exec, exec, s[28:29]
	v_lshrrev_b64 v[0:1], 20, v[0:1]
	v_cmp_gt_i32_e32 vcc, 16, v2
	v_cndmask_b32_e32 v1, 0, v1, vcc
	v_cndmask_b32_e32 v0, 7, v0, vcc
	v_cmp_ne_u64_e32 vcc, 0, v[0:1]
	v_cmp_ne_u32_e64 s[28:29], 0, v2
	s_or_b64 s[28:29], s[28:29], vcc
                                        ; implicit-def: $vgpr1
	s_and_saveexec_b64 vcc, s[28:29]
	s_xor_b64 s[28:29], exec, vcc
; %bb.7144:                             ;   in Loop: Header=BB6_6130 Depth=3
	v_min_i32_e32 v1, 15, v2
	v_lshl_or_b32 v1, v1, 3, v17
	v_and_or_b32 v1, v0, 7, v1
                                        ; implicit-def: $vgpr17
; %bb.7145:                             ;   in Loop: Header=BB6_6130 Depth=3
	s_andn2_saveexec_b64 s[28:29], s[28:29]
; %bb.7146:                             ;   in Loop: Header=BB6_6130 Depth=3
	v_mov_b32_e32 v1, v17
; %bb.7147:                             ;   in Loop: Header=BB6_6130 Depth=3
	s_or_b64 exec, exec, s[28:29]
.LBB6_7148:                             ;   in Loop: Header=BB6_6130 Depth=3
	s_or_b64 exec, exec, s[38:39]
                                        ; implicit-def: $vgpr17
.LBB6_7149:                             ;   in Loop: Header=BB6_6130 Depth=3
	s_andn2_saveexec_b64 s[28:29], s[36:37]
; %bb.7150:                             ;   in Loop: Header=BB6_6130 Depth=3
	v_or_b32_e32 v1, 0x7e, v17
; %bb.7151:                             ;   in Loop: Header=BB6_6130 Depth=3
	s_or_b64 exec, exec, s[28:29]
                                        ; implicit-def: $vgpr0
.LBB6_7152:                             ;   in Loop: Header=BB6_6130 Depth=3
	s_andn2_saveexec_b64 s[28:29], s[34:35]
	s_cbranch_execz .LBB6_6129
; %bb.7153:                             ;   in Loop: Header=BB6_6130 Depth=3
	v_or_b32_sdwa v1, v0, s81 dst_sel:DWORD dst_unused:UNUSED_PAD src0_sel:BYTE_3 src1_sel:DWORD
	s_branch .LBB6_6129
.LBB6_7154:                             ;   in Loop: Header=BB6_3791 Depth=2
	s_or_b64 exec, exec, s[30:31]
	buffer_load_dword v56, off, s[0:3], s33 offset:200 ; 4-byte Folded Reload
	buffer_load_dword v8, off, s[0:3], s33 offset:184 ; 4-byte Folded Reload
	;; [unrolled: 1-line block ×6, first 2 shown]
.LBB6_7155:                             ;   in Loop: Header=BB6_3791 Depth=2
	s_or_b64 exec, exec, s[40:41]
	s_waitcnt vmcnt(0)
	v_lshlrev_b32_e32 v0, 11, v4
	v_cmp_ne_u32_e32 vcc, v3, v0
	s_and_b64 exec, exec, vcc
	s_cbranch_execz .LBB6_7193
; %bb.7156:                             ;   in Loop: Header=BB6_3791 Depth=2
	v_add_u32_e32 v1, v2, v1
	v_and_b32_e32 v1, 0xffffffc0, v1
	v_sub_u32_e32 v1, v2, v1
	v_lshlrev_b32_e32 v2, 6, v14
	v_sub_u32_e32 v1, v1, v2
	v_add_u32_e32 v0, v0, v1
	v_sub_u32_e32 v3, v3, v0
	v_cmp_lt_i32_e32 vcc, 0, v3
	s_and_b64 exec, exec, vcc
	s_cbranch_execz .LBB6_7193
; %bb.7157:                             ;   in Loop: Header=BB6_3791 Depth=2
	s_trap 2
	ds_read_b128 v[4:7], v0
	v_add_u32_e32 v0, v0, v8
	v_ashrrev_i32_e32 v1, 31, v0
	s_mov_b64 s[30:31], 0
	s_waitcnt lgkmcnt(0)
	v_add_co_u32_e32 v4, vcc, v4, v0
	v_addc_co_u32_e32 v5, vcc, v5, v1, vcc
	v_add_co_u32_e32 v8, vcc, v6, v0
	v_addc_co_u32_e32 v9, vcc, v7, v1, vcc
	v_mov_b32_e32 v11, v5
	v_mov_b32_e32 v13, v9
	;; [unrolled: 1-line block ×4, first 2 shown]
.LBB6_7158:                             ;   Parent Loop BB6_47 Depth=1
                                        ;     Parent Loop BB6_3791 Depth=2
                                        ; =>    This Loop Header: Depth=3
                                        ;         Child Loop BB6_7191 Depth 4
	flat_load_ubyte v7, v[10:11] glc slc
	flat_load_ubyte v2, v[12:13] glc slc
	v_mov_b32_e32 v1, 0
	v_mov_b32_e32 v6, 0
	s_waitcnt vmcnt(0) lgkmcnt(0)
	v_cmp_ne_u16_e32 vcc, 0, v7
	s_and_saveexec_b64 s[28:29], vcc
	s_cbranch_execz .LBB6_7164
; %bb.7159:                             ;   in Loop: Header=BB6_7158 Depth=3
	v_cmp_ne_u16_e32 vcc, s80, v7
	v_bfrev_b32_e32 v6, 1
	s_and_saveexec_b64 s[40:41], vcc
	s_cbranch_execz .LBB6_7163
; %bb.7160:                             ;   in Loop: Header=BB6_7158 Depth=3
	v_and_b32_e32 v0, 0xffff, v7
	v_and_b32_e32 v14, 0x7f, v0
	v_cmp_ne_u32_e32 vcc, s81, v14
	v_mov_b32_e32 v6, 0x7f800001
	s_and_saveexec_b64 s[34:35], vcc
	s_cbranch_execz .LBB6_7162
; %bb.7161:                             ;   in Loop: Header=BB6_7158 Depth=3
	v_and_b32_e32 v6, 7, v0
	v_lshrrev_b32_e32 v16, 3, v14
	v_cmp_gt_u32_e32 vcc, 8, v14
	v_ffbh_u32_e32 v14, v6
	v_min_u32_e32 v17, 32, v14
	v_subrev_u32_e32 v14, 28, v17
	v_lshlrev_b64 v[14:15], v14, v[0:1]
	v_sub_u32_e32 v0, 29, v17
	v_and_b32_e32 v14, 7, v14
	v_cndmask_b32_e32 v0, v16, v0, vcc
	v_cndmask_b32_e32 v6, v6, v14, vcc
	v_lshlrev_b32_e32 v7, 24, v7
	v_bfrev_b32_e32 v14, 60
	v_lshlrev_b32_e32 v6, 20, v6
	v_and_b32_e32 v7, 0x80000000, v7
	v_lshl_add_u32 v0, v0, 23, v14
	v_or3_b32 v6, v7, v0, v6
.LBB6_7162:                             ;   in Loop: Header=BB6_7158 Depth=3
	s_or_b64 exec, exec, s[34:35]
.LBB6_7163:                             ;   in Loop: Header=BB6_7158 Depth=3
	s_or_b64 exec, exec, s[40:41]
.LBB6_7164:                             ;   in Loop: Header=BB6_7158 Depth=3
	s_or_b64 exec, exec, s[28:29]
	v_and_b32_e32 v0, 0xff, v2
	v_cmp_ne_u16_e32 vcc, 0, v0
	s_and_saveexec_b64 s[28:29], vcc
	s_cbranch_execz .LBB6_7170
; %bb.7165:                             ;   in Loop: Header=BB6_7158 Depth=3
	v_cmp_ne_u16_e32 vcc, s80, v0
	v_bfrev_b32_e32 v1, 1
	s_and_saveexec_b64 s[40:41], vcc
	s_cbranch_execz .LBB6_7169
; %bb.7166:                             ;   in Loop: Header=BB6_7158 Depth=3
	v_and_b32_e32 v7, 0x7f, v2
	v_cmp_ne_u32_e32 vcc, s81, v7
	v_mov_b32_e32 v1, 0x7f800001
	s_and_saveexec_b64 s[34:35], vcc
	s_cbranch_execz .LBB6_7168
; %bb.7167:                             ;   in Loop: Header=BB6_7158 Depth=3
	v_and_b32_e32 v14, 7, v0
	v_lshlrev_b32_e32 v1, 24, v2
	v_and_b32_e32 v2, 0x80000000, v1
	v_ffbh_u32_e32 v1, v14
	v_lshrrev_b32_e32 v15, 3, v7
	v_cmp_gt_u32_e32 vcc, 8, v7
	v_min_u32_e32 v7, 32, v1
	v_subrev_u32_e32 v1, 28, v7
	v_lshlrev_b64 v[0:1], v1, v[0:1]
	v_sub_u32_e32 v1, 29, v7
	v_and_b32_e32 v0, 7, v0
	v_cndmask_b32_e32 v1, v15, v1, vcc
	v_cndmask_b32_e32 v0, v14, v0, vcc
	v_bfrev_b32_e32 v7, 60
	v_lshlrev_b32_e32 v0, 20, v0
	v_lshl_add_u32 v1, v1, 23, v7
	v_or3_b32 v1, v2, v1, v0
.LBB6_7168:                             ;   in Loop: Header=BB6_7158 Depth=3
	s_or_b64 exec, exec, s[34:35]
.LBB6_7169:                             ;   in Loop: Header=BB6_7158 Depth=3
	s_or_b64 exec, exec, s[40:41]
.LBB6_7170:                             ;   in Loop: Header=BB6_7158 Depth=3
	s_or_b64 exec, exec, s[28:29]
	v_mul_f32_e32 v0, v6, v1
	v_and_b32_e32 v20, 0x7f800000, v0
	v_cmp_ne_u64_e32 vcc, s[62:63], v[20:21]
                                        ; implicit-def: $vgpr1
	s_and_saveexec_b64 s[28:29], vcc
	s_xor_b64 s[40:41], exec, s[28:29]
	s_cbranch_execz .LBB6_7188
; %bb.7171:                             ;   in Loop: Header=BB6_7158 Depth=3
	v_and_b32_e32 v20, 0x7fffffff, v0
	v_cmp_gt_u64_e32 vcc, s[78:79], v[20:21]
	v_and_b32_sdwa v6, v0, s80 dst_sel:DWORD dst_unused:UNUSED_PAD src0_sel:BYTE_3 src1_sel:DWORD
                                        ; implicit-def: $vgpr1
	s_and_saveexec_b64 s[28:29], vcc
	s_xor_b64 s[34:35], exec, s[28:29]
	s_cbranch_execz .LBB6_7185
; %bb.7172:                             ;   in Loop: Header=BB6_7158 Depth=3
	v_cmp_ne_u32_e32 vcc, 0, v0
	v_mov_b32_e32 v1, 0
	s_and_saveexec_b64 s[36:37], vcc
	s_cbranch_execz .LBB6_7184
; %bb.7173:                             ;   in Loop: Header=BB6_7158 Depth=3
	v_bfe_u32 v7, v0, 23, 8
	v_and_b32_e32 v1, 0x7fffff, v0
	v_cmp_gt_u32_e64 s[28:29], s47, v7
	v_sub_u32_e32 v0, 0x79, v7
	v_cmp_eq_u32_e32 vcc, 0, v7
	v_cndmask_b32_e64 v0, 0, v0, s[28:29]
	v_mov_b32_e32 v14, 0x78
	v_cndmask_b32_e32 v14, v0, v14, vcc
	v_or_b32_e32 v2, 0x800000, v1
	v_add_u32_e32 v0, 20, v14
	v_cndmask_b32_e32 v20, v2, v1, vcc
	v_lshlrev_b64 v[0:1], v0, -1
	v_add_u32_e32 v2, 19, v14
	v_lshlrev_b64 v[15:16], v2, 1
	v_bfi_b32 v1, v1, 0, 0
	v_bfi_b32 v0, v0, 0, v20
	v_cmp_eq_u64_e64 s[28:29], v[0:1], v[15:16]
	v_lshrrev_b64 v[0:1], v14, v[20:21]
	v_mov_b32_e32 v2, v1
	v_mov_b32_e32 v1, v0
	s_and_saveexec_b64 s[38:39], s[28:29]
; %bb.7174:                             ;   in Loop: Header=BB6_7158 Depth=3
	v_bfe_u32 v1, v0, 20, 1
	v_add_co_u32_e64 v1, s[28:29], v0, v1
	v_add_co_u32_e64 v1, s[28:29], -1, v1
; %bb.7175:                             ;   in Loop: Header=BB6_7158 Depth=3
	s_or_b64 exec, exec, s[38:39]
	v_add_u32_e32 v2, 0xffffff81, v7
	v_mov_b32_e32 v7, 0xffffff82
	v_cndmask_b32_e32 v2, v2, v7, vcc
	v_lshrrev_b32_e32 v7, 23, v0
	v_add3_u32 v14, v14, v2, v7
	v_add_u32_e32 v7, 6, v14
	v_and_b32_e32 v1, 0xfffff, v1
	v_add_u32_e32 v20, v1, v0
	v_cmp_ne_u32_e32 vcc, 0, v7
                                        ; implicit-def: $vgpr0_vgpr1
                                        ; implicit-def: $vgpr2
	s_and_saveexec_b64 s[28:29], vcc
	s_xor_b64 s[28:29], exec, s[28:29]
; %bb.7176:                             ;   in Loop: Header=BB6_7158 Depth=3
	v_cmp_lt_u64_e32 vcc, s[88:89], v[20:21]
	v_add_u32_e32 v0, 7, v14
	v_cndmask_b32_e32 v2, v7, v0, vcc
	v_cndmask_b32_e64 v0, 0, 1, vcc
	v_lshrrev_b64 v[0:1], v0, v[20:21]
; %bb.7177:                             ;   in Loop: Header=BB6_7158 Depth=3
	s_andn2_saveexec_b64 s[28:29], s[28:29]
; %bb.7178:                             ;   in Loop: Header=BB6_7158 Depth=3
	v_mov_b32_e32 v0, v20
	v_bfe_u32 v2, v20, 23, 1
	v_mov_b32_e32 v1, v21
; %bb.7179:                             ;   in Loop: Header=BB6_7158 Depth=3
	s_or_b64 exec, exec, s[28:29]
	v_lshrrev_b64 v[0:1], 20, v[0:1]
	v_cmp_gt_i32_e32 vcc, 16, v2
	v_cndmask_b32_e32 v1, 0, v1, vcc
	v_cndmask_b32_e32 v0, 7, v0, vcc
	v_cmp_ne_u64_e32 vcc, 0, v[0:1]
	v_cmp_ne_u32_e64 s[28:29], 0, v2
	s_or_b64 s[28:29], s[28:29], vcc
                                        ; implicit-def: $vgpr1
	s_and_saveexec_b64 vcc, s[28:29]
	s_xor_b64 s[28:29], exec, vcc
; %bb.7180:                             ;   in Loop: Header=BB6_7158 Depth=3
	v_min_i32_e32 v1, 15, v2
	v_lshl_or_b32 v1, v1, 3, v6
	v_and_or_b32 v1, v0, 7, v1
                                        ; implicit-def: $vgpr6
; %bb.7181:                             ;   in Loop: Header=BB6_7158 Depth=3
	s_andn2_saveexec_b64 s[28:29], s[28:29]
; %bb.7182:                             ;   in Loop: Header=BB6_7158 Depth=3
	v_mov_b32_e32 v1, v6
; %bb.7183:                             ;   in Loop: Header=BB6_7158 Depth=3
	s_or_b64 exec, exec, s[28:29]
.LBB6_7184:                             ;   in Loop: Header=BB6_7158 Depth=3
	s_or_b64 exec, exec, s[36:37]
                                        ; implicit-def: $vgpr6
.LBB6_7185:                             ;   in Loop: Header=BB6_7158 Depth=3
	s_andn2_saveexec_b64 s[28:29], s[34:35]
; %bb.7186:                             ;   in Loop: Header=BB6_7158 Depth=3
	v_or_b32_e32 v1, 0x7e, v6
; %bb.7187:                             ;   in Loop: Header=BB6_7158 Depth=3
	s_or_b64 exec, exec, s[28:29]
                                        ; implicit-def: $vgpr0
.LBB6_7188:                             ;   in Loop: Header=BB6_7158 Depth=3
	s_andn2_saveexec_b64 s[28:29], s[40:41]
; %bb.7189:                             ;   in Loop: Header=BB6_7158 Depth=3
	v_or_b32_sdwa v1, v0, s81 dst_sel:DWORD dst_unused:UNUSED_PAD src0_sel:BYTE_3 src1_sel:DWORD
; %bb.7190:                             ;   in Loop: Header=BB6_7158 Depth=3
	s_or_b64 exec, exec, s[28:29]
	s_mov_b64 s[36:37], 0
	s_mov_b64 s[34:35], -1
.LBB6_7191:                             ;   Parent Loop BB6_47 Depth=1
                                        ;     Parent Loop BB6_3791 Depth=2
                                        ;       Parent Loop BB6_7158 Depth=3
                                        ; =>      This Inner Loop Header: Depth=4
	s_cmp_eq_u32 s36, 1
	s_cselect_b64 vcc, -1, 0
	v_cndmask_b32_e32 v6, v4, v8, vcc
	v_cndmask_b32_e32 v7, v5, v9, vcc
	v_add_co_u32_e64 v0, s[28:29], 64, v6
	s_cmp_eq_u32 s36, 0
	v_addc_co_u32_e64 v2, s[28:29], 0, v7, s[28:29]
	s_cselect_b64 s[28:29], -1, 0
	s_and_b64 s[40:41], exec, s[34:35]
	s_mov_b64 s[36:37], 1
	s_mov_b64 s[34:35], 0
	v_cndmask_b32_e32 v9, v9, v2, vcc
	v_cndmask_b32_e32 v8, v8, v0, vcc
	v_cndmask_b32_e64 v5, v5, v2, s[28:29]
	v_cndmask_b32_e64 v4, v4, v0, s[28:29]
	s_mov_b64 vcc, s[40:41]
	flat_store_byte v[6:7], v1 glc slc
	s_cbranch_vccnz .LBB6_7191
; %bb.7192:                             ;   in Loop: Header=BB6_7158 Depth=3
	buffer_load_dword v0, off, s[0:3], s33 offset:256 ; 4-byte Folded Reload
	buffer_load_dword v1, off, s[0:3], s33 offset:260 ; 4-byte Folded Reload
	;; [unrolled: 1-line block ×3, first 2 shown]
	s_waitcnt vmcnt(0)
	v_add_co_u32_e32 v10, vcc, v10, v0
	v_addc_co_u32_e32 v11, vcc, v11, v1, vcc
	v_add_co_u32_e32 v12, vcc, v12, v0
	v_addc_co_u32_e32 v13, vcc, v13, v1, vcc
	buffer_load_dword v1, off, s[0:3], s33 offset:248 ; 4-byte Folded Reload
	buffer_load_dword v0, off, s[0:3], s33 offset:196 ; 4-byte Folded Reload
	s_waitcnt vmcnt(0)
	v_add_co_u32_e32 v4, vcc, v4, v1
	v_addc_co_u32_e32 v5, vcc, v5, v2, vcc
	v_sub_u32_e32 v3, v3, v0
	v_cmp_gt_i32_e32 vcc, 1, v3
	s_or_b64 s[30:31], vcc, s[30:31]
	v_add_co_u32_e32 v8, vcc, v8, v1
	v_addc_co_u32_e32 v9, vcc, v9, v2, vcc
	s_andn2_b64 exec, exec, s[30:31]
	s_cbranch_execnz .LBB6_7158
.LBB6_7193:                             ;   in Loop: Header=BB6_3791 Depth=2
	s_or_b64 exec, exec, s[42:43]
	s_branch .LBB6_10518
.LBB6_7194:                             ;   in Loop: Header=BB6_3791 Depth=2
	s_mov_b64 s[40:41], -1
	s_and_saveexec_b64 s[28:29], s[22:23]
	s_cbranch_execz .LBB6_7196
; %bb.7195:                             ;   in Loop: Header=BB6_3791 Depth=2
	s_waitcnt vmcnt(0)
	ds_read_b32 v0, v0 offset:720
	s_waitcnt lgkmcnt(0)
	v_and_b32_e32 v0, 15, v0
	v_cmp_eq_u32_e32 vcc, 0, v0
	s_orn2_b64 s[40:41], vcc, exec
.LBB6_7196:                             ;   in Loop: Header=BB6_3791 Depth=2
	s_or_b64 exec, exec, s[28:29]
	s_and_saveexec_b64 s[28:29], s[18:19]
	s_cbranch_execz .LBB6_7198
; %bb.7197:                             ;   in Loop: Header=BB6_3791 Depth=2
	s_waitcnt vmcnt(0)
	ds_read_b32 v0, v0 offset:784
	s_waitcnt lgkmcnt(0)
	v_and_b32_e32 v0, 15, v0
	v_cmp_eq_u32_e32 vcc, 0, v0
	s_and_b64 s[42:43], s[40:41], vcc
	s_andn2_b64 s[40:41], s[40:41], exec
	s_and_b64 s[42:43], s[42:43], exec
	s_or_b64 s[40:41], s[40:41], s[42:43]
.LBB6_7198:                             ;   in Loop: Header=BB6_3791 Depth=2
	s_or_b64 exec, exec, s[28:29]
	s_xor_b64 s[40:41], s[40:41], -1
	s_waitcnt vmcnt(0)
	v_cndmask_b32_e64 v0, 0, 1, s[40:41]
	v_cmp_ne_u32_e32 vcc, 0, v0
	buffer_load_dword v5, off, s[0:3], s33 offset:324 ; 4-byte Folded Reload
	buffer_load_dword v2, off, s[0:3], s33 offset:268 ; 4-byte Folded Reload
	;; [unrolled: 1-line block ×3, first 2 shown]
	s_mov_b64 s[28:29], -1
	v_mov_b32_e32 v4, 0
	s_cbranch_vccz .LBB6_7200
; %bb.7199:                             ;   in Loop: Header=BB6_3791 Depth=2
	s_and_saveexec_b64 s[40:41], s[28:29]
	s_cbranch_execnz .LBB6_9453
	s_branch .LBB6_10517
.LBB6_7200:                             ;   in Loop: Header=BB6_3791 Depth=2
	buffer_load_dword v1, off, s[0:3], s33 offset:324 ; 4-byte Folded Reload
	s_waitcnt vmcnt(0)
	v_ashrrev_i32_e32 v0, 31, v1
	v_lshrrev_b32_e32 v0, 20, v0
	v_add_u32_e32 v0, v1, v0
	v_ashrrev_i32_e32 v1, 12, v0
	buffer_load_dword v0, off, s[0:3], s33 offset:240 ; 4-byte Folded Reload
	s_waitcnt vmcnt(0)
	v_sub_u32_e32 v3, v1, v0
	v_cmp_lt_i32_e32 vcc, 0, v3
	s_and_saveexec_b64 s[40:41], vcc
	s_cbranch_execz .LBB6_8996
; %bb.7201:                             ;   in Loop: Header=BB6_3791 Depth=2
	buffer_store_dword v1, off, s[0:3], s33 offset:296 ; 4-byte Folded Spill
	s_trap 2
	ds_read_b64 v[0:1], v0
	buffer_load_dword v2, off, s[0:3], s33 offset:312 ; 4-byte Folded Reload
	buffer_load_dword v4, off, s[0:3], s33 offset:336 ; 4-byte Folded Reload
	;; [unrolled: 1-line block ×4, first 2 shown]
	s_mov_b64 s[42:43], 0
	s_waitcnt vmcnt(0)
	v_add_co_u32_e32 v4, vcc, v4, v2
	v_addc_co_u32_e32 v5, vcc, v5, v8, vcc
	s_waitcnt lgkmcnt(0)
	v_add_co_u32_e32 v6, vcc, v0, v2
	v_addc_co_u32_e32 v7, vcc, v1, v8, vcc
	buffer_load_dword v0, off, s[0:3], s33 offset:344 ; 4-byte Folded Reload
	buffer_load_dword v1, off, s[0:3], s33 offset:348 ; 4-byte Folded Reload
	s_waitcnt vmcnt(1)
	v_add_co_u32_e32 v52, vcc, v0, v2
	s_waitcnt vmcnt(0)
	v_addc_co_u32_e32 v53, vcc, v1, v8, vcc
	s_branch .LBB6_7203
.LBB6_7202:                             ;   in Loop: Header=BB6_7203 Depth=3
	s_or_b64 exec, exec, s[28:29]
	v_lshl_or_b32 v1, v40, 8, v49
	v_lshl_or_b32 v2, v34, 8, v27
	v_lshlrev_b32_e32 v10, 16, v41
	v_lshlrev_b32_e32 v11, 24, v16
	;; [unrolled: 1-line block ×4, first 2 shown]
	v_or3_b32 v15, v1, v10, v11
	v_or3_b32 v14, v2, v14, v16
	v_lshl_or_b32 v1, v58, 8, v17
	v_lshlrev_b32_e32 v2, 16, v59
	v_lshlrev_b32_e32 v10, 24, v44
	v_or3_b32 v16, v1, v2, v10
	v_lshl_or_b32 v1, v30, 8, v45
	v_lshlrev_b32_e32 v2, 24, v18
	v_lshlrev_b32_e32 v10, 16, v42
	v_or3_b32 v17, v1, v10, v2
	buffer_load_dword v1, off, s[0:3], s33 offset:188 ; 4-byte Folded Reload
	v_lshlrev_b32_e32 v2, 16, v31
	v_lshlrev_b32_e32 v10, 24, v24
	buffer_load_dword v11, off, s[0:3], s33 offset:160 ; 4-byte Folded Reload
	buffer_load_dword v18, off, s[0:3], s33 offset:164 ; 4-byte Folded Reload
	v_lshlrev_b32_e32 v8, 24, v8
	v_lshlrev_b32_e32 v0, 24, v0
	s_waitcnt vmcnt(2)
	v_lshl_or_b32 v1, v1, 8, v57
	v_or3_b32 v23, v1, v2, v10
	buffer_load_dword v1, off, s[0:3], s33 offset:168 ; 4-byte Folded Reload
	buffer_load_dword v2, off, s[0:3], s33 offset:184 ; 4-byte Folded Reload
	s_waitcnt vmcnt(2)
	v_lshl_or_b32 v11, v18, 8, v11
	v_lshlrev_b32_e32 v10, 24, v29
	s_waitcnt vmcnt(1)
	v_lshlrev_b32_e32 v1, 16, v1
	s_waitcnt vmcnt(0)
	v_lshlrev_b32_e32 v2, 24, v2
	v_or3_b32 v22, v11, v1, v2
	v_lshl_or_b32 v1, v32, 8, v25
	v_lshlrev_b32_e32 v2, 16, v33
	v_or3_b32 v24, v1, v2, v10
	v_lshlrev_b32_e32 v1, 24, v26
	v_lshlrev_b32_e32 v2, 16, v55
	v_lshl_or_b32 v10, v54, 8, v43
	v_or3_b32 v25, v10, v2, v1
	buffer_load_dword v1, off, s[0:3], s33 offset:112 ; 4-byte Folded Reload
	buffer_load_dword v2, off, s[0:3], s33 offset:116 ; 4-byte Folded Reload
	buffer_load_dword v10, off, s[0:3], s33 offset:124 ; 4-byte Folded Reload
	s_waitcnt vmcnt(1)
	v_lshl_or_b32 v1, v2, 8, v1
	buffer_load_dword v2, off, s[0:3], s33 offset:120 ; 4-byte Folded Reload
	s_waitcnt vmcnt(1)
	v_lshlrev_b32_e32 v10, 24, v10
	s_waitcnt vmcnt(0)
	v_lshlrev_b32_e32 v2, 16, v2
	v_or3_b32 v30, v1, v2, v10
	buffer_load_dword v1, off, s[0:3], s33 offset:96 ; 4-byte Folded Reload
	buffer_load_dword v2, off, s[0:3], s33 offset:100 ; 4-byte Folded Reload
	buffer_load_dword v10, off, s[0:3], s33 offset:108 ; 4-byte Folded Reload
	s_waitcnt vmcnt(1)
	v_lshl_or_b32 v1, v2, 8, v1
	buffer_load_dword v2, off, s[0:3], s33 offset:104 ; 4-byte Folded Reload
	s_waitcnt vmcnt(1)
	v_lshlrev_b32_e32 v10, 24, v10
	s_waitcnt vmcnt(0)
	v_lshlrev_b32_e32 v2, 16, v2
	;; [unrolled: 11-line block ×3, first 2 shown]
	v_or3_b32 v31, v1, v2, v10
	buffer_load_dword v1, off, s[0:3], s33 offset:156 ; 4-byte Folded Reload
	buffer_load_dword v2, off, s[0:3], s33 offset:152 ; 4-byte Folded Reload
	;; [unrolled: 1-line block ×4, first 2 shown]
	s_waitcnt vmcnt(3)
	v_lshlrev_b32_e32 v1, 24, v1
	s_waitcnt vmcnt(2)
	v_lshlrev_b32_e32 v2, 16, v2
	s_waitcnt vmcnt(0)
	v_lshl_or_b32 v10, v11, 8, v10
	v_or3_b32 v32, v10, v2, v1
	v_lshl_or_b32 v1, v56, 8, v61
	v_lshlrev_b32_e32 v2, 16, v36
	v_or3_b32 v11, v1, v2, v8
	v_lshl_or_b32 v1, v46, 8, v19
	v_lshlrev_b32_e32 v2, 16, v47
	v_lshlrev_b32_e32 v8, 24, v60
	v_or3_b32 v10, v1, v2, v8
	v_lshl_or_b32 v1, v12, 8, v9
	v_lshlrev_b32_e32 v2, 16, v13
	v_lshlrev_b32_e32 v8, 24, v37
	v_or3_b32 v12, v1, v2, v8
	v_lshlrev_b32_e32 v1, 16, v39
	v_lshl_or_b32 v2, v38, 8, v28
	v_or3_b32 v13, v2, v1, v0
	global_store_dwordx4 v[52:53], v[29:32], off glc slc
	global_store_dwordx4 v[52:53], v[22:25], off offset:1024 glc slc
	global_store_dwordx4 v[52:53], v[14:17], off offset:2048 glc slc
	global_store_dwordx4 v[52:53], v[10:13], off offset:3072 glc slc
	buffer_load_dword v56, off, s[0:3], s33 offset:200 ; 4-byte Folded Reload
	buffer_load_dword v49, off, s[0:3], s33 offset:92 ; 4-byte Folded Reload
	s_waitcnt vmcnt(1)
	v_add_co_u32_e32 v4, vcc, v4, v56
	v_addc_co_u32_e32 v5, vcc, 0, v5, vcc
	v_add_co_u32_e32 v6, vcc, v6, v56
	v_addc_co_u32_e32 v7, vcc, 0, v7, vcc
	s_waitcnt vmcnt(0)
	v_sub_u32_e32 v3, v3, v49
	v_cmp_gt_i32_e32 vcc, 1, v3
	s_or_b64 s[42:43], vcc, s[42:43]
	v_add_co_u32_e32 v52, vcc, v52, v56
	v_addc_co_u32_e32 v53, vcc, 0, v53, vcc
	s_andn2_b64 exec, exec, s[42:43]
	s_cbranch_execz .LBB6_8995
.LBB6_7203:                             ;   Parent Loop BB6_47 Depth=1
                                        ;     Parent Loop BB6_3791 Depth=2
                                        ; =>    This Inner Loop Header: Depth=3
	global_load_dwordx4 v[48:51], v[4:5], off glc slc
	global_load_dwordx4 v[32:35], v[4:5], off offset:1024 glc slc
	global_load_dwordx4 v[58:61], v[4:5], off offset:2048 glc slc
	;; [unrolled: 1-line block ×3, first 2 shown]
	global_load_dwordx4 v[36:39], v[6:7], off glc slc
	global_load_dwordx4 v[24:27], v[6:7], off offset:1024 glc slc
	global_load_dwordx4 v[16:19], v[6:7], off offset:2048 glc slc
	global_load_dwordx4 v[8:11], v[6:7], off offset:3072 glc slc
	v_mov_b32_e32 v0, 0
	v_mov_b32_e32 v1, 0
	s_waitcnt vmcnt(7)
	v_cmp_ne_u16_sdwa vcc, v48, v21 src0_sel:BYTE_0 src1_sel:DWORD
	s_and_saveexec_b64 s[28:29], vcc
	s_cbranch_execz .LBB6_7209
; %bb.7204:                             ;   in Loop: Header=BB6_7203 Depth=3
	v_cmp_ne_u16_sdwa vcc, v48, s80 src0_sel:BYTE_0 src1_sel:DWORD
	v_bfrev_b32_e32 v1, 1
	s_and_saveexec_b64 s[30:31], vcc
	s_cbranch_execz .LBB6_7208
; %bb.7205:                             ;   in Loop: Header=BB6_7203 Depth=3
	v_and_b32_e32 v2, 0x7f, v48
	v_cmp_ne_u32_e32 vcc, s81, v2
	v_mov_b32_e32 v1, 0x7f800001
	s_and_saveexec_b64 s[34:35], vcc
	s_cbranch_execz .LBB6_7207
; %bb.7206:                             ;   in Loop: Header=BB6_7203 Depth=3
	v_and_b32_e32 v1, 7, v48
	v_ffbh_u32_e32 v1, v1
	v_min_u32_e32 v1, 32, v1
	v_lshrrev_b32_e32 v20, 3, v2
	v_cmp_gt_u32_e32 vcc, 8, v2
	v_subrev_u32_e32 v2, 28, v1
	v_sub_u32_e32 v1, 29, v1
	v_cndmask_b32_e32 v20, v20, v1, vcc
	v_cndmask_b32_e32 v1, 0, v2, vcc
	v_lshlrev_b64 v[1:2], v1, v[48:49]
	v_lshlrev_b32_e32 v2, 24, v48
	v_lshlrev_b32_e32 v1, 20, v1
	v_bfrev_b32_e32 v22, 60
	v_and_b32_e32 v1, 0x700000, v1
	v_and_b32_e32 v2, 0x80000000, v2
	v_lshl_add_u32 v20, v20, 23, v22
	v_or3_b32 v1, v2, v20, v1
.LBB6_7207:                             ;   in Loop: Header=BB6_7203 Depth=3
	s_or_b64 exec, exec, s[34:35]
.LBB6_7208:                             ;   in Loop: Header=BB6_7203 Depth=3
	s_or_b64 exec, exec, s[30:31]
.LBB6_7209:                             ;   in Loop: Header=BB6_7203 Depth=3
	s_or_b64 exec, exec, s[28:29]
	s_waitcnt vmcnt(3)
	v_cmp_ne_u16_sdwa vcc, v36, v21 src0_sel:BYTE_0 src1_sel:DWORD
	s_and_saveexec_b64 s[28:29], vcc
	s_cbranch_execz .LBB6_7215
; %bb.7210:                             ;   in Loop: Header=BB6_7203 Depth=3
	v_cmp_ne_u16_sdwa vcc, v36, s80 src0_sel:BYTE_0 src1_sel:DWORD
	v_bfrev_b32_e32 v0, 1
	s_and_saveexec_b64 s[30:31], vcc
	s_cbranch_execz .LBB6_7214
; %bb.7211:                             ;   in Loop: Header=BB6_7203 Depth=3
	v_and_b32_e32 v2, 0x7f, v36
	v_cmp_ne_u32_e32 vcc, s81, v2
	v_mov_b32_e32 v0, 0x7f800001
	s_and_saveexec_b64 s[34:35], vcc
	s_cbranch_execz .LBB6_7213
; %bb.7212:                             ;   in Loop: Header=BB6_7203 Depth=3
	v_and_b32_e32 v0, 7, v36
	v_ffbh_u32_e32 v0, v0
	v_min_u32_e32 v0, 32, v0
	v_lshrrev_b32_e32 v20, 3, v2
	v_cmp_gt_u32_e32 vcc, 8, v2
	v_subrev_u32_e32 v2, 28, v0
	v_cndmask_b32_e32 v2, 0, v2, vcc
	v_lshlrev_b64 v[22:23], v2, v[36:37]
	v_sub_u32_e32 v0, 29, v0
	v_cndmask_b32_e32 v0, v20, v0, vcc
	v_lshlrev_b32_e32 v2, 20, v22
	v_lshlrev_b32_e32 v20, 24, v36
	v_bfrev_b32_e32 v22, 60
	v_and_b32_e32 v2, 0x700000, v2
	v_and_b32_e32 v20, 0x80000000, v20
	v_lshl_add_u32 v0, v0, 23, v22
	v_or3_b32 v0, v20, v0, v2
.LBB6_7213:                             ;   in Loop: Header=BB6_7203 Depth=3
	s_or_b64 exec, exec, s[34:35]
.LBB6_7214:                             ;   in Loop: Header=BB6_7203 Depth=3
	s_or_b64 exec, exec, s[30:31]
.LBB6_7215:                             ;   in Loop: Header=BB6_7203 Depth=3
	s_or_b64 exec, exec, s[28:29]
	v_mul_f32_e32 v0, v1, v0
	v_and_b32_e32 v20, 0x7f800000, v0
	v_cmp_ne_u64_e32 vcc, s[62:63], v[20:21]
                                        ; implicit-def: $vgpr1
                                        ; kill: killed $vgpr1
	s_and_saveexec_b64 s[28:29], vcc
	s_xor_b64 s[30:31], exec, s[28:29]
	s_cbranch_execz .LBB6_7229
; %bb.7216:                             ;   in Loop: Header=BB6_7203 Depth=3
	v_and_b32_e32 v20, 0x7fffffff, v0
	v_cmp_gt_u64_e32 vcc, s[78:79], v[20:21]
	v_and_b32_sdwa v22, v0, s80 dst_sel:DWORD dst_unused:UNUSED_PAD src0_sel:BYTE_3 src1_sel:DWORD
                                        ; implicit-def: $vgpr1
                                        ; kill: killed $vgpr1
	s_and_saveexec_b64 s[28:29], vcc
	s_xor_b64 s[34:35], exec, s[28:29]
	s_cbranch_execz .LBB6_7226
; %bb.7217:                             ;   in Loop: Header=BB6_7203 Depth=3
	v_mov_b32_e32 v1, 0
	v_cmp_ne_u32_e32 vcc, 0, v0
	buffer_store_dword v1, off, s[0:3], s33 offset:96 ; 4-byte Folded Spill
	s_and_saveexec_b64 s[36:37], vcc
	s_cbranch_execz .LBB6_7225
; %bb.7218:                             ;   in Loop: Header=BB6_7203 Depth=3
	v_bfe_u32 v23, v0, 23, 8
	v_and_b32_e32 v1, 0x7fffff, v0
	v_cmp_gt_u32_e64 s[28:29], s47, v23
	v_sub_u32_e32 v0, 0x79, v23
	v_cmp_eq_u32_e32 vcc, 0, v23
	v_cndmask_b32_e64 v0, 0, v0, s[28:29]
	v_mov_b32_e32 v20, 0x78
	v_cndmask_b32_e32 v28, v0, v20, vcc
	v_or_b32_e32 v2, 0x800000, v1
	v_add_u32_e32 v0, 20, v28
	v_cndmask_b32_e32 v20, v2, v1, vcc
	v_lshlrev_b64 v[0:1], v0, -1
	v_add_u32_e32 v2, 19, v28
	v_lshlrev_b64 v[29:30], v2, 1
	v_bfi_b32 v1, v1, 0, 0
	v_bfi_b32 v0, v0, 0, v20
	v_cmp_eq_u64_e64 s[28:29], v[0:1], v[29:30]
	v_lshrrev_b64 v[0:1], v28, v[20:21]
	v_mov_b32_e32 v2, v1
	v_mov_b32_e32 v1, v0
	s_and_saveexec_b64 s[38:39], s[28:29]
; %bb.7219:                             ;   in Loop: Header=BB6_7203 Depth=3
	v_bfe_u32 v1, v0, 20, 1
	v_add_co_u32_e64 v1, s[28:29], v0, v1
	v_add_co_u32_e64 v1, s[28:29], -1, v1
; %bb.7220:                             ;   in Loop: Header=BB6_7203 Depth=3
	s_or_b64 exec, exec, s[38:39]
	v_add_u32_e32 v2, 0xffffff81, v23
	v_mov_b32_e32 v20, 0xffffff82
	v_cndmask_b32_e32 v2, v2, v20, vcc
	v_lshrrev_b32_e32 v20, 23, v0
	v_add3_u32 v28, v28, v2, v20
	v_add_u32_e32 v23, 6, v28
	v_and_b32_e32 v1, 0xfffff, v1
	v_add_u32_e32 v20, v1, v0
	v_cmp_ne_u32_e32 vcc, 0, v23
                                        ; implicit-def: $vgpr0_vgpr1
                                        ; implicit-def: $vgpr2
	s_and_saveexec_b64 s[28:29], vcc
	s_xor_b64 s[28:29], exec, s[28:29]
; %bb.7221:                             ;   in Loop: Header=BB6_7203 Depth=3
	v_cmp_lt_u64_e32 vcc, s[88:89], v[20:21]
	v_add_u32_e32 v0, 7, v28
	v_cndmask_b32_e32 v2, v23, v0, vcc
	v_cndmask_b32_e64 v0, 0, 1, vcc
	v_lshrrev_b64 v[0:1], v0, v[20:21]
; %bb.7222:                             ;   in Loop: Header=BB6_7203 Depth=3
	s_andn2_saveexec_b64 s[28:29], s[28:29]
; %bb.7223:                             ;   in Loop: Header=BB6_7203 Depth=3
	v_mov_b32_e32 v0, v20
	v_bfe_u32 v2, v20, 23, 1
	v_mov_b32_e32 v1, v21
; %bb.7224:                             ;   in Loop: Header=BB6_7203 Depth=3
	s_or_b64 exec, exec, s[28:29]
	v_lshrrev_b64 v[0:1], 20, v[0:1]
	v_cmp_gt_i32_e32 vcc, 16, v2
	v_cndmask_b32_e32 v1, 0, v1, vcc
	v_cndmask_b32_e32 v0, 7, v0, vcc
	v_cmp_eq_u64_e64 s[28:29], 0, v[0:1]
	v_min_i32_e32 v1, 15, v2
	v_lshlrev_b32_e32 v1, 3, v1
	v_cmp_eq_u32_e32 vcc, 0, v2
	v_and_b32_e32 v1, 0xf8, v1
	v_and_or_b32 v0, v0, 7, v1
	s_and_b64 s[28:29], vcc, s[28:29]
	v_cndmask_b32_e64 v0, v0, 0, s[28:29]
	v_or_b32_e32 v0, v0, v22
	buffer_store_dword v0, off, s[0:3], s33 offset:96 ; 4-byte Folded Spill
.LBB6_7225:                             ;   in Loop: Header=BB6_7203 Depth=3
	s_or_b64 exec, exec, s[36:37]
                                        ; implicit-def: $vgpr22
.LBB6_7226:                             ;   in Loop: Header=BB6_7203 Depth=3
	s_andn2_saveexec_b64 s[28:29], s[34:35]
	s_cbranch_execz .LBB6_7228
; %bb.7227:                             ;   in Loop: Header=BB6_7203 Depth=3
	v_or_b32_e32 v0, 0x7e, v22
	buffer_store_dword v0, off, s[0:3], s33 offset:96 ; 4-byte Folded Spill
.LBB6_7228:                             ;   in Loop: Header=BB6_7203 Depth=3
	s_or_b64 exec, exec, s[28:29]
                                        ; implicit-def: $vgpr0
.LBB6_7229:                             ;   in Loop: Header=BB6_7203 Depth=3
	s_andn2_saveexec_b64 s[28:29], s[30:31]
	s_cbranch_execz .LBB6_7231
; %bb.7230:                             ;   in Loop: Header=BB6_7203 Depth=3
	v_or_b32_sdwa v0, v0, s81 dst_sel:DWORD dst_unused:UNUSED_PAD src0_sel:BYTE_3 src1_sel:DWORD
	buffer_store_dword v0, off, s[0:3], s33 offset:96 ; 4-byte Folded Spill
.LBB6_7231:                             ;   in Loop: Header=BB6_7203 Depth=3
	s_or_b64 exec, exec, s[28:29]
	v_lshrrev_b16_e32 v0, 8, v48
	v_cmp_ne_u16_e32 vcc, 0, v0
	v_mov_b32_e32 v1, 0
	v_mov_b32_e32 v2, 0
	s_and_saveexec_b64 s[28:29], vcc
	s_cbranch_execz .LBB6_7237
; %bb.7232:                             ;   in Loop: Header=BB6_7203 Depth=3
	v_cmp_ne_u16_e32 vcc, s80, v0
	v_bfrev_b32_e32 v2, 1
	s_and_saveexec_b64 s[30:31], vcc
	s_cbranch_execz .LBB6_7236
; %bb.7233:                             ;   in Loop: Header=BB6_7203 Depth=3
	v_and_b32_e32 v20, 0x7f, v0
	v_cmp_ne_u32_e32 vcc, s81, v20
	v_mov_b32_e32 v2, 0x7f800001
	s_and_saveexec_b64 s[34:35], vcc
	s_cbranch_execz .LBB6_7235
; %bb.7234:                             ;   in Loop: Header=BB6_7203 Depth=3
	v_and_b32_e32 v2, 7, v0
	v_lshrrev_b32_e32 v28, 3, v20
	v_cmp_gt_u32_e32 vcc, 8, v20
	v_ffbh_u32_e32 v20, v2
	v_min_u32_e32 v20, 32, v20
	v_subrev_u32_e32 v22, 28, v20
	v_lshlrev_b64 v[22:23], v22, v[0:1]
	v_sub_u32_e32 v0, 29, v20
	v_and_b32_e32 v20, 7, v22
	v_cndmask_b32_e32 v0, v28, v0, vcc
	v_cndmask_b32_e32 v2, v2, v20, vcc
	v_lshlrev_b32_e32 v20, 16, v48
	v_bfrev_b32_e32 v22, 60
	v_lshlrev_b32_e32 v2, 20, v2
	v_and_b32_e32 v20, 0x80000000, v20
	v_lshl_add_u32 v0, v0, 23, v22
	v_or3_b32 v2, v20, v0, v2
.LBB6_7235:                             ;   in Loop: Header=BB6_7203 Depth=3
	s_or_b64 exec, exec, s[34:35]
.LBB6_7236:                             ;   in Loop: Header=BB6_7203 Depth=3
	s_or_b64 exec, exec, s[30:31]
.LBB6_7237:                             ;   in Loop: Header=BB6_7203 Depth=3
	s_or_b64 exec, exec, s[28:29]
	v_lshrrev_b16_e32 v0, 8, v36
	v_cmp_ne_u16_e32 vcc, 0, v0
	s_and_saveexec_b64 s[28:29], vcc
	s_cbranch_execz .LBB6_7243
; %bb.7238:                             ;   in Loop: Header=BB6_7203 Depth=3
	v_cmp_ne_u16_e32 vcc, s80, v0
	v_bfrev_b32_e32 v1, 1
	s_and_saveexec_b64 s[30:31], vcc
	s_cbranch_execz .LBB6_7242
; %bb.7239:                             ;   in Loop: Header=BB6_7203 Depth=3
	v_and_b32_e32 v20, 0x7f, v0
	v_cmp_ne_u32_e32 vcc, s81, v20
	v_mov_b32_e32 v1, 0x7f800001
	s_and_saveexec_b64 s[34:35], vcc
	s_cbranch_execz .LBB6_7241
; %bb.7240:                             ;   in Loop: Header=BB6_7203 Depth=3
	v_and_b32_e32 v22, 7, v0
	v_ffbh_u32_e32 v1, v22
	v_lshrrev_b32_e32 v23, 3, v20
	v_cmp_gt_u32_e32 vcc, 8, v20
	v_min_u32_e32 v20, 32, v1
	v_subrev_u32_e32 v1, 28, v20
	v_lshlrev_b64 v[0:1], v1, v[0:1]
	v_sub_u32_e32 v1, 29, v20
	v_and_b32_e32 v0, 7, v0
	v_cndmask_b32_e32 v1, v23, v1, vcc
	v_cndmask_b32_e32 v0, v22, v0, vcc
	v_lshlrev_b32_e32 v20, 16, v36
	v_bfrev_b32_e32 v22, 60
	v_lshlrev_b32_e32 v0, 20, v0
	v_and_b32_e32 v20, 0x80000000, v20
	v_lshl_add_u32 v1, v1, 23, v22
	v_or3_b32 v1, v20, v1, v0
.LBB6_7241:                             ;   in Loop: Header=BB6_7203 Depth=3
	s_or_b64 exec, exec, s[34:35]
.LBB6_7242:                             ;   in Loop: Header=BB6_7203 Depth=3
	s_or_b64 exec, exec, s[30:31]
.LBB6_7243:                             ;   in Loop: Header=BB6_7203 Depth=3
	s_or_b64 exec, exec, s[28:29]
	v_mul_f32_e32 v0, v2, v1
	v_and_b32_e32 v20, 0x7f800000, v0
	v_cmp_ne_u64_e32 vcc, s[62:63], v[20:21]
                                        ; implicit-def: $vgpr1
                                        ; kill: killed $vgpr1
	s_and_saveexec_b64 s[28:29], vcc
	s_xor_b64 s[30:31], exec, s[28:29]
	s_cbranch_execz .LBB6_7257
; %bb.7244:                             ;   in Loop: Header=BB6_7203 Depth=3
	v_and_b32_e32 v20, 0x7fffffff, v0
	v_cmp_gt_u64_e32 vcc, s[78:79], v[20:21]
	v_and_b32_sdwa v22, v0, s80 dst_sel:DWORD dst_unused:UNUSED_PAD src0_sel:BYTE_3 src1_sel:DWORD
                                        ; implicit-def: $vgpr1
                                        ; kill: killed $vgpr1
	s_and_saveexec_b64 s[28:29], vcc
	s_xor_b64 s[34:35], exec, s[28:29]
	s_cbranch_execz .LBB6_7254
; %bb.7245:                             ;   in Loop: Header=BB6_7203 Depth=3
	v_mov_b32_e32 v1, 0
	v_cmp_ne_u32_e32 vcc, 0, v0
	buffer_store_dword v1, off, s[0:3], s33 offset:100 ; 4-byte Folded Spill
	s_and_saveexec_b64 s[36:37], vcc
	s_cbranch_execz .LBB6_7253
; %bb.7246:                             ;   in Loop: Header=BB6_7203 Depth=3
	v_bfe_u32 v23, v0, 23, 8
	v_and_b32_e32 v1, 0x7fffff, v0
	v_cmp_gt_u32_e64 s[28:29], s47, v23
	v_sub_u32_e32 v0, 0x79, v23
	v_cmp_eq_u32_e32 vcc, 0, v23
	v_cndmask_b32_e64 v0, 0, v0, s[28:29]
	v_mov_b32_e32 v20, 0x78
	v_cndmask_b32_e32 v28, v0, v20, vcc
	v_or_b32_e32 v2, 0x800000, v1
	v_add_u32_e32 v0, 20, v28
	v_cndmask_b32_e32 v20, v2, v1, vcc
	v_lshlrev_b64 v[0:1], v0, -1
	v_add_u32_e32 v2, 19, v28
	v_lshlrev_b64 v[29:30], v2, 1
	v_bfi_b32 v1, v1, 0, 0
	v_bfi_b32 v0, v0, 0, v20
	v_cmp_eq_u64_e64 s[28:29], v[0:1], v[29:30]
	v_lshrrev_b64 v[0:1], v28, v[20:21]
	v_mov_b32_e32 v2, v1
	v_mov_b32_e32 v1, v0
	s_and_saveexec_b64 s[38:39], s[28:29]
; %bb.7247:                             ;   in Loop: Header=BB6_7203 Depth=3
	v_bfe_u32 v1, v0, 20, 1
	v_add_co_u32_e64 v1, s[28:29], v0, v1
	v_add_co_u32_e64 v1, s[28:29], -1, v1
; %bb.7248:                             ;   in Loop: Header=BB6_7203 Depth=3
	s_or_b64 exec, exec, s[38:39]
	v_add_u32_e32 v2, 0xffffff81, v23
	v_mov_b32_e32 v20, 0xffffff82
	v_cndmask_b32_e32 v2, v2, v20, vcc
	v_lshrrev_b32_e32 v20, 23, v0
	v_add3_u32 v28, v28, v2, v20
	v_add_u32_e32 v23, 6, v28
	v_and_b32_e32 v1, 0xfffff, v1
	v_add_u32_e32 v20, v1, v0
	v_cmp_ne_u32_e32 vcc, 0, v23
                                        ; implicit-def: $vgpr0_vgpr1
                                        ; implicit-def: $vgpr2
	s_and_saveexec_b64 s[28:29], vcc
	s_xor_b64 s[28:29], exec, s[28:29]
; %bb.7249:                             ;   in Loop: Header=BB6_7203 Depth=3
	v_cmp_lt_u64_e32 vcc, s[88:89], v[20:21]
	v_add_u32_e32 v0, 7, v28
	v_cndmask_b32_e32 v2, v23, v0, vcc
	v_cndmask_b32_e64 v0, 0, 1, vcc
	v_lshrrev_b64 v[0:1], v0, v[20:21]
; %bb.7250:                             ;   in Loop: Header=BB6_7203 Depth=3
	s_andn2_saveexec_b64 s[28:29], s[28:29]
; %bb.7251:                             ;   in Loop: Header=BB6_7203 Depth=3
	v_mov_b32_e32 v0, v20
	v_bfe_u32 v2, v20, 23, 1
	v_mov_b32_e32 v1, v21
; %bb.7252:                             ;   in Loop: Header=BB6_7203 Depth=3
	s_or_b64 exec, exec, s[28:29]
	v_lshrrev_b64 v[0:1], 20, v[0:1]
	v_cmp_gt_i32_e32 vcc, 16, v2
	v_cndmask_b32_e32 v1, 0, v1, vcc
	v_cndmask_b32_e32 v0, 7, v0, vcc
	v_cmp_eq_u64_e64 s[28:29], 0, v[0:1]
	v_min_i32_e32 v1, 15, v2
	v_lshlrev_b32_e32 v1, 3, v1
	v_cmp_eq_u32_e32 vcc, 0, v2
	v_and_b32_e32 v1, 0xf8, v1
	v_and_or_b32 v0, v0, 7, v1
	s_and_b64 s[28:29], vcc, s[28:29]
	v_cndmask_b32_e64 v0, v0, 0, s[28:29]
	v_or_b32_e32 v0, v0, v22
	buffer_store_dword v0, off, s[0:3], s33 offset:100 ; 4-byte Folded Spill
.LBB6_7253:                             ;   in Loop: Header=BB6_7203 Depth=3
	s_or_b64 exec, exec, s[36:37]
                                        ; implicit-def: $vgpr22
.LBB6_7254:                             ;   in Loop: Header=BB6_7203 Depth=3
	s_andn2_saveexec_b64 s[28:29], s[34:35]
	s_cbranch_execz .LBB6_7256
; %bb.7255:                             ;   in Loop: Header=BB6_7203 Depth=3
	v_or_b32_e32 v0, 0x7e, v22
	buffer_store_dword v0, off, s[0:3], s33 offset:100 ; 4-byte Folded Spill
.LBB6_7256:                             ;   in Loop: Header=BB6_7203 Depth=3
	s_or_b64 exec, exec, s[28:29]
                                        ; implicit-def: $vgpr0
.LBB6_7257:                             ;   in Loop: Header=BB6_7203 Depth=3
	s_andn2_saveexec_b64 s[28:29], s[30:31]
	s_cbranch_execz .LBB6_7259
; %bb.7258:                             ;   in Loop: Header=BB6_7203 Depth=3
	v_or_b32_sdwa v0, v0, s81 dst_sel:DWORD dst_unused:UNUSED_PAD src0_sel:BYTE_3 src1_sel:DWORD
	buffer_store_dword v0, off, s[0:3], s33 offset:100 ; 4-byte Folded Spill
.LBB6_7259:                             ;   in Loop: Header=BB6_7203 Depth=3
	s_or_b64 exec, exec, s[28:29]
	v_lshrrev_b32_e32 v0, 16, v48
	v_cmp_ne_u16_sdwa vcc, v0, v21 src0_sel:BYTE_0 src1_sel:DWORD
	v_mov_b32_e32 v1, 0
	v_mov_b32_e32 v2, 0
	s_and_saveexec_b64 s[28:29], vcc
	s_cbranch_execz .LBB6_7265
; %bb.7260:                             ;   in Loop: Header=BB6_7203 Depth=3
	v_cmp_ne_u16_sdwa vcc, v0, s80 src0_sel:BYTE_0 src1_sel:DWORD
	v_bfrev_b32_e32 v2, 1
	s_and_saveexec_b64 s[30:31], vcc
	s_cbranch_execz .LBB6_7264
; %bb.7261:                             ;   in Loop: Header=BB6_7203 Depth=3
	v_bfe_u32 v20, v48, 16, 7
	v_cmp_ne_u32_e32 vcc, s81, v20
	v_mov_b32_e32 v2, 0x7f800001
	s_and_saveexec_b64 s[34:35], vcc
	s_cbranch_execz .LBB6_7263
; %bb.7262:                             ;   in Loop: Header=BB6_7203 Depth=3
	v_and_b32_e32 v2, 7, v0
	v_lshrrev_b32_e32 v28, 3, v20
	v_cmp_gt_u32_e32 vcc, 8, v20
	v_ffbh_u32_e32 v20, v2
	v_min_u32_e32 v20, 32, v20
	v_subrev_u32_e32 v22, 28, v20
	v_lshlrev_b64 v[22:23], v22, v[0:1]
	v_sub_u32_e32 v20, 29, v20
	v_and_b32_e32 v22, 7, v22
	v_cndmask_b32_e32 v20, v28, v20, vcc
	v_cndmask_b32_e32 v2, v2, v22, vcc
	v_lshlrev_b32_e32 v0, 24, v0
	v_bfrev_b32_e32 v22, 60
	v_lshlrev_b32_e32 v2, 20, v2
	v_and_b32_e32 v0, 0x80000000, v0
	v_lshl_add_u32 v20, v20, 23, v22
	v_or3_b32 v2, v0, v20, v2
.LBB6_7263:                             ;   in Loop: Header=BB6_7203 Depth=3
	s_or_b64 exec, exec, s[34:35]
.LBB6_7264:                             ;   in Loop: Header=BB6_7203 Depth=3
	s_or_b64 exec, exec, s[30:31]
.LBB6_7265:                             ;   in Loop: Header=BB6_7203 Depth=3
	s_or_b64 exec, exec, s[28:29]
	v_lshrrev_b32_e32 v0, 16, v36
	v_cmp_ne_u16_sdwa vcc, v0, v21 src0_sel:BYTE_0 src1_sel:DWORD
	s_and_saveexec_b64 s[28:29], vcc
	s_cbranch_execz .LBB6_7271
; %bb.7266:                             ;   in Loop: Header=BB6_7203 Depth=3
	v_cmp_ne_u16_sdwa vcc, v0, s80 src0_sel:BYTE_0 src1_sel:DWORD
	v_bfrev_b32_e32 v1, 1
	s_and_saveexec_b64 s[30:31], vcc
	s_cbranch_execz .LBB6_7270
; %bb.7267:                             ;   in Loop: Header=BB6_7203 Depth=3
	v_bfe_u32 v20, v36, 16, 7
	v_cmp_ne_u32_e32 vcc, s81, v20
	v_mov_b32_e32 v1, 0x7f800001
	s_and_saveexec_b64 s[34:35], vcc
	s_cbranch_execz .LBB6_7269
; %bb.7268:                             ;   in Loop: Header=BB6_7203 Depth=3
	v_and_b32_e32 v22, 7, v0
	v_ffbh_u32_e32 v1, v22
	v_lshrrev_b32_e32 v23, 3, v20
	v_cmp_gt_u32_e32 vcc, 8, v20
	v_min_u32_e32 v20, 32, v1
	v_subrev_u32_e32 v1, 28, v20
	v_lshlrev_b64 v[0:1], v1, v[0:1]
	v_sub_u32_e32 v1, 29, v20
	v_and_b32_e32 v0, 7, v0
	v_cndmask_b32_e32 v1, v23, v1, vcc
	v_cndmask_b32_e32 v0, v22, v0, vcc
	v_lshlrev_b32_e32 v20, 8, v36
	v_bfrev_b32_e32 v22, 60
	v_lshlrev_b32_e32 v0, 20, v0
	v_and_b32_e32 v20, 0x80000000, v20
	v_lshl_add_u32 v1, v1, 23, v22
	v_or3_b32 v1, v20, v1, v0
.LBB6_7269:                             ;   in Loop: Header=BB6_7203 Depth=3
	s_or_b64 exec, exec, s[34:35]
.LBB6_7270:                             ;   in Loop: Header=BB6_7203 Depth=3
	s_or_b64 exec, exec, s[30:31]
.LBB6_7271:                             ;   in Loop: Header=BB6_7203 Depth=3
	s_or_b64 exec, exec, s[28:29]
	v_mul_f32_e32 v0, v2, v1
	v_and_b32_e32 v20, 0x7f800000, v0
	v_cmp_ne_u64_e32 vcc, s[62:63], v[20:21]
                                        ; implicit-def: $vgpr1
                                        ; kill: killed $vgpr1
	s_and_saveexec_b64 s[28:29], vcc
	s_xor_b64 s[30:31], exec, s[28:29]
	s_cbranch_execz .LBB6_7285
; %bb.7272:                             ;   in Loop: Header=BB6_7203 Depth=3
	v_and_b32_e32 v20, 0x7fffffff, v0
	v_cmp_gt_u64_e32 vcc, s[78:79], v[20:21]
	v_and_b32_sdwa v22, v0, s80 dst_sel:DWORD dst_unused:UNUSED_PAD src0_sel:BYTE_3 src1_sel:DWORD
                                        ; implicit-def: $vgpr1
                                        ; kill: killed $vgpr1
	s_and_saveexec_b64 s[28:29], vcc
	s_xor_b64 s[34:35], exec, s[28:29]
	s_cbranch_execz .LBB6_7282
; %bb.7273:                             ;   in Loop: Header=BB6_7203 Depth=3
	v_mov_b32_e32 v1, 0
	v_cmp_ne_u32_e32 vcc, 0, v0
	buffer_store_dword v1, off, s[0:3], s33 offset:104 ; 4-byte Folded Spill
	s_and_saveexec_b64 s[36:37], vcc
	s_cbranch_execz .LBB6_7281
; %bb.7274:                             ;   in Loop: Header=BB6_7203 Depth=3
	v_bfe_u32 v23, v0, 23, 8
	v_and_b32_e32 v1, 0x7fffff, v0
	v_cmp_gt_u32_e64 s[28:29], s47, v23
	v_sub_u32_e32 v0, 0x79, v23
	v_cmp_eq_u32_e32 vcc, 0, v23
	v_cndmask_b32_e64 v0, 0, v0, s[28:29]
	v_mov_b32_e32 v20, 0x78
	v_cndmask_b32_e32 v28, v0, v20, vcc
	v_or_b32_e32 v2, 0x800000, v1
	v_add_u32_e32 v0, 20, v28
	v_cndmask_b32_e32 v20, v2, v1, vcc
	v_lshlrev_b64 v[0:1], v0, -1
	v_add_u32_e32 v2, 19, v28
	v_lshlrev_b64 v[29:30], v2, 1
	v_bfi_b32 v1, v1, 0, 0
	v_bfi_b32 v0, v0, 0, v20
	v_cmp_eq_u64_e64 s[28:29], v[0:1], v[29:30]
	v_lshrrev_b64 v[0:1], v28, v[20:21]
	v_mov_b32_e32 v2, v1
	v_mov_b32_e32 v1, v0
	s_and_saveexec_b64 s[38:39], s[28:29]
; %bb.7275:                             ;   in Loop: Header=BB6_7203 Depth=3
	v_bfe_u32 v1, v0, 20, 1
	v_add_co_u32_e64 v1, s[28:29], v0, v1
	v_add_co_u32_e64 v1, s[28:29], -1, v1
; %bb.7276:                             ;   in Loop: Header=BB6_7203 Depth=3
	s_or_b64 exec, exec, s[38:39]
	v_add_u32_e32 v2, 0xffffff81, v23
	v_mov_b32_e32 v20, 0xffffff82
	v_cndmask_b32_e32 v2, v2, v20, vcc
	v_lshrrev_b32_e32 v20, 23, v0
	v_add3_u32 v28, v28, v2, v20
	v_add_u32_e32 v23, 6, v28
	v_and_b32_e32 v1, 0xfffff, v1
	v_add_u32_e32 v20, v1, v0
	v_cmp_ne_u32_e32 vcc, 0, v23
                                        ; implicit-def: $vgpr0_vgpr1
                                        ; implicit-def: $vgpr2
	s_and_saveexec_b64 s[28:29], vcc
	s_xor_b64 s[28:29], exec, s[28:29]
; %bb.7277:                             ;   in Loop: Header=BB6_7203 Depth=3
	v_cmp_lt_u64_e32 vcc, s[88:89], v[20:21]
	v_add_u32_e32 v0, 7, v28
	v_cndmask_b32_e32 v2, v23, v0, vcc
	v_cndmask_b32_e64 v0, 0, 1, vcc
	v_lshrrev_b64 v[0:1], v0, v[20:21]
; %bb.7278:                             ;   in Loop: Header=BB6_7203 Depth=3
	s_andn2_saveexec_b64 s[28:29], s[28:29]
; %bb.7279:                             ;   in Loop: Header=BB6_7203 Depth=3
	v_mov_b32_e32 v0, v20
	v_bfe_u32 v2, v20, 23, 1
	v_mov_b32_e32 v1, v21
; %bb.7280:                             ;   in Loop: Header=BB6_7203 Depth=3
	s_or_b64 exec, exec, s[28:29]
	v_lshrrev_b64 v[0:1], 20, v[0:1]
	v_cmp_gt_i32_e32 vcc, 16, v2
	v_cndmask_b32_e32 v1, 0, v1, vcc
	v_cndmask_b32_e32 v0, 7, v0, vcc
	v_cmp_eq_u64_e64 s[28:29], 0, v[0:1]
	v_min_i32_e32 v1, 15, v2
	v_lshlrev_b32_e32 v1, 3, v1
	v_cmp_eq_u32_e32 vcc, 0, v2
	v_and_b32_e32 v1, 0xf8, v1
	v_and_or_b32 v0, v0, 7, v1
	s_and_b64 s[28:29], vcc, s[28:29]
	v_cndmask_b32_e64 v0, v0, 0, s[28:29]
	v_or_b32_e32 v0, v0, v22
	buffer_store_dword v0, off, s[0:3], s33 offset:104 ; 4-byte Folded Spill
.LBB6_7281:                             ;   in Loop: Header=BB6_7203 Depth=3
	s_or_b64 exec, exec, s[36:37]
                                        ; implicit-def: $vgpr22
.LBB6_7282:                             ;   in Loop: Header=BB6_7203 Depth=3
	s_andn2_saveexec_b64 s[28:29], s[34:35]
	s_cbranch_execz .LBB6_7284
; %bb.7283:                             ;   in Loop: Header=BB6_7203 Depth=3
	v_or_b32_e32 v0, 0x7e, v22
	buffer_store_dword v0, off, s[0:3], s33 offset:104 ; 4-byte Folded Spill
.LBB6_7284:                             ;   in Loop: Header=BB6_7203 Depth=3
	s_or_b64 exec, exec, s[28:29]
                                        ; implicit-def: $vgpr0
.LBB6_7285:                             ;   in Loop: Header=BB6_7203 Depth=3
	s_andn2_saveexec_b64 s[28:29], s[30:31]
	s_cbranch_execz .LBB6_7287
; %bb.7286:                             ;   in Loop: Header=BB6_7203 Depth=3
	v_or_b32_sdwa v0, v0, s81 dst_sel:DWORD dst_unused:UNUSED_PAD src0_sel:BYTE_3 src1_sel:DWORD
	buffer_store_dword v0, off, s[0:3], s33 offset:104 ; 4-byte Folded Spill
.LBB6_7287:                             ;   in Loop: Header=BB6_7203 Depth=3
	s_or_b64 exec, exec, s[28:29]
	v_cmp_lt_u32_e32 vcc, s57, v48
	v_mov_b32_e32 v1, 0
	v_mov_b32_e32 v2, 0
	s_and_saveexec_b64 s[28:29], vcc
	s_cbranch_execz .LBB6_7293
; %bb.7288:                             ;   in Loop: Header=BB6_7203 Depth=3
	v_lshrrev_b32_e32 v0, 24, v48
	v_cmp_ne_u32_e32 vcc, s80, v0
	v_bfrev_b32_e32 v2, 1
	s_and_saveexec_b64 s[30:31], vcc
	s_cbranch_execz .LBB6_7292
; %bb.7289:                             ;   in Loop: Header=BB6_7203 Depth=3
	v_bfe_u32 v20, v48, 24, 7
	v_cmp_ne_u32_e32 vcc, s81, v20
	v_mov_b32_e32 v2, 0x7f800001
	s_and_saveexec_b64 s[34:35], vcc
	s_cbranch_execz .LBB6_7291
; %bb.7290:                             ;   in Loop: Header=BB6_7203 Depth=3
	v_and_b32_e32 v2, 7, v0
	v_lshrrev_b32_e32 v28, 3, v20
	v_cmp_gt_u32_e32 vcc, 8, v20
	v_ffbh_u32_e32 v20, v2
	v_min_u32_e32 v20, 32, v20
	v_subrev_u32_e32 v22, 28, v20
	v_lshlrev_b64 v[22:23], v22, v[0:1]
	v_sub_u32_e32 v20, 29, v20
	v_and_b32_e32 v22, 7, v22
	v_cndmask_b32_e32 v20, v28, v20, vcc
	v_cndmask_b32_e32 v2, v2, v22, vcc
	v_lshlrev_b32_e32 v0, 24, v0
	v_bfrev_b32_e32 v22, 60
	v_lshlrev_b32_e32 v2, 20, v2
	v_and_b32_e32 v0, 0x80000000, v0
	v_lshl_add_u32 v20, v20, 23, v22
	v_or3_b32 v2, v0, v20, v2
.LBB6_7291:                             ;   in Loop: Header=BB6_7203 Depth=3
	s_or_b64 exec, exec, s[34:35]
.LBB6_7292:                             ;   in Loop: Header=BB6_7203 Depth=3
	s_or_b64 exec, exec, s[30:31]
.LBB6_7293:                             ;   in Loop: Header=BB6_7203 Depth=3
	s_or_b64 exec, exec, s[28:29]
	v_cmp_lt_u32_e32 vcc, s57, v36
	s_and_saveexec_b64 s[28:29], vcc
	s_cbranch_execz .LBB6_7299
; %bb.7294:                             ;   in Loop: Header=BB6_7203 Depth=3
	v_lshrrev_b32_e32 v0, 24, v36
	v_cmp_ne_u32_e32 vcc, s80, v0
	v_bfrev_b32_e32 v1, 1
	s_and_saveexec_b64 s[30:31], vcc
	s_cbranch_execz .LBB6_7298
; %bb.7295:                             ;   in Loop: Header=BB6_7203 Depth=3
	v_bfe_u32 v20, v36, 24, 7
	v_cmp_ne_u32_e32 vcc, s81, v20
	v_mov_b32_e32 v1, 0x7f800001
	s_and_saveexec_b64 s[34:35], vcc
	s_cbranch_execz .LBB6_7297
; %bb.7296:                             ;   in Loop: Header=BB6_7203 Depth=3
	v_and_b32_e32 v1, 7, v0
	v_lshrrev_b32_e32 v28, 3, v20
	v_cmp_gt_u32_e32 vcc, 8, v20
	v_ffbh_u32_e32 v20, v1
	v_min_u32_e32 v20, 32, v20
	v_subrev_u32_e32 v22, 28, v20
	v_lshlrev_b64 v[22:23], v22, v[0:1]
	v_sub_u32_e32 v20, 29, v20
	v_and_b32_e32 v22, 7, v22
	v_cndmask_b32_e32 v20, v28, v20, vcc
	v_cndmask_b32_e32 v1, v1, v22, vcc
	v_lshlrev_b32_e32 v0, 24, v0
	v_bfrev_b32_e32 v22, 60
	v_lshlrev_b32_e32 v1, 20, v1
	v_and_b32_e32 v0, 0x80000000, v0
	v_lshl_add_u32 v20, v20, 23, v22
	v_or3_b32 v1, v0, v20, v1
.LBB6_7297:                             ;   in Loop: Header=BB6_7203 Depth=3
	s_or_b64 exec, exec, s[34:35]
.LBB6_7298:                             ;   in Loop: Header=BB6_7203 Depth=3
	s_or_b64 exec, exec, s[30:31]
.LBB6_7299:                             ;   in Loop: Header=BB6_7203 Depth=3
	s_or_b64 exec, exec, s[28:29]
	v_mul_f32_e32 v0, v2, v1
	v_and_b32_e32 v20, 0x7f800000, v0
	v_cmp_ne_u64_e32 vcc, s[62:63], v[20:21]
                                        ; implicit-def: $vgpr1
                                        ; kill: killed $vgpr1
	s_and_saveexec_b64 s[28:29], vcc
	s_xor_b64 s[30:31], exec, s[28:29]
	s_cbranch_execz .LBB6_7313
; %bb.7300:                             ;   in Loop: Header=BB6_7203 Depth=3
	v_and_b32_e32 v20, 0x7fffffff, v0
	v_cmp_gt_u64_e32 vcc, s[78:79], v[20:21]
	v_and_b32_sdwa v22, v0, s80 dst_sel:DWORD dst_unused:UNUSED_PAD src0_sel:BYTE_3 src1_sel:DWORD
                                        ; implicit-def: $vgpr1
                                        ; kill: killed $vgpr1
	s_and_saveexec_b64 s[28:29], vcc
	s_xor_b64 s[34:35], exec, s[28:29]
	s_cbranch_execz .LBB6_7310
; %bb.7301:                             ;   in Loop: Header=BB6_7203 Depth=3
	v_mov_b32_e32 v1, 0
	v_cmp_ne_u32_e32 vcc, 0, v0
	buffer_store_dword v1, off, s[0:3], s33 offset:108 ; 4-byte Folded Spill
	s_and_saveexec_b64 s[36:37], vcc
	s_cbranch_execz .LBB6_7309
; %bb.7302:                             ;   in Loop: Header=BB6_7203 Depth=3
	v_bfe_u32 v23, v0, 23, 8
	v_and_b32_e32 v1, 0x7fffff, v0
	v_cmp_gt_u32_e64 s[28:29], s47, v23
	v_sub_u32_e32 v0, 0x79, v23
	v_cmp_eq_u32_e32 vcc, 0, v23
	v_cndmask_b32_e64 v0, 0, v0, s[28:29]
	v_mov_b32_e32 v20, 0x78
	v_cndmask_b32_e32 v28, v0, v20, vcc
	v_or_b32_e32 v2, 0x800000, v1
	v_add_u32_e32 v0, 20, v28
	v_cndmask_b32_e32 v20, v2, v1, vcc
	v_lshlrev_b64 v[0:1], v0, -1
	v_add_u32_e32 v2, 19, v28
	v_lshlrev_b64 v[29:30], v2, 1
	v_bfi_b32 v1, v1, 0, 0
	v_bfi_b32 v0, v0, 0, v20
	v_cmp_eq_u64_e64 s[28:29], v[0:1], v[29:30]
	v_lshrrev_b64 v[0:1], v28, v[20:21]
	v_mov_b32_e32 v2, v1
	v_mov_b32_e32 v1, v0
	s_and_saveexec_b64 s[38:39], s[28:29]
; %bb.7303:                             ;   in Loop: Header=BB6_7203 Depth=3
	v_bfe_u32 v1, v0, 20, 1
	v_add_co_u32_e64 v1, s[28:29], v0, v1
	v_add_co_u32_e64 v1, s[28:29], -1, v1
; %bb.7304:                             ;   in Loop: Header=BB6_7203 Depth=3
	s_or_b64 exec, exec, s[38:39]
	v_add_u32_e32 v2, 0xffffff81, v23
	v_mov_b32_e32 v20, 0xffffff82
	v_cndmask_b32_e32 v2, v2, v20, vcc
	v_lshrrev_b32_e32 v20, 23, v0
	v_add3_u32 v28, v28, v2, v20
	v_add_u32_e32 v23, 6, v28
	v_and_b32_e32 v1, 0xfffff, v1
	v_add_u32_e32 v20, v1, v0
	v_cmp_ne_u32_e32 vcc, 0, v23
                                        ; implicit-def: $vgpr0_vgpr1
                                        ; implicit-def: $vgpr2
	s_and_saveexec_b64 s[28:29], vcc
	s_xor_b64 s[28:29], exec, s[28:29]
; %bb.7305:                             ;   in Loop: Header=BB6_7203 Depth=3
	v_cmp_lt_u64_e32 vcc, s[88:89], v[20:21]
	v_add_u32_e32 v0, 7, v28
	v_cndmask_b32_e32 v2, v23, v0, vcc
	v_cndmask_b32_e64 v0, 0, 1, vcc
	v_lshrrev_b64 v[0:1], v0, v[20:21]
; %bb.7306:                             ;   in Loop: Header=BB6_7203 Depth=3
	s_andn2_saveexec_b64 s[28:29], s[28:29]
; %bb.7307:                             ;   in Loop: Header=BB6_7203 Depth=3
	v_mov_b32_e32 v0, v20
	v_bfe_u32 v2, v20, 23, 1
	v_mov_b32_e32 v1, v21
; %bb.7308:                             ;   in Loop: Header=BB6_7203 Depth=3
	s_or_b64 exec, exec, s[28:29]
	v_lshrrev_b64 v[0:1], 20, v[0:1]
	v_cmp_gt_i32_e32 vcc, 16, v2
	v_cndmask_b32_e32 v1, 0, v1, vcc
	v_cndmask_b32_e32 v0, 7, v0, vcc
	v_cmp_eq_u64_e64 s[28:29], 0, v[0:1]
	v_min_i32_e32 v1, 15, v2
	v_lshlrev_b32_e32 v1, 3, v1
	v_cmp_eq_u32_e32 vcc, 0, v2
	v_and_b32_e32 v1, 0xf8, v1
	v_and_or_b32 v0, v0, 7, v1
	s_and_b64 s[28:29], vcc, s[28:29]
	v_cndmask_b32_e64 v0, v0, 0, s[28:29]
	v_or_b32_e32 v0, v0, v22
	buffer_store_dword v0, off, s[0:3], s33 offset:108 ; 4-byte Folded Spill
.LBB6_7309:                             ;   in Loop: Header=BB6_7203 Depth=3
	s_or_b64 exec, exec, s[36:37]
                                        ; implicit-def: $vgpr22
.LBB6_7310:                             ;   in Loop: Header=BB6_7203 Depth=3
	s_andn2_saveexec_b64 s[28:29], s[34:35]
	s_cbranch_execz .LBB6_7312
; %bb.7311:                             ;   in Loop: Header=BB6_7203 Depth=3
	v_or_b32_e32 v0, 0x7e, v22
	buffer_store_dword v0, off, s[0:3], s33 offset:108 ; 4-byte Folded Spill
.LBB6_7312:                             ;   in Loop: Header=BB6_7203 Depth=3
	s_or_b64 exec, exec, s[28:29]
                                        ; implicit-def: $vgpr0
.LBB6_7313:                             ;   in Loop: Header=BB6_7203 Depth=3
	s_andn2_saveexec_b64 s[28:29], s[30:31]
	s_cbranch_execz .LBB6_7315
; %bb.7314:                             ;   in Loop: Header=BB6_7203 Depth=3
	v_or_b32_sdwa v0, v0, s81 dst_sel:DWORD dst_unused:UNUSED_PAD src0_sel:BYTE_3 src1_sel:DWORD
	buffer_store_dword v0, off, s[0:3], s33 offset:108 ; 4-byte Folded Spill
.LBB6_7315:                             ;   in Loop: Header=BB6_7203 Depth=3
	s_or_b64 exec, exec, s[28:29]
	v_mov_b32_e32 v20, v49
	v_cmp_ne_u16_sdwa vcc, v49, v21 src0_sel:BYTE_0 src1_sel:DWORD
	v_mov_b32_e32 v1, 0
	v_mov_b32_e32 v0, 0
	s_and_saveexec_b64 s[28:29], vcc
	s_cbranch_execz .LBB6_7321
; %bb.7316:                             ;   in Loop: Header=BB6_7203 Depth=3
	v_cmp_ne_u16_sdwa vcc, v49, s80 src0_sel:BYTE_0 src1_sel:DWORD
	v_bfrev_b32_e32 v0, 1
	s_and_saveexec_b64 s[30:31], vcc
	s_cbranch_execz .LBB6_7320
; %bb.7317:                             ;   in Loop: Header=BB6_7203 Depth=3
	v_and_b32_e32 v2, 0x7f, v49
	v_cmp_ne_u32_e32 vcc, s81, v2
	v_mov_b32_e32 v0, 0x7f800001
	s_and_saveexec_b64 s[34:35], vcc
	s_cbranch_execz .LBB6_7319
; %bb.7318:                             ;   in Loop: Header=BB6_7203 Depth=3
	v_and_b32_e32 v0, 7, v49
	v_ffbh_u32_e32 v0, v0
	v_min_u32_e32 v0, 32, v0
	v_lshrrev_b32_e32 v22, 3, v2
	v_cmp_gt_u32_e32 vcc, 8, v2
	v_subrev_u32_e32 v2, 28, v0
	v_sub_u32_e32 v0, 29, v0
	v_cndmask_b32_e32 v2, 0, v2, vcc
	v_cndmask_b32_e32 v0, v22, v0, vcc
	v_lshlrev_b64 v[22:23], v2, v[20:21]
	v_bfrev_b32_e32 v23, 60
	v_lshlrev_b32_e32 v2, 20, v22
	v_lshlrev_b32_e32 v22, 24, v20
	v_and_b32_e32 v2, 0x700000, v2
	v_and_b32_e32 v22, 0x80000000, v22
	v_lshl_add_u32 v0, v0, 23, v23
	v_or3_b32 v0, v22, v0, v2
.LBB6_7319:                             ;   in Loop: Header=BB6_7203 Depth=3
	s_or_b64 exec, exec, s[34:35]
.LBB6_7320:                             ;   in Loop: Header=BB6_7203 Depth=3
	s_or_b64 exec, exec, s[30:31]
.LBB6_7321:                             ;   in Loop: Header=BB6_7203 Depth=3
	s_or_b64 exec, exec, s[28:29]
	v_cmp_ne_u16_sdwa vcc, v37, v21 src0_sel:BYTE_0 src1_sel:DWORD
	s_and_saveexec_b64 s[28:29], vcc
	s_cbranch_execz .LBB6_7327
; %bb.7322:                             ;   in Loop: Header=BB6_7203 Depth=3
	v_cmp_ne_u16_sdwa vcc, v37, s80 src0_sel:BYTE_0 src1_sel:DWORD
	v_bfrev_b32_e32 v1, 1
	s_and_saveexec_b64 s[30:31], vcc
	s_cbranch_execz .LBB6_7326
; %bb.7323:                             ;   in Loop: Header=BB6_7203 Depth=3
	v_and_b32_e32 v2, 0x7f, v37
	v_cmp_ne_u32_e32 vcc, s81, v2
	v_mov_b32_e32 v1, 0x7f800001
	s_and_saveexec_b64 s[34:35], vcc
	s_cbranch_execz .LBB6_7325
; %bb.7324:                             ;   in Loop: Header=BB6_7203 Depth=3
	v_and_b32_e32 v1, 7, v37
	v_ffbh_u32_e32 v1, v1
	v_min_u32_e32 v1, 32, v1
	v_lshrrev_b32_e32 v28, 3, v2
	v_cmp_gt_u32_e32 vcc, 8, v2
	v_subrev_u32_e32 v2, 28, v1
	v_sub_u32_e32 v1, 29, v1
	v_mov_b32_e32 v22, v37
	v_mov_b32_e32 v23, v21
	v_cndmask_b32_e32 v28, v28, v1, vcc
	v_cndmask_b32_e32 v1, 0, v2, vcc
	v_lshlrev_b64 v[1:2], v1, v[22:23]
	v_lshlrev_b32_e32 v2, 24, v22
	v_lshlrev_b32_e32 v1, 20, v1
	v_bfrev_b32_e32 v22, 60
	v_and_b32_e32 v1, 0x700000, v1
	v_and_b32_e32 v2, 0x80000000, v2
	v_lshl_add_u32 v22, v28, 23, v22
	v_or3_b32 v1, v2, v22, v1
.LBB6_7325:                             ;   in Loop: Header=BB6_7203 Depth=3
	s_or_b64 exec, exec, s[34:35]
.LBB6_7326:                             ;   in Loop: Header=BB6_7203 Depth=3
	s_or_b64 exec, exec, s[30:31]
.LBB6_7327:                             ;   in Loop: Header=BB6_7203 Depth=3
	s_or_b64 exec, exec, s[28:29]
	v_mul_f32_e32 v0, v0, v1
	v_and_b32_e32 v1, 0x7f800000, v0
	v_mov_b32_e32 v2, v21
	v_cmp_ne_u64_e32 vcc, s[62:63], v[1:2]
                                        ; implicit-def: $vgpr1
                                        ; kill: killed $vgpr1
	s_and_saveexec_b64 s[28:29], vcc
	s_xor_b64 s[30:31], exec, s[28:29]
	s_cbranch_execz .LBB6_7341
; %bb.7328:                             ;   in Loop: Header=BB6_7203 Depth=3
	v_and_b32_e32 v1, 0x7fffffff, v0
	v_mov_b32_e32 v2, v21
	v_cmp_gt_u64_e32 vcc, s[78:79], v[1:2]
	v_and_b32_sdwa v22, v0, s80 dst_sel:DWORD dst_unused:UNUSED_PAD src0_sel:BYTE_3 src1_sel:DWORD
                                        ; implicit-def: $vgpr1
                                        ; kill: killed $vgpr1
	s_and_saveexec_b64 s[28:29], vcc
	s_xor_b64 s[34:35], exec, s[28:29]
	s_cbranch_execz .LBB6_7338
; %bb.7329:                             ;   in Loop: Header=BB6_7203 Depth=3
	v_mov_b32_e32 v1, 0
	v_cmp_ne_u32_e32 vcc, 0, v0
	buffer_store_dword v1, off, s[0:3], s33 offset:112 ; 4-byte Folded Spill
	s_and_saveexec_b64 s[36:37], vcc
	s_cbranch_execz .LBB6_7337
; %bb.7330:                             ;   in Loop: Header=BB6_7203 Depth=3
	v_bfe_u32 v23, v0, 23, 8
	v_and_b32_e32 v1, 0x7fffff, v0
	v_cmp_gt_u32_e64 s[28:29], s47, v23
	v_sub_u32_e32 v0, 0x79, v23
	v_cmp_eq_u32_e32 vcc, 0, v23
	v_cndmask_b32_e64 v0, 0, v0, s[28:29]
	v_mov_b32_e32 v28, 0x78
	v_or_b32_e32 v2, 0x800000, v1
	v_cndmask_b32_e32 v28, v0, v28, vcc
	v_cndmask_b32_e32 v0, v2, v1, vcc
	v_add_u32_e32 v2, 20, v28
	v_lshlrev_b64 v[29:30], v2, -1
	v_mov_b32_e32 v1, v21
	v_add_u32_e32 v2, 19, v28
	v_bfi_b32 v29, v29, 0, v0
	v_lshlrev_b64 v[54:55], v2, 1
	v_lshrrev_b64 v[0:1], v28, v[0:1]
	v_bfi_b32 v30, v30, 0, 0
	v_cmp_eq_u64_e64 s[28:29], v[29:30], v[54:55]
	v_mov_b32_e32 v2, v1
	v_mov_b32_e32 v1, v0
	s_and_saveexec_b64 s[38:39], s[28:29]
; %bb.7331:                             ;   in Loop: Header=BB6_7203 Depth=3
	v_bfe_u32 v1, v0, 20, 1
	v_add_co_u32_e64 v1, s[28:29], v0, v1
	v_add_co_u32_e64 v1, s[28:29], -1, v1
; %bb.7332:                             ;   in Loop: Header=BB6_7203 Depth=3
	s_or_b64 exec, exec, s[38:39]
	v_add_u32_e32 v2, 0xffffff81, v23
	v_mov_b32_e32 v23, 0xffffff82
	v_cndmask_b32_e32 v2, v2, v23, vcc
	v_lshrrev_b32_e32 v23, 23, v0
	v_add3_u32 v23, v28, v2, v23
	v_add_u32_e32 v2, 6, v23
	v_and_b32_e32 v1, 0xfffff, v1
	v_add_u32_e32 v44, v1, v0
	v_mov_b32_e32 v45, v21
	v_cmp_ne_u32_e32 vcc, 0, v2
                                        ; implicit-def: $vgpr0
	s_and_saveexec_b64 s[28:29], vcc
	s_xor_b64 s[28:29], exec, s[28:29]
; %bb.7333:                             ;   in Loop: Header=BB6_7203 Depth=3
	v_cmp_lt_u64_e32 vcc, s[88:89], v[44:45]
	v_add_u32_e32 v0, 7, v23
	v_cndmask_b32_e64 v1, 0, 1, vcc
	v_cndmask_b32_e32 v0, v2, v0, vcc
	v_lshrrev_b64 v[44:45], v1, v[44:45]
; %bb.7334:                             ;   in Loop: Header=BB6_7203 Depth=3
	s_andn2_saveexec_b64 s[28:29], s[28:29]
; %bb.7335:                             ;   in Loop: Header=BB6_7203 Depth=3
	v_bfe_u32 v0, v44, 23, 1
; %bb.7336:                             ;   in Loop: Header=BB6_7203 Depth=3
	s_or_b64 exec, exec, s[28:29]
	v_lshrrev_b64 v[1:2], 20, v[44:45]
	v_cmp_gt_i32_e32 vcc, 16, v0
	v_cndmask_b32_e32 v2, 0, v2, vcc
	v_cndmask_b32_e32 v1, 7, v1, vcc
	v_cmp_eq_u32_e32 vcc, 0, v0
	v_min_i32_e32 v0, 15, v0
	v_cmp_eq_u64_e64 s[28:29], 0, v[1:2]
	v_lshlrev_b32_e32 v0, 3, v0
	v_and_b32_e32 v0, 0xf8, v0
	v_and_or_b32 v0, v1, 7, v0
	s_and_b64 s[28:29], vcc, s[28:29]
	v_cndmask_b32_e64 v0, v0, 0, s[28:29]
	v_or_b32_e32 v0, v0, v22
	buffer_store_dword v0, off, s[0:3], s33 offset:112 ; 4-byte Folded Spill
.LBB6_7337:                             ;   in Loop: Header=BB6_7203 Depth=3
	s_or_b64 exec, exec, s[36:37]
                                        ; implicit-def: $vgpr22
.LBB6_7338:                             ;   in Loop: Header=BB6_7203 Depth=3
	s_andn2_saveexec_b64 s[28:29], s[34:35]
	s_cbranch_execz .LBB6_7340
; %bb.7339:                             ;   in Loop: Header=BB6_7203 Depth=3
	v_or_b32_e32 v0, 0x7e, v22
	buffer_store_dword v0, off, s[0:3], s33 offset:112 ; 4-byte Folded Spill
.LBB6_7340:                             ;   in Loop: Header=BB6_7203 Depth=3
	s_or_b64 exec, exec, s[28:29]
                                        ; implicit-def: $vgpr0
.LBB6_7341:                             ;   in Loop: Header=BB6_7203 Depth=3
	s_andn2_saveexec_b64 s[28:29], s[30:31]
	s_cbranch_execz .LBB6_7343
; %bb.7342:                             ;   in Loop: Header=BB6_7203 Depth=3
	v_or_b32_sdwa v0, v0, s81 dst_sel:DWORD dst_unused:UNUSED_PAD src0_sel:BYTE_3 src1_sel:DWORD
	buffer_store_dword v0, off, s[0:3], s33 offset:112 ; 4-byte Folded Spill
.LBB6_7343:                             ;   in Loop: Header=BB6_7203 Depth=3
	s_or_b64 exec, exec, s[28:29]
	v_lshrrev_b16_e32 v0, 8, v20
	v_cmp_ne_u16_e32 vcc, 0, v0
	v_mov_b32_e32 v1, 0
	v_mov_b32_e32 v2, 0
	s_and_saveexec_b64 s[28:29], vcc
	s_cbranch_execz .LBB6_7349
; %bb.7344:                             ;   in Loop: Header=BB6_7203 Depth=3
	v_cmp_ne_u16_e32 vcc, s80, v0
	v_bfrev_b32_e32 v2, 1
	s_and_saveexec_b64 s[30:31], vcc
	s_cbranch_execz .LBB6_7348
; %bb.7345:                             ;   in Loop: Header=BB6_7203 Depth=3
	v_and_b32_e32 v22, 0x7f, v0
	v_cmp_ne_u32_e32 vcc, s81, v22
	v_mov_b32_e32 v2, 0x7f800001
	s_and_saveexec_b64 s[34:35], vcc
	s_cbranch_execz .LBB6_7347
; %bb.7346:                             ;   in Loop: Header=BB6_7203 Depth=3
	v_and_b32_e32 v2, 7, v0
	v_lshrrev_b32_e32 v28, 3, v22
	v_cmp_gt_u32_e32 vcc, 8, v22
	v_ffbh_u32_e32 v22, v2
	v_min_u32_e32 v29, 32, v22
	v_subrev_u32_e32 v22, 28, v29
	v_lshlrev_b64 v[22:23], v22, v[0:1]
	v_sub_u32_e32 v0, 29, v29
	v_and_b32_e32 v22, 7, v22
	v_cndmask_b32_e32 v0, v28, v0, vcc
	v_cndmask_b32_e32 v2, v2, v22, vcc
	v_lshlrev_b32_e32 v20, 16, v20
	v_bfrev_b32_e32 v22, 60
	v_lshlrev_b32_e32 v2, 20, v2
	v_and_b32_e32 v20, 0x80000000, v20
	v_lshl_add_u32 v0, v0, 23, v22
	v_or3_b32 v2, v20, v0, v2
.LBB6_7347:                             ;   in Loop: Header=BB6_7203 Depth=3
	s_or_b64 exec, exec, s[34:35]
.LBB6_7348:                             ;   in Loop: Header=BB6_7203 Depth=3
	s_or_b64 exec, exec, s[30:31]
.LBB6_7349:                             ;   in Loop: Header=BB6_7203 Depth=3
	s_or_b64 exec, exec, s[28:29]
	v_lshrrev_b16_e32 v0, 8, v37
	v_cmp_ne_u16_e32 vcc, 0, v0
	s_and_saveexec_b64 s[28:29], vcc
	s_cbranch_execz .LBB6_7355
; %bb.7350:                             ;   in Loop: Header=BB6_7203 Depth=3
	v_cmp_ne_u16_e32 vcc, s80, v0
	v_bfrev_b32_e32 v1, 1
	s_and_saveexec_b64 s[30:31], vcc
	s_cbranch_execz .LBB6_7354
; %bb.7351:                             ;   in Loop: Header=BB6_7203 Depth=3
	v_and_b32_e32 v20, 0x7f, v0
	v_cmp_ne_u32_e32 vcc, s81, v20
	v_mov_b32_e32 v1, 0x7f800001
	s_and_saveexec_b64 s[34:35], vcc
	s_cbranch_execz .LBB6_7353
; %bb.7352:                             ;   in Loop: Header=BB6_7203 Depth=3
	v_and_b32_e32 v22, 7, v0
	v_ffbh_u32_e32 v1, v22
	v_lshrrev_b32_e32 v23, 3, v20
	v_cmp_gt_u32_e32 vcc, 8, v20
	v_min_u32_e32 v20, 32, v1
	v_subrev_u32_e32 v1, 28, v20
	v_lshlrev_b64 v[0:1], v1, v[0:1]
	v_sub_u32_e32 v1, 29, v20
	v_and_b32_e32 v0, 7, v0
	v_cndmask_b32_e32 v1, v23, v1, vcc
	v_cndmask_b32_e32 v0, v22, v0, vcc
	v_lshlrev_b32_e32 v20, 16, v37
	v_bfrev_b32_e32 v22, 60
	v_lshlrev_b32_e32 v0, 20, v0
	v_and_b32_e32 v20, 0x80000000, v20
	v_lshl_add_u32 v1, v1, 23, v22
	v_or3_b32 v1, v20, v1, v0
.LBB6_7353:                             ;   in Loop: Header=BB6_7203 Depth=3
	s_or_b64 exec, exec, s[34:35]
.LBB6_7354:                             ;   in Loop: Header=BB6_7203 Depth=3
	s_or_b64 exec, exec, s[30:31]
.LBB6_7355:                             ;   in Loop: Header=BB6_7203 Depth=3
	s_or_b64 exec, exec, s[28:29]
	v_mul_f32_e32 v0, v2, v1
	v_and_b32_e32 v20, 0x7f800000, v0
	v_cmp_ne_u64_e32 vcc, s[62:63], v[20:21]
                                        ; implicit-def: $vgpr1
                                        ; kill: killed $vgpr1
	s_and_saveexec_b64 s[28:29], vcc
	s_xor_b64 s[30:31], exec, s[28:29]
	s_cbranch_execz .LBB6_7369
; %bb.7356:                             ;   in Loop: Header=BB6_7203 Depth=3
	v_and_b32_e32 v20, 0x7fffffff, v0
	v_cmp_gt_u64_e32 vcc, s[78:79], v[20:21]
	v_and_b32_sdwa v22, v0, s80 dst_sel:DWORD dst_unused:UNUSED_PAD src0_sel:BYTE_3 src1_sel:DWORD
                                        ; implicit-def: $vgpr1
                                        ; kill: killed $vgpr1
	s_and_saveexec_b64 s[28:29], vcc
	s_xor_b64 s[34:35], exec, s[28:29]
	s_cbranch_execz .LBB6_7366
; %bb.7357:                             ;   in Loop: Header=BB6_7203 Depth=3
	v_mov_b32_e32 v1, 0
	v_cmp_ne_u32_e32 vcc, 0, v0
	buffer_store_dword v1, off, s[0:3], s33 offset:116 ; 4-byte Folded Spill
	s_and_saveexec_b64 s[36:37], vcc
	s_cbranch_execz .LBB6_7365
; %bb.7358:                             ;   in Loop: Header=BB6_7203 Depth=3
	v_bfe_u32 v23, v0, 23, 8
	v_and_b32_e32 v1, 0x7fffff, v0
	v_cmp_gt_u32_e64 s[28:29], s47, v23
	v_sub_u32_e32 v0, 0x79, v23
	v_cmp_eq_u32_e32 vcc, 0, v23
	v_cndmask_b32_e64 v0, 0, v0, s[28:29]
	v_mov_b32_e32 v20, 0x78
	v_cndmask_b32_e32 v28, v0, v20, vcc
	v_or_b32_e32 v2, 0x800000, v1
	v_add_u32_e32 v0, 20, v28
	v_cndmask_b32_e32 v20, v2, v1, vcc
	v_lshlrev_b64 v[0:1], v0, -1
	v_add_u32_e32 v2, 19, v28
	v_lshlrev_b64 v[29:30], v2, 1
	v_bfi_b32 v1, v1, 0, 0
	v_bfi_b32 v0, v0, 0, v20
	v_cmp_eq_u64_e64 s[28:29], v[0:1], v[29:30]
	v_lshrrev_b64 v[0:1], v28, v[20:21]
	v_mov_b32_e32 v2, v1
	v_mov_b32_e32 v1, v0
	s_and_saveexec_b64 s[38:39], s[28:29]
; %bb.7359:                             ;   in Loop: Header=BB6_7203 Depth=3
	v_bfe_u32 v1, v0, 20, 1
	v_add_co_u32_e64 v1, s[28:29], v0, v1
	v_add_co_u32_e64 v1, s[28:29], -1, v1
; %bb.7360:                             ;   in Loop: Header=BB6_7203 Depth=3
	s_or_b64 exec, exec, s[38:39]
	v_add_u32_e32 v2, 0xffffff81, v23
	v_mov_b32_e32 v20, 0xffffff82
	v_cndmask_b32_e32 v2, v2, v20, vcc
	v_lshrrev_b32_e32 v20, 23, v0
	v_add3_u32 v28, v28, v2, v20
	v_add_u32_e32 v23, 6, v28
	v_and_b32_e32 v1, 0xfffff, v1
	v_add_u32_e32 v20, v1, v0
	v_cmp_ne_u32_e32 vcc, 0, v23
                                        ; implicit-def: $vgpr0_vgpr1
                                        ; implicit-def: $vgpr2
	s_and_saveexec_b64 s[28:29], vcc
	s_xor_b64 s[28:29], exec, s[28:29]
; %bb.7361:                             ;   in Loop: Header=BB6_7203 Depth=3
	v_cmp_lt_u64_e32 vcc, s[88:89], v[20:21]
	v_add_u32_e32 v0, 7, v28
	v_cndmask_b32_e32 v2, v23, v0, vcc
	v_cndmask_b32_e64 v0, 0, 1, vcc
	v_lshrrev_b64 v[0:1], v0, v[20:21]
; %bb.7362:                             ;   in Loop: Header=BB6_7203 Depth=3
	s_andn2_saveexec_b64 s[28:29], s[28:29]
; %bb.7363:                             ;   in Loop: Header=BB6_7203 Depth=3
	v_mov_b32_e32 v0, v20
	v_bfe_u32 v2, v20, 23, 1
	v_mov_b32_e32 v1, v21
; %bb.7364:                             ;   in Loop: Header=BB6_7203 Depth=3
	s_or_b64 exec, exec, s[28:29]
	v_lshrrev_b64 v[0:1], 20, v[0:1]
	v_cmp_gt_i32_e32 vcc, 16, v2
	v_cndmask_b32_e32 v1, 0, v1, vcc
	v_cndmask_b32_e32 v0, 7, v0, vcc
	v_cmp_eq_u64_e64 s[28:29], 0, v[0:1]
	v_min_i32_e32 v1, 15, v2
	v_lshlrev_b32_e32 v1, 3, v1
	v_cmp_eq_u32_e32 vcc, 0, v2
	v_and_b32_e32 v1, 0xf8, v1
	v_and_or_b32 v0, v0, 7, v1
	s_and_b64 s[28:29], vcc, s[28:29]
	v_cndmask_b32_e64 v0, v0, 0, s[28:29]
	v_or_b32_e32 v0, v0, v22
	buffer_store_dword v0, off, s[0:3], s33 offset:116 ; 4-byte Folded Spill
.LBB6_7365:                             ;   in Loop: Header=BB6_7203 Depth=3
	s_or_b64 exec, exec, s[36:37]
                                        ; implicit-def: $vgpr22
.LBB6_7366:                             ;   in Loop: Header=BB6_7203 Depth=3
	s_andn2_saveexec_b64 s[28:29], s[34:35]
	s_cbranch_execz .LBB6_7368
; %bb.7367:                             ;   in Loop: Header=BB6_7203 Depth=3
	v_or_b32_e32 v0, 0x7e, v22
	buffer_store_dword v0, off, s[0:3], s33 offset:116 ; 4-byte Folded Spill
.LBB6_7368:                             ;   in Loop: Header=BB6_7203 Depth=3
	s_or_b64 exec, exec, s[28:29]
                                        ; implicit-def: $vgpr0
.LBB6_7369:                             ;   in Loop: Header=BB6_7203 Depth=3
	s_andn2_saveexec_b64 s[28:29], s[30:31]
	s_cbranch_execz .LBB6_7371
; %bb.7370:                             ;   in Loop: Header=BB6_7203 Depth=3
	v_or_b32_sdwa v0, v0, s81 dst_sel:DWORD dst_unused:UNUSED_PAD src0_sel:BYTE_3 src1_sel:DWORD
	buffer_store_dword v0, off, s[0:3], s33 offset:116 ; 4-byte Folded Spill
.LBB6_7371:                             ;   in Loop: Header=BB6_7203 Depth=3
	s_or_b64 exec, exec, s[28:29]
	v_lshrrev_b32_e32 v0, 16, v49
	v_cmp_ne_u16_sdwa vcc, v0, v21 src0_sel:BYTE_0 src1_sel:DWORD
	v_mov_b32_e32 v1, 0
	v_mov_b32_e32 v2, 0
	s_and_saveexec_b64 s[28:29], vcc
	s_cbranch_execz .LBB6_7377
; %bb.7372:                             ;   in Loop: Header=BB6_7203 Depth=3
	v_cmp_ne_u16_sdwa vcc, v0, s80 src0_sel:BYTE_0 src1_sel:DWORD
	v_bfrev_b32_e32 v2, 1
	s_and_saveexec_b64 s[30:31], vcc
	s_cbranch_execz .LBB6_7376
; %bb.7373:                             ;   in Loop: Header=BB6_7203 Depth=3
	v_bfe_u32 v20, v49, 16, 7
	v_cmp_ne_u32_e32 vcc, s81, v20
	v_mov_b32_e32 v2, 0x7f800001
	s_and_saveexec_b64 s[34:35], vcc
	s_cbranch_execz .LBB6_7375
; %bb.7374:                             ;   in Loop: Header=BB6_7203 Depth=3
	v_and_b32_e32 v2, 7, v0
	v_lshrrev_b32_e32 v28, 3, v20
	v_cmp_gt_u32_e32 vcc, 8, v20
	v_ffbh_u32_e32 v20, v2
	v_min_u32_e32 v20, 32, v20
	v_subrev_u32_e32 v22, 28, v20
	v_lshlrev_b64 v[22:23], v22, v[0:1]
	v_sub_u32_e32 v20, 29, v20
	v_and_b32_e32 v22, 7, v22
	v_cndmask_b32_e32 v20, v28, v20, vcc
	v_cndmask_b32_e32 v2, v2, v22, vcc
	v_lshlrev_b32_e32 v0, 24, v0
	v_bfrev_b32_e32 v22, 60
	v_lshlrev_b32_e32 v2, 20, v2
	v_and_b32_e32 v0, 0x80000000, v0
	v_lshl_add_u32 v20, v20, 23, v22
	v_or3_b32 v2, v0, v20, v2
.LBB6_7375:                             ;   in Loop: Header=BB6_7203 Depth=3
	s_or_b64 exec, exec, s[34:35]
.LBB6_7376:                             ;   in Loop: Header=BB6_7203 Depth=3
	s_or_b64 exec, exec, s[30:31]
.LBB6_7377:                             ;   in Loop: Header=BB6_7203 Depth=3
	s_or_b64 exec, exec, s[28:29]
	v_lshrrev_b32_e32 v0, 16, v37
	v_cmp_ne_u16_sdwa vcc, v0, v21 src0_sel:BYTE_0 src1_sel:DWORD
	s_and_saveexec_b64 s[28:29], vcc
	s_cbranch_execz .LBB6_7383
; %bb.7378:                             ;   in Loop: Header=BB6_7203 Depth=3
	v_cmp_ne_u16_sdwa vcc, v0, s80 src0_sel:BYTE_0 src1_sel:DWORD
	v_bfrev_b32_e32 v1, 1
	s_and_saveexec_b64 s[30:31], vcc
	s_cbranch_execz .LBB6_7382
; %bb.7379:                             ;   in Loop: Header=BB6_7203 Depth=3
	v_bfe_u32 v20, v37, 16, 7
	v_cmp_ne_u32_e32 vcc, s81, v20
	v_mov_b32_e32 v1, 0x7f800001
	s_and_saveexec_b64 s[34:35], vcc
	s_cbranch_execz .LBB6_7381
; %bb.7380:                             ;   in Loop: Header=BB6_7203 Depth=3
	v_and_b32_e32 v22, 7, v0
	v_ffbh_u32_e32 v1, v22
	v_lshrrev_b32_e32 v23, 3, v20
	v_cmp_gt_u32_e32 vcc, 8, v20
	v_min_u32_e32 v20, 32, v1
	v_subrev_u32_e32 v1, 28, v20
	v_lshlrev_b64 v[0:1], v1, v[0:1]
	v_sub_u32_e32 v1, 29, v20
	v_and_b32_e32 v0, 7, v0
	v_cndmask_b32_e32 v1, v23, v1, vcc
	v_cndmask_b32_e32 v0, v22, v0, vcc
	v_lshlrev_b32_e32 v20, 8, v37
	v_bfrev_b32_e32 v22, 60
	v_lshlrev_b32_e32 v0, 20, v0
	v_and_b32_e32 v20, 0x80000000, v20
	v_lshl_add_u32 v1, v1, 23, v22
	v_or3_b32 v1, v20, v1, v0
.LBB6_7381:                             ;   in Loop: Header=BB6_7203 Depth=3
	s_or_b64 exec, exec, s[34:35]
.LBB6_7382:                             ;   in Loop: Header=BB6_7203 Depth=3
	s_or_b64 exec, exec, s[30:31]
.LBB6_7383:                             ;   in Loop: Header=BB6_7203 Depth=3
	s_or_b64 exec, exec, s[28:29]
	v_mul_f32_e32 v0, v2, v1
	v_and_b32_e32 v20, 0x7f800000, v0
	v_cmp_ne_u64_e32 vcc, s[62:63], v[20:21]
                                        ; implicit-def: $vgpr1
                                        ; kill: killed $vgpr1
	s_and_saveexec_b64 s[28:29], vcc
	s_xor_b64 s[30:31], exec, s[28:29]
	s_cbranch_execz .LBB6_7397
; %bb.7384:                             ;   in Loop: Header=BB6_7203 Depth=3
	v_and_b32_e32 v20, 0x7fffffff, v0
	v_cmp_gt_u64_e32 vcc, s[78:79], v[20:21]
	v_and_b32_sdwa v22, v0, s80 dst_sel:DWORD dst_unused:UNUSED_PAD src0_sel:BYTE_3 src1_sel:DWORD
                                        ; implicit-def: $vgpr1
                                        ; kill: killed $vgpr1
	s_and_saveexec_b64 s[28:29], vcc
	s_xor_b64 s[34:35], exec, s[28:29]
	s_cbranch_execz .LBB6_7394
; %bb.7385:                             ;   in Loop: Header=BB6_7203 Depth=3
	v_mov_b32_e32 v1, 0
	v_cmp_ne_u32_e32 vcc, 0, v0
	buffer_store_dword v1, off, s[0:3], s33 offset:120 ; 4-byte Folded Spill
	s_and_saveexec_b64 s[36:37], vcc
	s_cbranch_execz .LBB6_7393
; %bb.7386:                             ;   in Loop: Header=BB6_7203 Depth=3
	v_bfe_u32 v23, v0, 23, 8
	v_and_b32_e32 v1, 0x7fffff, v0
	v_cmp_gt_u32_e64 s[28:29], s47, v23
	v_sub_u32_e32 v0, 0x79, v23
	v_cmp_eq_u32_e32 vcc, 0, v23
	v_cndmask_b32_e64 v0, 0, v0, s[28:29]
	v_mov_b32_e32 v20, 0x78
	v_cndmask_b32_e32 v28, v0, v20, vcc
	v_or_b32_e32 v2, 0x800000, v1
	v_add_u32_e32 v0, 20, v28
	v_cndmask_b32_e32 v20, v2, v1, vcc
	v_lshlrev_b64 v[0:1], v0, -1
	v_add_u32_e32 v2, 19, v28
	v_lshlrev_b64 v[29:30], v2, 1
	v_bfi_b32 v1, v1, 0, 0
	v_bfi_b32 v0, v0, 0, v20
	v_cmp_eq_u64_e64 s[28:29], v[0:1], v[29:30]
	v_lshrrev_b64 v[0:1], v28, v[20:21]
	v_mov_b32_e32 v2, v1
	v_mov_b32_e32 v1, v0
	s_and_saveexec_b64 s[38:39], s[28:29]
; %bb.7387:                             ;   in Loop: Header=BB6_7203 Depth=3
	v_bfe_u32 v1, v0, 20, 1
	v_add_co_u32_e64 v1, s[28:29], v0, v1
	v_add_co_u32_e64 v1, s[28:29], -1, v1
; %bb.7388:                             ;   in Loop: Header=BB6_7203 Depth=3
	s_or_b64 exec, exec, s[38:39]
	v_add_u32_e32 v2, 0xffffff81, v23
	v_mov_b32_e32 v20, 0xffffff82
	v_cndmask_b32_e32 v2, v2, v20, vcc
	v_lshrrev_b32_e32 v20, 23, v0
	v_add3_u32 v28, v28, v2, v20
	v_add_u32_e32 v23, 6, v28
	v_and_b32_e32 v1, 0xfffff, v1
	v_add_u32_e32 v20, v1, v0
	v_cmp_ne_u32_e32 vcc, 0, v23
                                        ; implicit-def: $vgpr0_vgpr1
                                        ; implicit-def: $vgpr2
	s_and_saveexec_b64 s[28:29], vcc
	s_xor_b64 s[28:29], exec, s[28:29]
; %bb.7389:                             ;   in Loop: Header=BB6_7203 Depth=3
	v_cmp_lt_u64_e32 vcc, s[88:89], v[20:21]
	v_add_u32_e32 v0, 7, v28
	v_cndmask_b32_e32 v2, v23, v0, vcc
	v_cndmask_b32_e64 v0, 0, 1, vcc
	v_lshrrev_b64 v[0:1], v0, v[20:21]
; %bb.7390:                             ;   in Loop: Header=BB6_7203 Depth=3
	s_andn2_saveexec_b64 s[28:29], s[28:29]
; %bb.7391:                             ;   in Loop: Header=BB6_7203 Depth=3
	v_mov_b32_e32 v0, v20
	v_bfe_u32 v2, v20, 23, 1
	v_mov_b32_e32 v1, v21
; %bb.7392:                             ;   in Loop: Header=BB6_7203 Depth=3
	s_or_b64 exec, exec, s[28:29]
	v_lshrrev_b64 v[0:1], 20, v[0:1]
	v_cmp_gt_i32_e32 vcc, 16, v2
	v_cndmask_b32_e32 v1, 0, v1, vcc
	v_cndmask_b32_e32 v0, 7, v0, vcc
	v_cmp_eq_u64_e64 s[28:29], 0, v[0:1]
	v_min_i32_e32 v1, 15, v2
	v_lshlrev_b32_e32 v1, 3, v1
	v_cmp_eq_u32_e32 vcc, 0, v2
	v_and_b32_e32 v1, 0xf8, v1
	v_and_or_b32 v0, v0, 7, v1
	s_and_b64 s[28:29], vcc, s[28:29]
	v_cndmask_b32_e64 v0, v0, 0, s[28:29]
	v_or_b32_e32 v0, v0, v22
	buffer_store_dword v0, off, s[0:3], s33 offset:120 ; 4-byte Folded Spill
.LBB6_7393:                             ;   in Loop: Header=BB6_7203 Depth=3
	s_or_b64 exec, exec, s[36:37]
                                        ; implicit-def: $vgpr22
.LBB6_7394:                             ;   in Loop: Header=BB6_7203 Depth=3
	s_andn2_saveexec_b64 s[28:29], s[34:35]
	s_cbranch_execz .LBB6_7396
; %bb.7395:                             ;   in Loop: Header=BB6_7203 Depth=3
	v_or_b32_e32 v0, 0x7e, v22
	buffer_store_dword v0, off, s[0:3], s33 offset:120 ; 4-byte Folded Spill
.LBB6_7396:                             ;   in Loop: Header=BB6_7203 Depth=3
	s_or_b64 exec, exec, s[28:29]
                                        ; implicit-def: $vgpr0
.LBB6_7397:                             ;   in Loop: Header=BB6_7203 Depth=3
	s_andn2_saveexec_b64 s[28:29], s[30:31]
	s_cbranch_execz .LBB6_7399
; %bb.7398:                             ;   in Loop: Header=BB6_7203 Depth=3
	v_or_b32_sdwa v0, v0, s81 dst_sel:DWORD dst_unused:UNUSED_PAD src0_sel:BYTE_3 src1_sel:DWORD
	buffer_store_dword v0, off, s[0:3], s33 offset:120 ; 4-byte Folded Spill
.LBB6_7399:                             ;   in Loop: Header=BB6_7203 Depth=3
	s_or_b64 exec, exec, s[28:29]
	v_cmp_lt_u64_e32 vcc, s[56:57], v[48:49]
	v_mov_b32_e32 v1, 0
	v_mov_b32_e32 v2, 0
	s_and_saveexec_b64 s[28:29], vcc
	s_cbranch_execz .LBB6_7405
; %bb.7400:                             ;   in Loop: Header=BB6_7203 Depth=3
	v_lshrrev_b32_e32 v0, 24, v49
	v_cmp_ne_u32_e32 vcc, s80, v0
	v_bfrev_b32_e32 v2, 1
	s_and_saveexec_b64 s[30:31], vcc
	s_cbranch_execz .LBB6_7404
; %bb.7401:                             ;   in Loop: Header=BB6_7203 Depth=3
	v_bfe_u32 v20, v49, 24, 7
	v_cmp_ne_u32_e32 vcc, s81, v20
	v_mov_b32_e32 v2, 0x7f800001
	s_and_saveexec_b64 s[34:35], vcc
	s_cbranch_execz .LBB6_7403
; %bb.7402:                             ;   in Loop: Header=BB6_7203 Depth=3
	v_and_b32_e32 v2, 7, v0
	v_lshrrev_b32_e32 v28, 3, v20
	v_cmp_gt_u32_e32 vcc, 8, v20
	v_ffbh_u32_e32 v20, v2
	v_min_u32_e32 v20, 32, v20
	v_subrev_u32_e32 v22, 28, v20
	v_lshlrev_b64 v[22:23], v22, v[0:1]
	v_sub_u32_e32 v20, 29, v20
	v_and_b32_e32 v22, 7, v22
	v_cndmask_b32_e32 v20, v28, v20, vcc
	v_cndmask_b32_e32 v2, v2, v22, vcc
	v_lshlrev_b32_e32 v0, 24, v0
	v_bfrev_b32_e32 v22, 60
	v_lshlrev_b32_e32 v2, 20, v2
	v_and_b32_e32 v0, 0x80000000, v0
	v_lshl_add_u32 v20, v20, 23, v22
	v_or3_b32 v2, v0, v20, v2
.LBB6_7403:                             ;   in Loop: Header=BB6_7203 Depth=3
	s_or_b64 exec, exec, s[34:35]
.LBB6_7404:                             ;   in Loop: Header=BB6_7203 Depth=3
	s_or_b64 exec, exec, s[30:31]
.LBB6_7405:                             ;   in Loop: Header=BB6_7203 Depth=3
	s_or_b64 exec, exec, s[28:29]
	v_cmp_lt_u64_e32 vcc, s[56:57], v[36:37]
	s_and_saveexec_b64 s[28:29], vcc
	s_cbranch_execz .LBB6_7411
; %bb.7406:                             ;   in Loop: Header=BB6_7203 Depth=3
	v_lshrrev_b32_e32 v0, 24, v37
	v_cmp_ne_u32_e32 vcc, s80, v0
	v_bfrev_b32_e32 v1, 1
	s_and_saveexec_b64 s[30:31], vcc
	s_cbranch_execz .LBB6_7410
; %bb.7407:                             ;   in Loop: Header=BB6_7203 Depth=3
	v_bfe_u32 v20, v37, 24, 7
	v_cmp_ne_u32_e32 vcc, s81, v20
	v_mov_b32_e32 v1, 0x7f800001
	s_and_saveexec_b64 s[34:35], vcc
	s_cbranch_execz .LBB6_7409
; %bb.7408:                             ;   in Loop: Header=BB6_7203 Depth=3
	v_and_b32_e32 v1, 7, v0
	v_lshrrev_b32_e32 v28, 3, v20
	v_cmp_gt_u32_e32 vcc, 8, v20
	v_ffbh_u32_e32 v20, v1
	v_min_u32_e32 v20, 32, v20
	v_subrev_u32_e32 v22, 28, v20
	v_lshlrev_b64 v[22:23], v22, v[0:1]
	v_sub_u32_e32 v20, 29, v20
	v_and_b32_e32 v22, 7, v22
	v_cndmask_b32_e32 v20, v28, v20, vcc
	v_cndmask_b32_e32 v1, v1, v22, vcc
	v_lshlrev_b32_e32 v0, 24, v0
	v_bfrev_b32_e32 v22, 60
	v_lshlrev_b32_e32 v1, 20, v1
	v_and_b32_e32 v0, 0x80000000, v0
	v_lshl_add_u32 v20, v20, 23, v22
	v_or3_b32 v1, v0, v20, v1
.LBB6_7409:                             ;   in Loop: Header=BB6_7203 Depth=3
	s_or_b64 exec, exec, s[34:35]
.LBB6_7410:                             ;   in Loop: Header=BB6_7203 Depth=3
	s_or_b64 exec, exec, s[30:31]
.LBB6_7411:                             ;   in Loop: Header=BB6_7203 Depth=3
	s_or_b64 exec, exec, s[28:29]
	v_mul_f32_e32 v0, v2, v1
	v_and_b32_e32 v20, 0x7f800000, v0
	v_cmp_ne_u64_e32 vcc, s[62:63], v[20:21]
                                        ; implicit-def: $vgpr1
                                        ; kill: killed $vgpr1
	s_and_saveexec_b64 s[28:29], vcc
	s_xor_b64 s[30:31], exec, s[28:29]
	s_cbranch_execz .LBB6_7425
; %bb.7412:                             ;   in Loop: Header=BB6_7203 Depth=3
	v_and_b32_e32 v20, 0x7fffffff, v0
	v_cmp_gt_u64_e32 vcc, s[78:79], v[20:21]
	v_and_b32_sdwa v22, v0, s80 dst_sel:DWORD dst_unused:UNUSED_PAD src0_sel:BYTE_3 src1_sel:DWORD
                                        ; implicit-def: $vgpr1
                                        ; kill: killed $vgpr1
	s_and_saveexec_b64 s[28:29], vcc
	s_xor_b64 s[34:35], exec, s[28:29]
	s_cbranch_execz .LBB6_7422
; %bb.7413:                             ;   in Loop: Header=BB6_7203 Depth=3
	v_mov_b32_e32 v1, 0
	v_cmp_ne_u32_e32 vcc, 0, v0
	buffer_store_dword v1, off, s[0:3], s33 offset:124 ; 4-byte Folded Spill
	s_and_saveexec_b64 s[36:37], vcc
	s_cbranch_execz .LBB6_7421
; %bb.7414:                             ;   in Loop: Header=BB6_7203 Depth=3
	v_bfe_u32 v23, v0, 23, 8
	v_and_b32_e32 v1, 0x7fffff, v0
	v_cmp_gt_u32_e64 s[28:29], s47, v23
	v_sub_u32_e32 v0, 0x79, v23
	v_cmp_eq_u32_e32 vcc, 0, v23
	v_cndmask_b32_e64 v0, 0, v0, s[28:29]
	v_mov_b32_e32 v20, 0x78
	v_cndmask_b32_e32 v28, v0, v20, vcc
	v_or_b32_e32 v2, 0x800000, v1
	v_add_u32_e32 v0, 20, v28
	v_cndmask_b32_e32 v20, v2, v1, vcc
	v_lshlrev_b64 v[0:1], v0, -1
	v_add_u32_e32 v2, 19, v28
	v_lshlrev_b64 v[29:30], v2, 1
	v_bfi_b32 v1, v1, 0, 0
	v_bfi_b32 v0, v0, 0, v20
	v_cmp_eq_u64_e64 s[28:29], v[0:1], v[29:30]
	v_lshrrev_b64 v[0:1], v28, v[20:21]
	v_mov_b32_e32 v2, v1
	v_mov_b32_e32 v1, v0
	s_and_saveexec_b64 s[38:39], s[28:29]
; %bb.7415:                             ;   in Loop: Header=BB6_7203 Depth=3
	v_bfe_u32 v1, v0, 20, 1
	v_add_co_u32_e64 v1, s[28:29], v0, v1
	v_add_co_u32_e64 v1, s[28:29], -1, v1
; %bb.7416:                             ;   in Loop: Header=BB6_7203 Depth=3
	s_or_b64 exec, exec, s[38:39]
	v_add_u32_e32 v2, 0xffffff81, v23
	v_mov_b32_e32 v20, 0xffffff82
	v_cndmask_b32_e32 v2, v2, v20, vcc
	v_lshrrev_b32_e32 v20, 23, v0
	v_add3_u32 v28, v28, v2, v20
	v_add_u32_e32 v23, 6, v28
	v_and_b32_e32 v1, 0xfffff, v1
	v_add_u32_e32 v20, v1, v0
	v_cmp_ne_u32_e32 vcc, 0, v23
                                        ; implicit-def: $vgpr0_vgpr1
                                        ; implicit-def: $vgpr2
	s_and_saveexec_b64 s[28:29], vcc
	s_xor_b64 s[28:29], exec, s[28:29]
; %bb.7417:                             ;   in Loop: Header=BB6_7203 Depth=3
	v_cmp_lt_u64_e32 vcc, s[88:89], v[20:21]
	v_add_u32_e32 v0, 7, v28
	v_cndmask_b32_e32 v2, v23, v0, vcc
	v_cndmask_b32_e64 v0, 0, 1, vcc
	v_lshrrev_b64 v[0:1], v0, v[20:21]
; %bb.7418:                             ;   in Loop: Header=BB6_7203 Depth=3
	s_andn2_saveexec_b64 s[28:29], s[28:29]
; %bb.7419:                             ;   in Loop: Header=BB6_7203 Depth=3
	v_mov_b32_e32 v0, v20
	v_bfe_u32 v2, v20, 23, 1
	v_mov_b32_e32 v1, v21
; %bb.7420:                             ;   in Loop: Header=BB6_7203 Depth=3
	s_or_b64 exec, exec, s[28:29]
	v_lshrrev_b64 v[0:1], 20, v[0:1]
	v_cmp_gt_i32_e32 vcc, 16, v2
	v_cndmask_b32_e32 v1, 0, v1, vcc
	v_cndmask_b32_e32 v0, 7, v0, vcc
	v_cmp_eq_u64_e64 s[28:29], 0, v[0:1]
	v_min_i32_e32 v1, 15, v2
	v_lshlrev_b32_e32 v1, 3, v1
	v_cmp_eq_u32_e32 vcc, 0, v2
	v_and_b32_e32 v1, 0xf8, v1
	v_and_or_b32 v0, v0, 7, v1
	s_and_b64 s[28:29], vcc, s[28:29]
	v_cndmask_b32_e64 v0, v0, 0, s[28:29]
	v_or_b32_e32 v0, v0, v22
	buffer_store_dword v0, off, s[0:3], s33 offset:124 ; 4-byte Folded Spill
.LBB6_7421:                             ;   in Loop: Header=BB6_7203 Depth=3
	s_or_b64 exec, exec, s[36:37]
                                        ; implicit-def: $vgpr22
.LBB6_7422:                             ;   in Loop: Header=BB6_7203 Depth=3
	s_andn2_saveexec_b64 s[28:29], s[34:35]
	s_cbranch_execz .LBB6_7424
; %bb.7423:                             ;   in Loop: Header=BB6_7203 Depth=3
	v_or_b32_e32 v0, 0x7e, v22
	buffer_store_dword v0, off, s[0:3], s33 offset:124 ; 4-byte Folded Spill
.LBB6_7424:                             ;   in Loop: Header=BB6_7203 Depth=3
	s_or_b64 exec, exec, s[28:29]
                                        ; implicit-def: $vgpr0
.LBB6_7425:                             ;   in Loop: Header=BB6_7203 Depth=3
	s_andn2_saveexec_b64 s[28:29], s[30:31]
	s_cbranch_execz .LBB6_7427
; %bb.7426:                             ;   in Loop: Header=BB6_7203 Depth=3
	v_or_b32_sdwa v0, v0, s81 dst_sel:DWORD dst_unused:UNUSED_PAD src0_sel:BYTE_3 src1_sel:DWORD
	buffer_store_dword v0, off, s[0:3], s33 offset:124 ; 4-byte Folded Spill
.LBB6_7427:                             ;   in Loop: Header=BB6_7203 Depth=3
	s_or_b64 exec, exec, s[28:29]
	v_cmp_ne_u16_sdwa vcc, v50, v21 src0_sel:BYTE_0 src1_sel:DWORD
	v_mov_b32_e32 v0, 0
	v_mov_b32_e32 v1, 0
	s_and_saveexec_b64 s[28:29], vcc
	s_cbranch_execz .LBB6_7433
; %bb.7428:                             ;   in Loop: Header=BB6_7203 Depth=3
	v_cmp_ne_u16_sdwa vcc, v50, s80 src0_sel:BYTE_0 src1_sel:DWORD
	v_bfrev_b32_e32 v1, 1
	s_and_saveexec_b64 s[30:31], vcc
	s_cbranch_execz .LBB6_7432
; %bb.7429:                             ;   in Loop: Header=BB6_7203 Depth=3
	v_and_b32_e32 v2, 0x7f, v50
	v_cmp_ne_u32_e32 vcc, s81, v2
	v_mov_b32_e32 v1, 0x7f800001
	s_and_saveexec_b64 s[34:35], vcc
	s_cbranch_execz .LBB6_7431
; %bb.7430:                             ;   in Loop: Header=BB6_7203 Depth=3
	v_and_b32_e32 v1, 7, v50
	v_ffbh_u32_e32 v1, v1
	v_min_u32_e32 v1, 32, v1
	v_lshrrev_b32_e32 v20, 3, v2
	v_cmp_gt_u32_e32 vcc, 8, v2
	v_subrev_u32_e32 v2, 28, v1
	v_sub_u32_e32 v1, 29, v1
	v_cndmask_b32_e32 v20, v20, v1, vcc
	v_cndmask_b32_e32 v1, 0, v2, vcc
	v_lshlrev_b64 v[1:2], v1, v[50:51]
	v_lshlrev_b32_e32 v2, 24, v50
	v_lshlrev_b32_e32 v1, 20, v1
	v_bfrev_b32_e32 v22, 60
	v_and_b32_e32 v1, 0x700000, v1
	v_and_b32_e32 v2, 0x80000000, v2
	v_lshl_add_u32 v20, v20, 23, v22
	v_or3_b32 v1, v2, v20, v1
.LBB6_7431:                             ;   in Loop: Header=BB6_7203 Depth=3
	s_or_b64 exec, exec, s[34:35]
.LBB6_7432:                             ;   in Loop: Header=BB6_7203 Depth=3
	s_or_b64 exec, exec, s[30:31]
.LBB6_7433:                             ;   in Loop: Header=BB6_7203 Depth=3
	s_or_b64 exec, exec, s[28:29]
	v_cmp_ne_u16_sdwa vcc, v38, v21 src0_sel:BYTE_0 src1_sel:DWORD
	s_and_saveexec_b64 s[28:29], vcc
	s_cbranch_execz .LBB6_7439
; %bb.7434:                             ;   in Loop: Header=BB6_7203 Depth=3
	v_cmp_ne_u16_sdwa vcc, v38, s80 src0_sel:BYTE_0 src1_sel:DWORD
	v_bfrev_b32_e32 v0, 1
	s_and_saveexec_b64 s[30:31], vcc
	s_cbranch_execz .LBB6_7438
; %bb.7435:                             ;   in Loop: Header=BB6_7203 Depth=3
	v_and_b32_e32 v2, 0x7f, v38
	v_cmp_ne_u32_e32 vcc, s81, v2
	v_mov_b32_e32 v0, 0x7f800001
	s_and_saveexec_b64 s[34:35], vcc
	s_cbranch_execz .LBB6_7437
; %bb.7436:                             ;   in Loop: Header=BB6_7203 Depth=3
	v_and_b32_e32 v0, 7, v38
	v_ffbh_u32_e32 v0, v0
	v_min_u32_e32 v0, 32, v0
	v_lshrrev_b32_e32 v20, 3, v2
	v_cmp_gt_u32_e32 vcc, 8, v2
	v_subrev_u32_e32 v2, 28, v0
	v_cndmask_b32_e32 v2, 0, v2, vcc
	v_lshlrev_b64 v[22:23], v2, v[38:39]
	v_sub_u32_e32 v0, 29, v0
	v_cndmask_b32_e32 v0, v20, v0, vcc
	v_lshlrev_b32_e32 v2, 20, v22
	v_lshlrev_b32_e32 v20, 24, v38
	v_bfrev_b32_e32 v22, 60
	v_and_b32_e32 v2, 0x700000, v2
	v_and_b32_e32 v20, 0x80000000, v20
	v_lshl_add_u32 v0, v0, 23, v22
	v_or3_b32 v0, v20, v0, v2
.LBB6_7437:                             ;   in Loop: Header=BB6_7203 Depth=3
	s_or_b64 exec, exec, s[34:35]
.LBB6_7438:                             ;   in Loop: Header=BB6_7203 Depth=3
	s_or_b64 exec, exec, s[30:31]
.LBB6_7439:                             ;   in Loop: Header=BB6_7203 Depth=3
	s_or_b64 exec, exec, s[28:29]
	v_mul_f32_e32 v0, v1, v0
	v_and_b32_e32 v20, 0x7f800000, v0
	v_cmp_ne_u64_e32 vcc, s[62:63], v[20:21]
                                        ; implicit-def: $vgpr1
                                        ; kill: killed $vgpr1
	s_and_saveexec_b64 s[28:29], vcc
	s_xor_b64 s[30:31], exec, s[28:29]
	s_cbranch_execz .LBB6_7453
; %bb.7440:                             ;   in Loop: Header=BB6_7203 Depth=3
	v_and_b32_e32 v20, 0x7fffffff, v0
	v_cmp_gt_u64_e32 vcc, s[78:79], v[20:21]
	v_and_b32_sdwa v22, v0, s80 dst_sel:DWORD dst_unused:UNUSED_PAD src0_sel:BYTE_3 src1_sel:DWORD
                                        ; implicit-def: $vgpr1
                                        ; kill: killed $vgpr1
	s_and_saveexec_b64 s[28:29], vcc
	s_xor_b64 s[34:35], exec, s[28:29]
	s_cbranch_execz .LBB6_7450
; %bb.7441:                             ;   in Loop: Header=BB6_7203 Depth=3
	v_mov_b32_e32 v1, 0
	v_cmp_ne_u32_e32 vcc, 0, v0
	buffer_store_dword v1, off, s[0:3], s33 offset:128 ; 4-byte Folded Spill
	s_and_saveexec_b64 s[36:37], vcc
	s_cbranch_execz .LBB6_7449
; %bb.7442:                             ;   in Loop: Header=BB6_7203 Depth=3
	v_bfe_u32 v23, v0, 23, 8
	v_and_b32_e32 v1, 0x7fffff, v0
	v_cmp_gt_u32_e64 s[28:29], s47, v23
	v_sub_u32_e32 v0, 0x79, v23
	v_cmp_eq_u32_e32 vcc, 0, v23
	v_cndmask_b32_e64 v0, 0, v0, s[28:29]
	v_mov_b32_e32 v20, 0x78
	v_cndmask_b32_e32 v28, v0, v20, vcc
	v_or_b32_e32 v2, 0x800000, v1
	v_add_u32_e32 v0, 20, v28
	v_cndmask_b32_e32 v20, v2, v1, vcc
	v_lshlrev_b64 v[0:1], v0, -1
	v_add_u32_e32 v2, 19, v28
	v_lshlrev_b64 v[29:30], v2, 1
	v_bfi_b32 v1, v1, 0, 0
	v_bfi_b32 v0, v0, 0, v20
	v_cmp_eq_u64_e64 s[28:29], v[0:1], v[29:30]
	v_lshrrev_b64 v[0:1], v28, v[20:21]
	v_mov_b32_e32 v2, v1
	v_mov_b32_e32 v1, v0
	s_and_saveexec_b64 s[38:39], s[28:29]
; %bb.7443:                             ;   in Loop: Header=BB6_7203 Depth=3
	v_bfe_u32 v1, v0, 20, 1
	v_add_co_u32_e64 v1, s[28:29], v0, v1
	v_add_co_u32_e64 v1, s[28:29], -1, v1
; %bb.7444:                             ;   in Loop: Header=BB6_7203 Depth=3
	s_or_b64 exec, exec, s[38:39]
	v_add_u32_e32 v2, 0xffffff81, v23
	v_mov_b32_e32 v20, 0xffffff82
	v_cndmask_b32_e32 v2, v2, v20, vcc
	v_lshrrev_b32_e32 v20, 23, v0
	v_add3_u32 v28, v28, v2, v20
	v_add_u32_e32 v23, 6, v28
	v_and_b32_e32 v1, 0xfffff, v1
	v_add_u32_e32 v20, v1, v0
	v_cmp_ne_u32_e32 vcc, 0, v23
                                        ; implicit-def: $vgpr0_vgpr1
                                        ; implicit-def: $vgpr2
	s_and_saveexec_b64 s[28:29], vcc
	s_xor_b64 s[28:29], exec, s[28:29]
; %bb.7445:                             ;   in Loop: Header=BB6_7203 Depth=3
	v_cmp_lt_u64_e32 vcc, s[88:89], v[20:21]
	v_add_u32_e32 v0, 7, v28
	v_cndmask_b32_e32 v2, v23, v0, vcc
	v_cndmask_b32_e64 v0, 0, 1, vcc
	v_lshrrev_b64 v[0:1], v0, v[20:21]
; %bb.7446:                             ;   in Loop: Header=BB6_7203 Depth=3
	s_andn2_saveexec_b64 s[28:29], s[28:29]
; %bb.7447:                             ;   in Loop: Header=BB6_7203 Depth=3
	v_mov_b32_e32 v0, v20
	v_bfe_u32 v2, v20, 23, 1
	v_mov_b32_e32 v1, v21
; %bb.7448:                             ;   in Loop: Header=BB6_7203 Depth=3
	s_or_b64 exec, exec, s[28:29]
	v_lshrrev_b64 v[0:1], 20, v[0:1]
	v_cmp_gt_i32_e32 vcc, 16, v2
	v_cndmask_b32_e32 v1, 0, v1, vcc
	v_cndmask_b32_e32 v0, 7, v0, vcc
	v_cmp_eq_u64_e64 s[28:29], 0, v[0:1]
	v_min_i32_e32 v1, 15, v2
	v_lshlrev_b32_e32 v1, 3, v1
	v_cmp_eq_u32_e32 vcc, 0, v2
	v_and_b32_e32 v1, 0xf8, v1
	v_and_or_b32 v0, v0, 7, v1
	s_and_b64 s[28:29], vcc, s[28:29]
	v_cndmask_b32_e64 v0, v0, 0, s[28:29]
	v_or_b32_e32 v0, v0, v22
	buffer_store_dword v0, off, s[0:3], s33 offset:128 ; 4-byte Folded Spill
.LBB6_7449:                             ;   in Loop: Header=BB6_7203 Depth=3
	s_or_b64 exec, exec, s[36:37]
                                        ; implicit-def: $vgpr22
.LBB6_7450:                             ;   in Loop: Header=BB6_7203 Depth=3
	s_andn2_saveexec_b64 s[28:29], s[34:35]
	s_cbranch_execz .LBB6_7452
; %bb.7451:                             ;   in Loop: Header=BB6_7203 Depth=3
	v_or_b32_e32 v0, 0x7e, v22
	buffer_store_dword v0, off, s[0:3], s33 offset:128 ; 4-byte Folded Spill
.LBB6_7452:                             ;   in Loop: Header=BB6_7203 Depth=3
	s_or_b64 exec, exec, s[28:29]
                                        ; implicit-def: $vgpr0
.LBB6_7453:                             ;   in Loop: Header=BB6_7203 Depth=3
	s_andn2_saveexec_b64 s[28:29], s[30:31]
	s_cbranch_execz .LBB6_7455
; %bb.7454:                             ;   in Loop: Header=BB6_7203 Depth=3
	v_or_b32_sdwa v0, v0, s81 dst_sel:DWORD dst_unused:UNUSED_PAD src0_sel:BYTE_3 src1_sel:DWORD
	buffer_store_dword v0, off, s[0:3], s33 offset:128 ; 4-byte Folded Spill
.LBB6_7455:                             ;   in Loop: Header=BB6_7203 Depth=3
	s_or_b64 exec, exec, s[28:29]
	v_lshrrev_b16_e32 v0, 8, v50
	v_cmp_ne_u16_e32 vcc, 0, v0
	v_mov_b32_e32 v1, 0
	v_mov_b32_e32 v2, 0
	s_and_saveexec_b64 s[28:29], vcc
	s_cbranch_execz .LBB6_7461
; %bb.7456:                             ;   in Loop: Header=BB6_7203 Depth=3
	v_cmp_ne_u16_e32 vcc, s80, v0
	v_bfrev_b32_e32 v2, 1
	s_and_saveexec_b64 s[30:31], vcc
	s_cbranch_execz .LBB6_7460
; %bb.7457:                             ;   in Loop: Header=BB6_7203 Depth=3
	v_and_b32_e32 v20, 0x7f, v0
	v_cmp_ne_u32_e32 vcc, s81, v20
	v_mov_b32_e32 v2, 0x7f800001
	s_and_saveexec_b64 s[34:35], vcc
	s_cbranch_execz .LBB6_7459
; %bb.7458:                             ;   in Loop: Header=BB6_7203 Depth=3
	v_and_b32_e32 v2, 7, v0
	v_lshrrev_b32_e32 v28, 3, v20
	v_cmp_gt_u32_e32 vcc, 8, v20
	v_ffbh_u32_e32 v20, v2
	v_min_u32_e32 v20, 32, v20
	v_subrev_u32_e32 v22, 28, v20
	v_lshlrev_b64 v[22:23], v22, v[0:1]
	v_sub_u32_e32 v0, 29, v20
	v_and_b32_e32 v20, 7, v22
	v_cndmask_b32_e32 v0, v28, v0, vcc
	v_cndmask_b32_e32 v2, v2, v20, vcc
	v_lshlrev_b32_e32 v20, 16, v50
	v_bfrev_b32_e32 v22, 60
	v_lshlrev_b32_e32 v2, 20, v2
	v_and_b32_e32 v20, 0x80000000, v20
	v_lshl_add_u32 v0, v0, 23, v22
	v_or3_b32 v2, v20, v0, v2
.LBB6_7459:                             ;   in Loop: Header=BB6_7203 Depth=3
	s_or_b64 exec, exec, s[34:35]
.LBB6_7460:                             ;   in Loop: Header=BB6_7203 Depth=3
	s_or_b64 exec, exec, s[30:31]
.LBB6_7461:                             ;   in Loop: Header=BB6_7203 Depth=3
	s_or_b64 exec, exec, s[28:29]
	v_lshrrev_b16_e32 v0, 8, v38
	v_cmp_ne_u16_e32 vcc, 0, v0
	s_and_saveexec_b64 s[28:29], vcc
	s_cbranch_execz .LBB6_7467
; %bb.7462:                             ;   in Loop: Header=BB6_7203 Depth=3
	v_cmp_ne_u16_e32 vcc, s80, v0
	v_bfrev_b32_e32 v1, 1
	s_and_saveexec_b64 s[30:31], vcc
	s_cbranch_execz .LBB6_7466
; %bb.7463:                             ;   in Loop: Header=BB6_7203 Depth=3
	v_and_b32_e32 v20, 0x7f, v0
	v_cmp_ne_u32_e32 vcc, s81, v20
	v_mov_b32_e32 v1, 0x7f800001
	s_and_saveexec_b64 s[34:35], vcc
	s_cbranch_execz .LBB6_7465
; %bb.7464:                             ;   in Loop: Header=BB6_7203 Depth=3
	v_and_b32_e32 v22, 7, v0
	v_ffbh_u32_e32 v1, v22
	v_lshrrev_b32_e32 v23, 3, v20
	v_cmp_gt_u32_e32 vcc, 8, v20
	v_min_u32_e32 v20, 32, v1
	v_subrev_u32_e32 v1, 28, v20
	v_lshlrev_b64 v[0:1], v1, v[0:1]
	v_sub_u32_e32 v1, 29, v20
	v_and_b32_e32 v0, 7, v0
	v_cndmask_b32_e32 v1, v23, v1, vcc
	v_cndmask_b32_e32 v0, v22, v0, vcc
	v_lshlrev_b32_e32 v20, 16, v38
	v_bfrev_b32_e32 v22, 60
	v_lshlrev_b32_e32 v0, 20, v0
	v_and_b32_e32 v20, 0x80000000, v20
	v_lshl_add_u32 v1, v1, 23, v22
	v_or3_b32 v1, v20, v1, v0
.LBB6_7465:                             ;   in Loop: Header=BB6_7203 Depth=3
	s_or_b64 exec, exec, s[34:35]
.LBB6_7466:                             ;   in Loop: Header=BB6_7203 Depth=3
	s_or_b64 exec, exec, s[30:31]
.LBB6_7467:                             ;   in Loop: Header=BB6_7203 Depth=3
	s_or_b64 exec, exec, s[28:29]
	v_mul_f32_e32 v0, v2, v1
	v_and_b32_e32 v20, 0x7f800000, v0
	v_cmp_ne_u64_e32 vcc, s[62:63], v[20:21]
                                        ; implicit-def: $vgpr1
                                        ; kill: killed $vgpr1
	s_and_saveexec_b64 s[28:29], vcc
	s_xor_b64 s[30:31], exec, s[28:29]
	s_cbranch_execz .LBB6_7481
; %bb.7468:                             ;   in Loop: Header=BB6_7203 Depth=3
	v_and_b32_e32 v20, 0x7fffffff, v0
	v_cmp_gt_u64_e32 vcc, s[78:79], v[20:21]
	v_and_b32_sdwa v22, v0, s80 dst_sel:DWORD dst_unused:UNUSED_PAD src0_sel:BYTE_3 src1_sel:DWORD
                                        ; implicit-def: $vgpr1
                                        ; kill: killed $vgpr1
	s_and_saveexec_b64 s[28:29], vcc
	s_xor_b64 s[34:35], exec, s[28:29]
	s_cbranch_execz .LBB6_7478
; %bb.7469:                             ;   in Loop: Header=BB6_7203 Depth=3
	v_mov_b32_e32 v1, 0
	v_cmp_ne_u32_e32 vcc, 0, v0
	buffer_store_dword v1, off, s[0:3], s33 offset:132 ; 4-byte Folded Spill
	s_and_saveexec_b64 s[36:37], vcc
	s_cbranch_execz .LBB6_7477
; %bb.7470:                             ;   in Loop: Header=BB6_7203 Depth=3
	v_bfe_u32 v23, v0, 23, 8
	v_and_b32_e32 v1, 0x7fffff, v0
	v_cmp_gt_u32_e64 s[28:29], s47, v23
	v_sub_u32_e32 v0, 0x79, v23
	v_cmp_eq_u32_e32 vcc, 0, v23
	v_cndmask_b32_e64 v0, 0, v0, s[28:29]
	v_mov_b32_e32 v20, 0x78
	v_cndmask_b32_e32 v28, v0, v20, vcc
	v_or_b32_e32 v2, 0x800000, v1
	v_add_u32_e32 v0, 20, v28
	v_cndmask_b32_e32 v20, v2, v1, vcc
	v_lshlrev_b64 v[0:1], v0, -1
	v_add_u32_e32 v2, 19, v28
	v_lshlrev_b64 v[29:30], v2, 1
	v_bfi_b32 v1, v1, 0, 0
	v_bfi_b32 v0, v0, 0, v20
	v_cmp_eq_u64_e64 s[28:29], v[0:1], v[29:30]
	v_lshrrev_b64 v[0:1], v28, v[20:21]
	v_mov_b32_e32 v2, v1
	v_mov_b32_e32 v1, v0
	s_and_saveexec_b64 s[38:39], s[28:29]
; %bb.7471:                             ;   in Loop: Header=BB6_7203 Depth=3
	v_bfe_u32 v1, v0, 20, 1
	v_add_co_u32_e64 v1, s[28:29], v0, v1
	v_add_co_u32_e64 v1, s[28:29], -1, v1
; %bb.7472:                             ;   in Loop: Header=BB6_7203 Depth=3
	s_or_b64 exec, exec, s[38:39]
	v_add_u32_e32 v2, 0xffffff81, v23
	v_mov_b32_e32 v20, 0xffffff82
	v_cndmask_b32_e32 v2, v2, v20, vcc
	v_lshrrev_b32_e32 v20, 23, v0
	v_add3_u32 v28, v28, v2, v20
	v_add_u32_e32 v23, 6, v28
	v_and_b32_e32 v1, 0xfffff, v1
	v_add_u32_e32 v20, v1, v0
	v_cmp_ne_u32_e32 vcc, 0, v23
                                        ; implicit-def: $vgpr0_vgpr1
                                        ; implicit-def: $vgpr2
	s_and_saveexec_b64 s[28:29], vcc
	s_xor_b64 s[28:29], exec, s[28:29]
; %bb.7473:                             ;   in Loop: Header=BB6_7203 Depth=3
	v_cmp_lt_u64_e32 vcc, s[88:89], v[20:21]
	v_add_u32_e32 v0, 7, v28
	v_cndmask_b32_e32 v2, v23, v0, vcc
	v_cndmask_b32_e64 v0, 0, 1, vcc
	v_lshrrev_b64 v[0:1], v0, v[20:21]
; %bb.7474:                             ;   in Loop: Header=BB6_7203 Depth=3
	s_andn2_saveexec_b64 s[28:29], s[28:29]
; %bb.7475:                             ;   in Loop: Header=BB6_7203 Depth=3
	v_mov_b32_e32 v0, v20
	v_bfe_u32 v2, v20, 23, 1
	v_mov_b32_e32 v1, v21
; %bb.7476:                             ;   in Loop: Header=BB6_7203 Depth=3
	s_or_b64 exec, exec, s[28:29]
	v_lshrrev_b64 v[0:1], 20, v[0:1]
	v_cmp_gt_i32_e32 vcc, 16, v2
	v_cndmask_b32_e32 v1, 0, v1, vcc
	v_cndmask_b32_e32 v0, 7, v0, vcc
	v_cmp_eq_u64_e64 s[28:29], 0, v[0:1]
	v_min_i32_e32 v1, 15, v2
	v_lshlrev_b32_e32 v1, 3, v1
	v_cmp_eq_u32_e32 vcc, 0, v2
	v_and_b32_e32 v1, 0xf8, v1
	v_and_or_b32 v0, v0, 7, v1
	s_and_b64 s[28:29], vcc, s[28:29]
	v_cndmask_b32_e64 v0, v0, 0, s[28:29]
	v_or_b32_e32 v0, v0, v22
	buffer_store_dword v0, off, s[0:3], s33 offset:132 ; 4-byte Folded Spill
.LBB6_7477:                             ;   in Loop: Header=BB6_7203 Depth=3
	s_or_b64 exec, exec, s[36:37]
                                        ; implicit-def: $vgpr22
.LBB6_7478:                             ;   in Loop: Header=BB6_7203 Depth=3
	s_andn2_saveexec_b64 s[28:29], s[34:35]
	s_cbranch_execz .LBB6_7480
; %bb.7479:                             ;   in Loop: Header=BB6_7203 Depth=3
	v_or_b32_e32 v0, 0x7e, v22
	buffer_store_dword v0, off, s[0:3], s33 offset:132 ; 4-byte Folded Spill
.LBB6_7480:                             ;   in Loop: Header=BB6_7203 Depth=3
	s_or_b64 exec, exec, s[28:29]
                                        ; implicit-def: $vgpr0
.LBB6_7481:                             ;   in Loop: Header=BB6_7203 Depth=3
	s_andn2_saveexec_b64 s[28:29], s[30:31]
	s_cbranch_execz .LBB6_7483
; %bb.7482:                             ;   in Loop: Header=BB6_7203 Depth=3
	v_or_b32_sdwa v0, v0, s81 dst_sel:DWORD dst_unused:UNUSED_PAD src0_sel:BYTE_3 src1_sel:DWORD
	buffer_store_dword v0, off, s[0:3], s33 offset:132 ; 4-byte Folded Spill
.LBB6_7483:                             ;   in Loop: Header=BB6_7203 Depth=3
	s_or_b64 exec, exec, s[28:29]
	v_lshrrev_b32_e32 v0, 16, v50
	v_cmp_ne_u16_sdwa vcc, v0, v21 src0_sel:BYTE_0 src1_sel:DWORD
	v_mov_b32_e32 v1, 0
	v_mov_b32_e32 v2, 0
	s_and_saveexec_b64 s[28:29], vcc
	s_cbranch_execz .LBB6_7489
; %bb.7484:                             ;   in Loop: Header=BB6_7203 Depth=3
	v_cmp_ne_u16_sdwa vcc, v0, s80 src0_sel:BYTE_0 src1_sel:DWORD
	v_bfrev_b32_e32 v2, 1
	s_and_saveexec_b64 s[30:31], vcc
	s_cbranch_execz .LBB6_7488
; %bb.7485:                             ;   in Loop: Header=BB6_7203 Depth=3
	v_bfe_u32 v20, v50, 16, 7
	v_cmp_ne_u32_e32 vcc, s81, v20
	v_mov_b32_e32 v2, 0x7f800001
	s_and_saveexec_b64 s[34:35], vcc
	s_cbranch_execz .LBB6_7487
; %bb.7486:                             ;   in Loop: Header=BB6_7203 Depth=3
	v_and_b32_e32 v2, 7, v0
	v_lshrrev_b32_e32 v28, 3, v20
	v_cmp_gt_u32_e32 vcc, 8, v20
	v_ffbh_u32_e32 v20, v2
	v_min_u32_e32 v20, 32, v20
	v_subrev_u32_e32 v22, 28, v20
	v_lshlrev_b64 v[22:23], v22, v[0:1]
	v_sub_u32_e32 v20, 29, v20
	v_and_b32_e32 v22, 7, v22
	v_cndmask_b32_e32 v20, v28, v20, vcc
	v_cndmask_b32_e32 v2, v2, v22, vcc
	v_lshlrev_b32_e32 v0, 24, v0
	v_bfrev_b32_e32 v22, 60
	v_lshlrev_b32_e32 v2, 20, v2
	v_and_b32_e32 v0, 0x80000000, v0
	v_lshl_add_u32 v20, v20, 23, v22
	v_or3_b32 v2, v0, v20, v2
.LBB6_7487:                             ;   in Loop: Header=BB6_7203 Depth=3
	s_or_b64 exec, exec, s[34:35]
.LBB6_7488:                             ;   in Loop: Header=BB6_7203 Depth=3
	s_or_b64 exec, exec, s[30:31]
.LBB6_7489:                             ;   in Loop: Header=BB6_7203 Depth=3
	s_or_b64 exec, exec, s[28:29]
	v_lshrrev_b32_e32 v0, 16, v38
	v_cmp_ne_u16_sdwa vcc, v0, v21 src0_sel:BYTE_0 src1_sel:DWORD
	s_and_saveexec_b64 s[28:29], vcc
	s_cbranch_execz .LBB6_7495
; %bb.7490:                             ;   in Loop: Header=BB6_7203 Depth=3
	v_cmp_ne_u16_sdwa vcc, v0, s80 src0_sel:BYTE_0 src1_sel:DWORD
	v_bfrev_b32_e32 v1, 1
	s_and_saveexec_b64 s[30:31], vcc
	s_cbranch_execz .LBB6_7494
; %bb.7491:                             ;   in Loop: Header=BB6_7203 Depth=3
	v_bfe_u32 v20, v38, 16, 7
	v_cmp_ne_u32_e32 vcc, s81, v20
	v_mov_b32_e32 v1, 0x7f800001
	s_and_saveexec_b64 s[34:35], vcc
	s_cbranch_execz .LBB6_7493
; %bb.7492:                             ;   in Loop: Header=BB6_7203 Depth=3
	v_and_b32_e32 v22, 7, v0
	v_ffbh_u32_e32 v1, v22
	v_lshrrev_b32_e32 v23, 3, v20
	v_cmp_gt_u32_e32 vcc, 8, v20
	v_min_u32_e32 v20, 32, v1
	v_subrev_u32_e32 v1, 28, v20
	v_lshlrev_b64 v[0:1], v1, v[0:1]
	v_sub_u32_e32 v1, 29, v20
	v_and_b32_e32 v0, 7, v0
	v_cndmask_b32_e32 v1, v23, v1, vcc
	v_cndmask_b32_e32 v0, v22, v0, vcc
	v_lshlrev_b32_e32 v20, 8, v38
	v_bfrev_b32_e32 v22, 60
	v_lshlrev_b32_e32 v0, 20, v0
	v_and_b32_e32 v20, 0x80000000, v20
	v_lshl_add_u32 v1, v1, 23, v22
	v_or3_b32 v1, v20, v1, v0
.LBB6_7493:                             ;   in Loop: Header=BB6_7203 Depth=3
	s_or_b64 exec, exec, s[34:35]
.LBB6_7494:                             ;   in Loop: Header=BB6_7203 Depth=3
	s_or_b64 exec, exec, s[30:31]
.LBB6_7495:                             ;   in Loop: Header=BB6_7203 Depth=3
	s_or_b64 exec, exec, s[28:29]
	v_mul_f32_e32 v0, v2, v1
	v_and_b32_e32 v20, 0x7f800000, v0
	v_cmp_ne_u64_e32 vcc, s[62:63], v[20:21]
                                        ; implicit-def: $vgpr1
                                        ; kill: killed $vgpr1
	s_and_saveexec_b64 s[28:29], vcc
	s_xor_b64 s[30:31], exec, s[28:29]
	s_cbranch_execz .LBB6_7509
; %bb.7496:                             ;   in Loop: Header=BB6_7203 Depth=3
	v_and_b32_e32 v20, 0x7fffffff, v0
	v_cmp_gt_u64_e32 vcc, s[78:79], v[20:21]
	v_and_b32_sdwa v22, v0, s80 dst_sel:DWORD dst_unused:UNUSED_PAD src0_sel:BYTE_3 src1_sel:DWORD
                                        ; implicit-def: $vgpr1
                                        ; kill: killed $vgpr1
	s_and_saveexec_b64 s[28:29], vcc
	s_xor_b64 s[34:35], exec, s[28:29]
	s_cbranch_execz .LBB6_7506
; %bb.7497:                             ;   in Loop: Header=BB6_7203 Depth=3
	v_mov_b32_e32 v1, 0
	v_cmp_ne_u32_e32 vcc, 0, v0
	buffer_store_dword v1, off, s[0:3], s33 offset:136 ; 4-byte Folded Spill
	s_and_saveexec_b64 s[36:37], vcc
	s_cbranch_execz .LBB6_7505
; %bb.7498:                             ;   in Loop: Header=BB6_7203 Depth=3
	v_bfe_u32 v23, v0, 23, 8
	v_and_b32_e32 v1, 0x7fffff, v0
	v_cmp_gt_u32_e64 s[28:29], s47, v23
	v_sub_u32_e32 v0, 0x79, v23
	v_cmp_eq_u32_e32 vcc, 0, v23
	v_cndmask_b32_e64 v0, 0, v0, s[28:29]
	v_mov_b32_e32 v20, 0x78
	v_cndmask_b32_e32 v28, v0, v20, vcc
	v_or_b32_e32 v2, 0x800000, v1
	v_add_u32_e32 v0, 20, v28
	v_cndmask_b32_e32 v20, v2, v1, vcc
	v_lshlrev_b64 v[0:1], v0, -1
	v_add_u32_e32 v2, 19, v28
	v_lshlrev_b64 v[29:30], v2, 1
	v_bfi_b32 v1, v1, 0, 0
	v_bfi_b32 v0, v0, 0, v20
	v_cmp_eq_u64_e64 s[28:29], v[0:1], v[29:30]
	v_lshrrev_b64 v[0:1], v28, v[20:21]
	v_mov_b32_e32 v2, v1
	v_mov_b32_e32 v1, v0
	s_and_saveexec_b64 s[38:39], s[28:29]
; %bb.7499:                             ;   in Loop: Header=BB6_7203 Depth=3
	v_bfe_u32 v1, v0, 20, 1
	v_add_co_u32_e64 v1, s[28:29], v0, v1
	v_add_co_u32_e64 v1, s[28:29], -1, v1
; %bb.7500:                             ;   in Loop: Header=BB6_7203 Depth=3
	s_or_b64 exec, exec, s[38:39]
	v_add_u32_e32 v2, 0xffffff81, v23
	v_mov_b32_e32 v20, 0xffffff82
	v_cndmask_b32_e32 v2, v2, v20, vcc
	v_lshrrev_b32_e32 v20, 23, v0
	v_add3_u32 v28, v28, v2, v20
	v_add_u32_e32 v23, 6, v28
	v_and_b32_e32 v1, 0xfffff, v1
	v_add_u32_e32 v20, v1, v0
	v_cmp_ne_u32_e32 vcc, 0, v23
                                        ; implicit-def: $vgpr0_vgpr1
                                        ; implicit-def: $vgpr2
	s_and_saveexec_b64 s[28:29], vcc
	s_xor_b64 s[28:29], exec, s[28:29]
; %bb.7501:                             ;   in Loop: Header=BB6_7203 Depth=3
	v_cmp_lt_u64_e32 vcc, s[88:89], v[20:21]
	v_add_u32_e32 v0, 7, v28
	v_cndmask_b32_e32 v2, v23, v0, vcc
	v_cndmask_b32_e64 v0, 0, 1, vcc
	v_lshrrev_b64 v[0:1], v0, v[20:21]
; %bb.7502:                             ;   in Loop: Header=BB6_7203 Depth=3
	s_andn2_saveexec_b64 s[28:29], s[28:29]
; %bb.7503:                             ;   in Loop: Header=BB6_7203 Depth=3
	v_mov_b32_e32 v0, v20
	v_bfe_u32 v2, v20, 23, 1
	v_mov_b32_e32 v1, v21
; %bb.7504:                             ;   in Loop: Header=BB6_7203 Depth=3
	s_or_b64 exec, exec, s[28:29]
	v_lshrrev_b64 v[0:1], 20, v[0:1]
	v_cmp_gt_i32_e32 vcc, 16, v2
	v_cndmask_b32_e32 v1, 0, v1, vcc
	v_cndmask_b32_e32 v0, 7, v0, vcc
	v_cmp_eq_u64_e64 s[28:29], 0, v[0:1]
	v_min_i32_e32 v1, 15, v2
	v_lshlrev_b32_e32 v1, 3, v1
	v_cmp_eq_u32_e32 vcc, 0, v2
	v_and_b32_e32 v1, 0xf8, v1
	v_and_or_b32 v0, v0, 7, v1
	s_and_b64 s[28:29], vcc, s[28:29]
	v_cndmask_b32_e64 v0, v0, 0, s[28:29]
	v_or_b32_e32 v0, v0, v22
	buffer_store_dword v0, off, s[0:3], s33 offset:136 ; 4-byte Folded Spill
.LBB6_7505:                             ;   in Loop: Header=BB6_7203 Depth=3
	s_or_b64 exec, exec, s[36:37]
                                        ; implicit-def: $vgpr22
.LBB6_7506:                             ;   in Loop: Header=BB6_7203 Depth=3
	s_andn2_saveexec_b64 s[28:29], s[34:35]
	s_cbranch_execz .LBB6_7508
; %bb.7507:                             ;   in Loop: Header=BB6_7203 Depth=3
	v_or_b32_e32 v0, 0x7e, v22
	buffer_store_dword v0, off, s[0:3], s33 offset:136 ; 4-byte Folded Spill
.LBB6_7508:                             ;   in Loop: Header=BB6_7203 Depth=3
	s_or_b64 exec, exec, s[28:29]
                                        ; implicit-def: $vgpr0
.LBB6_7509:                             ;   in Loop: Header=BB6_7203 Depth=3
	s_andn2_saveexec_b64 s[28:29], s[30:31]
	s_cbranch_execz .LBB6_7511
; %bb.7510:                             ;   in Loop: Header=BB6_7203 Depth=3
	v_or_b32_sdwa v0, v0, s81 dst_sel:DWORD dst_unused:UNUSED_PAD src0_sel:BYTE_3 src1_sel:DWORD
	buffer_store_dword v0, off, s[0:3], s33 offset:136 ; 4-byte Folded Spill
.LBB6_7511:                             ;   in Loop: Header=BB6_7203 Depth=3
	s_or_b64 exec, exec, s[28:29]
	v_cmp_lt_u32_e32 vcc, s57, v50
	v_mov_b32_e32 v1, 0
	v_mov_b32_e32 v2, 0
	s_and_saveexec_b64 s[28:29], vcc
	s_cbranch_execz .LBB6_7517
; %bb.7512:                             ;   in Loop: Header=BB6_7203 Depth=3
	v_lshrrev_b32_e32 v0, 24, v50
	v_cmp_ne_u32_e32 vcc, s80, v0
	v_bfrev_b32_e32 v2, 1
	s_and_saveexec_b64 s[30:31], vcc
	s_cbranch_execz .LBB6_7516
; %bb.7513:                             ;   in Loop: Header=BB6_7203 Depth=3
	v_bfe_u32 v20, v50, 24, 7
	v_cmp_ne_u32_e32 vcc, s81, v20
	v_mov_b32_e32 v2, 0x7f800001
	s_and_saveexec_b64 s[34:35], vcc
	s_cbranch_execz .LBB6_7515
; %bb.7514:                             ;   in Loop: Header=BB6_7203 Depth=3
	v_and_b32_e32 v2, 7, v0
	v_lshrrev_b32_e32 v28, 3, v20
	v_cmp_gt_u32_e32 vcc, 8, v20
	v_ffbh_u32_e32 v20, v2
	v_min_u32_e32 v20, 32, v20
	v_subrev_u32_e32 v22, 28, v20
	v_lshlrev_b64 v[22:23], v22, v[0:1]
	v_sub_u32_e32 v20, 29, v20
	v_and_b32_e32 v22, 7, v22
	v_cndmask_b32_e32 v20, v28, v20, vcc
	v_cndmask_b32_e32 v2, v2, v22, vcc
	v_lshlrev_b32_e32 v0, 24, v0
	v_bfrev_b32_e32 v22, 60
	v_lshlrev_b32_e32 v2, 20, v2
	v_and_b32_e32 v0, 0x80000000, v0
	v_lshl_add_u32 v20, v20, 23, v22
	v_or3_b32 v2, v0, v20, v2
.LBB6_7515:                             ;   in Loop: Header=BB6_7203 Depth=3
	s_or_b64 exec, exec, s[34:35]
.LBB6_7516:                             ;   in Loop: Header=BB6_7203 Depth=3
	s_or_b64 exec, exec, s[30:31]
.LBB6_7517:                             ;   in Loop: Header=BB6_7203 Depth=3
	s_or_b64 exec, exec, s[28:29]
	v_cmp_lt_u32_e32 vcc, s57, v38
	s_and_saveexec_b64 s[28:29], vcc
	s_cbranch_execz .LBB6_7523
; %bb.7518:                             ;   in Loop: Header=BB6_7203 Depth=3
	v_lshrrev_b32_e32 v0, 24, v38
	v_cmp_ne_u32_e32 vcc, s80, v0
	v_bfrev_b32_e32 v1, 1
	s_and_saveexec_b64 s[30:31], vcc
	s_cbranch_execz .LBB6_7522
; %bb.7519:                             ;   in Loop: Header=BB6_7203 Depth=3
	v_bfe_u32 v20, v38, 24, 7
	v_cmp_ne_u32_e32 vcc, s81, v20
	v_mov_b32_e32 v1, 0x7f800001
	s_and_saveexec_b64 s[34:35], vcc
	s_cbranch_execz .LBB6_7521
; %bb.7520:                             ;   in Loop: Header=BB6_7203 Depth=3
	v_and_b32_e32 v1, 7, v0
	v_lshrrev_b32_e32 v28, 3, v20
	v_cmp_gt_u32_e32 vcc, 8, v20
	v_ffbh_u32_e32 v20, v1
	v_min_u32_e32 v20, 32, v20
	v_subrev_u32_e32 v22, 28, v20
	v_lshlrev_b64 v[22:23], v22, v[0:1]
	v_sub_u32_e32 v20, 29, v20
	v_and_b32_e32 v22, 7, v22
	v_cndmask_b32_e32 v20, v28, v20, vcc
	v_cndmask_b32_e32 v1, v1, v22, vcc
	v_lshlrev_b32_e32 v0, 24, v0
	v_bfrev_b32_e32 v22, 60
	v_lshlrev_b32_e32 v1, 20, v1
	v_and_b32_e32 v0, 0x80000000, v0
	v_lshl_add_u32 v20, v20, 23, v22
	v_or3_b32 v1, v0, v20, v1
.LBB6_7521:                             ;   in Loop: Header=BB6_7203 Depth=3
	s_or_b64 exec, exec, s[34:35]
.LBB6_7522:                             ;   in Loop: Header=BB6_7203 Depth=3
	s_or_b64 exec, exec, s[30:31]
.LBB6_7523:                             ;   in Loop: Header=BB6_7203 Depth=3
	s_or_b64 exec, exec, s[28:29]
	v_mul_f32_e32 v0, v2, v1
	v_and_b32_e32 v20, 0x7f800000, v0
	v_cmp_ne_u64_e32 vcc, s[62:63], v[20:21]
                                        ; implicit-def: $vgpr1
                                        ; kill: killed $vgpr1
	s_and_saveexec_b64 s[28:29], vcc
	s_xor_b64 s[30:31], exec, s[28:29]
	s_cbranch_execz .LBB6_7537
; %bb.7524:                             ;   in Loop: Header=BB6_7203 Depth=3
	v_and_b32_e32 v20, 0x7fffffff, v0
	v_cmp_gt_u64_e32 vcc, s[78:79], v[20:21]
	v_and_b32_sdwa v22, v0, s80 dst_sel:DWORD dst_unused:UNUSED_PAD src0_sel:BYTE_3 src1_sel:DWORD
                                        ; implicit-def: $vgpr1
                                        ; kill: killed $vgpr1
	s_and_saveexec_b64 s[28:29], vcc
	s_xor_b64 s[34:35], exec, s[28:29]
	s_cbranch_execz .LBB6_7534
; %bb.7525:                             ;   in Loop: Header=BB6_7203 Depth=3
	v_mov_b32_e32 v1, 0
	v_cmp_ne_u32_e32 vcc, 0, v0
	buffer_store_dword v1, off, s[0:3], s33 offset:140 ; 4-byte Folded Spill
	s_and_saveexec_b64 s[36:37], vcc
	s_cbranch_execz .LBB6_7533
; %bb.7526:                             ;   in Loop: Header=BB6_7203 Depth=3
	v_bfe_u32 v23, v0, 23, 8
	v_and_b32_e32 v1, 0x7fffff, v0
	v_cmp_gt_u32_e64 s[28:29], s47, v23
	v_sub_u32_e32 v0, 0x79, v23
	v_cmp_eq_u32_e32 vcc, 0, v23
	v_cndmask_b32_e64 v0, 0, v0, s[28:29]
	v_mov_b32_e32 v20, 0x78
	v_cndmask_b32_e32 v28, v0, v20, vcc
	v_or_b32_e32 v2, 0x800000, v1
	v_add_u32_e32 v0, 20, v28
	v_cndmask_b32_e32 v20, v2, v1, vcc
	v_lshlrev_b64 v[0:1], v0, -1
	v_add_u32_e32 v2, 19, v28
	v_lshlrev_b64 v[29:30], v2, 1
	v_bfi_b32 v1, v1, 0, 0
	v_bfi_b32 v0, v0, 0, v20
	v_cmp_eq_u64_e64 s[28:29], v[0:1], v[29:30]
	v_lshrrev_b64 v[0:1], v28, v[20:21]
	v_mov_b32_e32 v2, v1
	v_mov_b32_e32 v1, v0
	s_and_saveexec_b64 s[38:39], s[28:29]
; %bb.7527:                             ;   in Loop: Header=BB6_7203 Depth=3
	v_bfe_u32 v1, v0, 20, 1
	v_add_co_u32_e64 v1, s[28:29], v0, v1
	v_add_co_u32_e64 v1, s[28:29], -1, v1
; %bb.7528:                             ;   in Loop: Header=BB6_7203 Depth=3
	s_or_b64 exec, exec, s[38:39]
	v_add_u32_e32 v2, 0xffffff81, v23
	v_mov_b32_e32 v20, 0xffffff82
	v_cndmask_b32_e32 v2, v2, v20, vcc
	v_lshrrev_b32_e32 v20, 23, v0
	v_add3_u32 v28, v28, v2, v20
	v_add_u32_e32 v23, 6, v28
	v_and_b32_e32 v1, 0xfffff, v1
	v_add_u32_e32 v20, v1, v0
	v_cmp_ne_u32_e32 vcc, 0, v23
                                        ; implicit-def: $vgpr0_vgpr1
                                        ; implicit-def: $vgpr2
	s_and_saveexec_b64 s[28:29], vcc
	s_xor_b64 s[28:29], exec, s[28:29]
; %bb.7529:                             ;   in Loop: Header=BB6_7203 Depth=3
	v_cmp_lt_u64_e32 vcc, s[88:89], v[20:21]
	v_add_u32_e32 v0, 7, v28
	v_cndmask_b32_e32 v2, v23, v0, vcc
	v_cndmask_b32_e64 v0, 0, 1, vcc
	v_lshrrev_b64 v[0:1], v0, v[20:21]
; %bb.7530:                             ;   in Loop: Header=BB6_7203 Depth=3
	s_andn2_saveexec_b64 s[28:29], s[28:29]
; %bb.7531:                             ;   in Loop: Header=BB6_7203 Depth=3
	v_mov_b32_e32 v0, v20
	v_bfe_u32 v2, v20, 23, 1
	v_mov_b32_e32 v1, v21
; %bb.7532:                             ;   in Loop: Header=BB6_7203 Depth=3
	s_or_b64 exec, exec, s[28:29]
	v_lshrrev_b64 v[0:1], 20, v[0:1]
	v_cmp_gt_i32_e32 vcc, 16, v2
	v_cndmask_b32_e32 v1, 0, v1, vcc
	v_cndmask_b32_e32 v0, 7, v0, vcc
	v_cmp_eq_u64_e64 s[28:29], 0, v[0:1]
	v_min_i32_e32 v1, 15, v2
	v_lshlrev_b32_e32 v1, 3, v1
	v_cmp_eq_u32_e32 vcc, 0, v2
	v_and_b32_e32 v1, 0xf8, v1
	v_and_or_b32 v0, v0, 7, v1
	s_and_b64 s[28:29], vcc, s[28:29]
	v_cndmask_b32_e64 v0, v0, 0, s[28:29]
	v_or_b32_e32 v0, v0, v22
	buffer_store_dword v0, off, s[0:3], s33 offset:140 ; 4-byte Folded Spill
.LBB6_7533:                             ;   in Loop: Header=BB6_7203 Depth=3
	s_or_b64 exec, exec, s[36:37]
                                        ; implicit-def: $vgpr22
.LBB6_7534:                             ;   in Loop: Header=BB6_7203 Depth=3
	s_andn2_saveexec_b64 s[28:29], s[34:35]
	s_cbranch_execz .LBB6_7536
; %bb.7535:                             ;   in Loop: Header=BB6_7203 Depth=3
	v_or_b32_e32 v0, 0x7e, v22
	buffer_store_dword v0, off, s[0:3], s33 offset:140 ; 4-byte Folded Spill
.LBB6_7536:                             ;   in Loop: Header=BB6_7203 Depth=3
	s_or_b64 exec, exec, s[28:29]
                                        ; implicit-def: $vgpr0
.LBB6_7537:                             ;   in Loop: Header=BB6_7203 Depth=3
	s_andn2_saveexec_b64 s[28:29], s[30:31]
	s_cbranch_execz .LBB6_7539
; %bb.7538:                             ;   in Loop: Header=BB6_7203 Depth=3
	v_or_b32_sdwa v0, v0, s81 dst_sel:DWORD dst_unused:UNUSED_PAD src0_sel:BYTE_3 src1_sel:DWORD
	buffer_store_dword v0, off, s[0:3], s33 offset:140 ; 4-byte Folded Spill
.LBB6_7539:                             ;   in Loop: Header=BB6_7203 Depth=3
	s_or_b64 exec, exec, s[28:29]
	v_mov_b32_e32 v20, v51
	v_cmp_ne_u16_sdwa vcc, v51, v21 src0_sel:BYTE_0 src1_sel:DWORD
	v_mov_b32_e32 v1, 0
	v_mov_b32_e32 v0, 0
	s_and_saveexec_b64 s[28:29], vcc
	s_cbranch_execz .LBB6_7545
; %bb.7540:                             ;   in Loop: Header=BB6_7203 Depth=3
	v_cmp_ne_u16_sdwa vcc, v51, s80 src0_sel:BYTE_0 src1_sel:DWORD
	v_bfrev_b32_e32 v0, 1
	s_and_saveexec_b64 s[30:31], vcc
	s_cbranch_execz .LBB6_7544
; %bb.7541:                             ;   in Loop: Header=BB6_7203 Depth=3
	v_and_b32_e32 v2, 0x7f, v51
	v_cmp_ne_u32_e32 vcc, s81, v2
	v_mov_b32_e32 v0, 0x7f800001
	s_and_saveexec_b64 s[34:35], vcc
	s_cbranch_execz .LBB6_7543
; %bb.7542:                             ;   in Loop: Header=BB6_7203 Depth=3
	v_and_b32_e32 v0, 7, v51
	v_ffbh_u32_e32 v0, v0
	v_min_u32_e32 v0, 32, v0
	v_lshrrev_b32_e32 v22, 3, v2
	v_cmp_gt_u32_e32 vcc, 8, v2
	v_subrev_u32_e32 v2, 28, v0
	v_sub_u32_e32 v0, 29, v0
	v_cndmask_b32_e32 v2, 0, v2, vcc
	v_cndmask_b32_e32 v0, v22, v0, vcc
	v_lshlrev_b64 v[22:23], v2, v[20:21]
	v_bfrev_b32_e32 v23, 60
	v_lshlrev_b32_e32 v2, 20, v22
	v_lshlrev_b32_e32 v22, 24, v20
	v_and_b32_e32 v2, 0x700000, v2
	v_and_b32_e32 v22, 0x80000000, v22
	v_lshl_add_u32 v0, v0, 23, v23
	v_or3_b32 v0, v22, v0, v2
.LBB6_7543:                             ;   in Loop: Header=BB6_7203 Depth=3
	s_or_b64 exec, exec, s[34:35]
.LBB6_7544:                             ;   in Loop: Header=BB6_7203 Depth=3
	s_or_b64 exec, exec, s[30:31]
.LBB6_7545:                             ;   in Loop: Header=BB6_7203 Depth=3
	s_or_b64 exec, exec, s[28:29]
	v_cmp_ne_u16_sdwa vcc, v39, v21 src0_sel:BYTE_0 src1_sel:DWORD
	s_and_saveexec_b64 s[28:29], vcc
	s_cbranch_execz .LBB6_7551
; %bb.7546:                             ;   in Loop: Header=BB6_7203 Depth=3
	v_cmp_ne_u16_sdwa vcc, v39, s80 src0_sel:BYTE_0 src1_sel:DWORD
	v_bfrev_b32_e32 v1, 1
	s_and_saveexec_b64 s[30:31], vcc
	s_cbranch_execz .LBB6_7550
; %bb.7547:                             ;   in Loop: Header=BB6_7203 Depth=3
	v_and_b32_e32 v2, 0x7f, v39
	v_cmp_ne_u32_e32 vcc, s81, v2
	v_mov_b32_e32 v1, 0x7f800001
	s_and_saveexec_b64 s[34:35], vcc
	s_cbranch_execz .LBB6_7549
; %bb.7548:                             ;   in Loop: Header=BB6_7203 Depth=3
	v_and_b32_e32 v1, 7, v39
	v_ffbh_u32_e32 v1, v1
	v_min_u32_e32 v1, 32, v1
	v_lshrrev_b32_e32 v28, 3, v2
	v_cmp_gt_u32_e32 vcc, 8, v2
	v_subrev_u32_e32 v2, 28, v1
	v_sub_u32_e32 v1, 29, v1
	v_mov_b32_e32 v22, v39
	v_mov_b32_e32 v23, v21
	v_cndmask_b32_e32 v28, v28, v1, vcc
	v_cndmask_b32_e32 v1, 0, v2, vcc
	v_lshlrev_b64 v[1:2], v1, v[22:23]
	v_lshlrev_b32_e32 v2, 24, v22
	v_lshlrev_b32_e32 v1, 20, v1
	v_bfrev_b32_e32 v22, 60
	v_and_b32_e32 v1, 0x700000, v1
	v_and_b32_e32 v2, 0x80000000, v2
	v_lshl_add_u32 v22, v28, 23, v22
	v_or3_b32 v1, v2, v22, v1
.LBB6_7549:                             ;   in Loop: Header=BB6_7203 Depth=3
	s_or_b64 exec, exec, s[34:35]
.LBB6_7550:                             ;   in Loop: Header=BB6_7203 Depth=3
	s_or_b64 exec, exec, s[30:31]
.LBB6_7551:                             ;   in Loop: Header=BB6_7203 Depth=3
	s_or_b64 exec, exec, s[28:29]
	v_mul_f32_e32 v0, v0, v1
	v_and_b32_e32 v1, 0x7f800000, v0
	v_mov_b32_e32 v2, v21
	v_cmp_ne_u64_e32 vcc, s[62:63], v[1:2]
                                        ; implicit-def: $vgpr1
                                        ; kill: killed $vgpr1
	s_and_saveexec_b64 s[28:29], vcc
	s_xor_b64 s[30:31], exec, s[28:29]
	s_cbranch_execz .LBB6_7565
; %bb.7552:                             ;   in Loop: Header=BB6_7203 Depth=3
	v_and_b32_e32 v1, 0x7fffffff, v0
	v_mov_b32_e32 v2, v21
	v_cmp_gt_u64_e32 vcc, s[78:79], v[1:2]
	v_and_b32_sdwa v22, v0, s80 dst_sel:DWORD dst_unused:UNUSED_PAD src0_sel:BYTE_3 src1_sel:DWORD
                                        ; implicit-def: $vgpr1
                                        ; kill: killed $vgpr1
	s_and_saveexec_b64 s[28:29], vcc
	s_xor_b64 s[34:35], exec, s[28:29]
	s_cbranch_execz .LBB6_7562
; %bb.7553:                             ;   in Loop: Header=BB6_7203 Depth=3
	v_mov_b32_e32 v1, 0
	v_cmp_ne_u32_e32 vcc, 0, v0
	buffer_store_dword v1, off, s[0:3], s33 offset:144 ; 4-byte Folded Spill
	s_and_saveexec_b64 s[36:37], vcc
	s_cbranch_execz .LBB6_7561
; %bb.7554:                             ;   in Loop: Header=BB6_7203 Depth=3
	v_bfe_u32 v23, v0, 23, 8
	v_and_b32_e32 v1, 0x7fffff, v0
	v_cmp_gt_u32_e64 s[28:29], s47, v23
	v_sub_u32_e32 v0, 0x79, v23
	v_cmp_eq_u32_e32 vcc, 0, v23
	v_cndmask_b32_e64 v0, 0, v0, s[28:29]
	v_mov_b32_e32 v28, 0x78
	v_or_b32_e32 v2, 0x800000, v1
	v_cndmask_b32_e32 v28, v0, v28, vcc
	v_cndmask_b32_e32 v0, v2, v1, vcc
	v_add_u32_e32 v2, 20, v28
	v_lshlrev_b64 v[29:30], v2, -1
	v_mov_b32_e32 v1, v21
	v_add_u32_e32 v2, 19, v28
	v_bfi_b32 v29, v29, 0, v0
	v_lshlrev_b64 v[36:37], v2, 1
	v_lshrrev_b64 v[0:1], v28, v[0:1]
	v_bfi_b32 v30, v30, 0, 0
	v_cmp_eq_u64_e64 s[28:29], v[29:30], v[36:37]
	v_mov_b32_e32 v2, v1
	v_mov_b32_e32 v1, v0
	s_and_saveexec_b64 s[38:39], s[28:29]
; %bb.7555:                             ;   in Loop: Header=BB6_7203 Depth=3
	v_bfe_u32 v1, v0, 20, 1
	v_add_co_u32_e64 v1, s[28:29], v0, v1
	v_add_co_u32_e64 v1, s[28:29], -1, v1
; %bb.7556:                             ;   in Loop: Header=BB6_7203 Depth=3
	s_or_b64 exec, exec, s[38:39]
	v_add_u32_e32 v2, 0xffffff81, v23
	v_mov_b32_e32 v23, 0xffffff82
	v_cndmask_b32_e32 v2, v2, v23, vcc
	v_lshrrev_b32_e32 v23, 23, v0
	v_add3_u32 v23, v28, v2, v23
	v_add_u32_e32 v2, 6, v23
	v_and_b32_e32 v1, 0xfffff, v1
	v_add_u32_e32 v36, v1, v0
	v_mov_b32_e32 v37, v21
	v_cmp_ne_u32_e32 vcc, 0, v2
                                        ; implicit-def: $vgpr0
	s_and_saveexec_b64 s[28:29], vcc
	s_xor_b64 s[28:29], exec, s[28:29]
; %bb.7557:                             ;   in Loop: Header=BB6_7203 Depth=3
	v_cmp_lt_u64_e32 vcc, s[88:89], v[36:37]
	v_add_u32_e32 v0, 7, v23
	v_cndmask_b32_e64 v1, 0, 1, vcc
	v_cndmask_b32_e32 v0, v2, v0, vcc
	v_lshrrev_b64 v[36:37], v1, v[36:37]
; %bb.7558:                             ;   in Loop: Header=BB6_7203 Depth=3
	s_andn2_saveexec_b64 s[28:29], s[28:29]
; %bb.7559:                             ;   in Loop: Header=BB6_7203 Depth=3
	v_bfe_u32 v0, v36, 23, 1
; %bb.7560:                             ;   in Loop: Header=BB6_7203 Depth=3
	s_or_b64 exec, exec, s[28:29]
	v_lshrrev_b64 v[1:2], 20, v[36:37]
	v_cmp_gt_i32_e32 vcc, 16, v0
	v_cndmask_b32_e32 v2, 0, v2, vcc
	v_cndmask_b32_e32 v1, 7, v1, vcc
	v_cmp_eq_u32_e32 vcc, 0, v0
	v_min_i32_e32 v0, 15, v0
	v_cmp_eq_u64_e64 s[28:29], 0, v[1:2]
	v_lshlrev_b32_e32 v0, 3, v0
	v_and_b32_e32 v0, 0xf8, v0
	v_and_or_b32 v0, v1, 7, v0
	s_and_b64 s[28:29], vcc, s[28:29]
	v_cndmask_b32_e64 v0, v0, 0, s[28:29]
	v_or_b32_e32 v0, v0, v22
	buffer_store_dword v0, off, s[0:3], s33 offset:144 ; 4-byte Folded Spill
.LBB6_7561:                             ;   in Loop: Header=BB6_7203 Depth=3
	s_or_b64 exec, exec, s[36:37]
                                        ; implicit-def: $vgpr22
.LBB6_7562:                             ;   in Loop: Header=BB6_7203 Depth=3
	s_andn2_saveexec_b64 s[28:29], s[34:35]
	s_cbranch_execz .LBB6_7564
; %bb.7563:                             ;   in Loop: Header=BB6_7203 Depth=3
	v_or_b32_e32 v0, 0x7e, v22
	buffer_store_dword v0, off, s[0:3], s33 offset:144 ; 4-byte Folded Spill
.LBB6_7564:                             ;   in Loop: Header=BB6_7203 Depth=3
	s_or_b64 exec, exec, s[28:29]
                                        ; implicit-def: $vgpr0
.LBB6_7565:                             ;   in Loop: Header=BB6_7203 Depth=3
	s_andn2_saveexec_b64 s[28:29], s[30:31]
	s_cbranch_execz .LBB6_7567
; %bb.7566:                             ;   in Loop: Header=BB6_7203 Depth=3
	v_or_b32_sdwa v0, v0, s81 dst_sel:DWORD dst_unused:UNUSED_PAD src0_sel:BYTE_3 src1_sel:DWORD
	buffer_store_dword v0, off, s[0:3], s33 offset:144 ; 4-byte Folded Spill
.LBB6_7567:                             ;   in Loop: Header=BB6_7203 Depth=3
	s_or_b64 exec, exec, s[28:29]
	v_lshrrev_b16_e32 v0, 8, v20
	v_cmp_ne_u16_e32 vcc, 0, v0
	v_mov_b32_e32 v1, 0
	v_mov_b32_e32 v2, 0
	s_and_saveexec_b64 s[28:29], vcc
	s_cbranch_execz .LBB6_7573
; %bb.7568:                             ;   in Loop: Header=BB6_7203 Depth=3
	v_cmp_ne_u16_e32 vcc, s80, v0
	v_bfrev_b32_e32 v2, 1
	s_and_saveexec_b64 s[30:31], vcc
	s_cbranch_execz .LBB6_7572
; %bb.7569:                             ;   in Loop: Header=BB6_7203 Depth=3
	v_and_b32_e32 v22, 0x7f, v0
	v_cmp_ne_u32_e32 vcc, s81, v22
	v_mov_b32_e32 v2, 0x7f800001
	s_and_saveexec_b64 s[34:35], vcc
	s_cbranch_execz .LBB6_7571
; %bb.7570:                             ;   in Loop: Header=BB6_7203 Depth=3
	v_and_b32_e32 v2, 7, v0
	v_lshrrev_b32_e32 v28, 3, v22
	v_cmp_gt_u32_e32 vcc, 8, v22
	v_ffbh_u32_e32 v22, v2
	v_min_u32_e32 v29, 32, v22
	v_subrev_u32_e32 v22, 28, v29
	v_lshlrev_b64 v[22:23], v22, v[0:1]
	v_sub_u32_e32 v0, 29, v29
	v_and_b32_e32 v22, 7, v22
	v_cndmask_b32_e32 v0, v28, v0, vcc
	v_cndmask_b32_e32 v2, v2, v22, vcc
	v_lshlrev_b32_e32 v20, 16, v20
	v_bfrev_b32_e32 v22, 60
	v_lshlrev_b32_e32 v2, 20, v2
	v_and_b32_e32 v20, 0x80000000, v20
	v_lshl_add_u32 v0, v0, 23, v22
	v_or3_b32 v2, v20, v0, v2
.LBB6_7571:                             ;   in Loop: Header=BB6_7203 Depth=3
	s_or_b64 exec, exec, s[34:35]
.LBB6_7572:                             ;   in Loop: Header=BB6_7203 Depth=3
	s_or_b64 exec, exec, s[30:31]
.LBB6_7573:                             ;   in Loop: Header=BB6_7203 Depth=3
	s_or_b64 exec, exec, s[28:29]
	v_lshrrev_b16_e32 v0, 8, v39
	v_cmp_ne_u16_e32 vcc, 0, v0
	s_and_saveexec_b64 s[28:29], vcc
	s_cbranch_execz .LBB6_7579
; %bb.7574:                             ;   in Loop: Header=BB6_7203 Depth=3
	v_cmp_ne_u16_e32 vcc, s80, v0
	v_bfrev_b32_e32 v1, 1
	s_and_saveexec_b64 s[30:31], vcc
	s_cbranch_execz .LBB6_7578
; %bb.7575:                             ;   in Loop: Header=BB6_7203 Depth=3
	v_and_b32_e32 v20, 0x7f, v0
	v_cmp_ne_u32_e32 vcc, s81, v20
	v_mov_b32_e32 v1, 0x7f800001
	s_and_saveexec_b64 s[34:35], vcc
	s_cbranch_execz .LBB6_7577
; %bb.7576:                             ;   in Loop: Header=BB6_7203 Depth=3
	v_and_b32_e32 v22, 7, v0
	v_ffbh_u32_e32 v1, v22
	v_lshrrev_b32_e32 v23, 3, v20
	v_cmp_gt_u32_e32 vcc, 8, v20
	v_min_u32_e32 v20, 32, v1
	v_subrev_u32_e32 v1, 28, v20
	v_lshlrev_b64 v[0:1], v1, v[0:1]
	v_sub_u32_e32 v1, 29, v20
	v_and_b32_e32 v0, 7, v0
	v_cndmask_b32_e32 v1, v23, v1, vcc
	v_cndmask_b32_e32 v0, v22, v0, vcc
	v_lshlrev_b32_e32 v20, 16, v39
	v_bfrev_b32_e32 v22, 60
	v_lshlrev_b32_e32 v0, 20, v0
	v_and_b32_e32 v20, 0x80000000, v20
	v_lshl_add_u32 v1, v1, 23, v22
	v_or3_b32 v1, v20, v1, v0
.LBB6_7577:                             ;   in Loop: Header=BB6_7203 Depth=3
	s_or_b64 exec, exec, s[34:35]
.LBB6_7578:                             ;   in Loop: Header=BB6_7203 Depth=3
	s_or_b64 exec, exec, s[30:31]
.LBB6_7579:                             ;   in Loop: Header=BB6_7203 Depth=3
	s_or_b64 exec, exec, s[28:29]
	v_mul_f32_e32 v0, v2, v1
	v_and_b32_e32 v20, 0x7f800000, v0
	v_cmp_ne_u64_e32 vcc, s[62:63], v[20:21]
                                        ; implicit-def: $vgpr1
                                        ; kill: killed $vgpr1
	s_and_saveexec_b64 s[28:29], vcc
	s_xor_b64 s[30:31], exec, s[28:29]
	s_cbranch_execz .LBB6_7593
; %bb.7580:                             ;   in Loop: Header=BB6_7203 Depth=3
	v_and_b32_e32 v20, 0x7fffffff, v0
	v_cmp_gt_u64_e32 vcc, s[78:79], v[20:21]
	v_and_b32_sdwa v22, v0, s80 dst_sel:DWORD dst_unused:UNUSED_PAD src0_sel:BYTE_3 src1_sel:DWORD
                                        ; implicit-def: $vgpr1
                                        ; kill: killed $vgpr1
	s_and_saveexec_b64 s[28:29], vcc
	s_xor_b64 s[34:35], exec, s[28:29]
	s_cbranch_execz .LBB6_7590
; %bb.7581:                             ;   in Loop: Header=BB6_7203 Depth=3
	v_mov_b32_e32 v1, 0
	v_cmp_ne_u32_e32 vcc, 0, v0
	buffer_store_dword v1, off, s[0:3], s33 offset:148 ; 4-byte Folded Spill
	s_and_saveexec_b64 s[36:37], vcc
	s_cbranch_execz .LBB6_7589
; %bb.7582:                             ;   in Loop: Header=BB6_7203 Depth=3
	v_bfe_u32 v23, v0, 23, 8
	v_and_b32_e32 v1, 0x7fffff, v0
	v_cmp_gt_u32_e64 s[28:29], s47, v23
	v_sub_u32_e32 v0, 0x79, v23
	v_cmp_eq_u32_e32 vcc, 0, v23
	v_cndmask_b32_e64 v0, 0, v0, s[28:29]
	v_mov_b32_e32 v20, 0x78
	v_cndmask_b32_e32 v28, v0, v20, vcc
	v_or_b32_e32 v2, 0x800000, v1
	v_add_u32_e32 v0, 20, v28
	v_cndmask_b32_e32 v20, v2, v1, vcc
	v_lshlrev_b64 v[0:1], v0, -1
	v_add_u32_e32 v2, 19, v28
	v_lshlrev_b64 v[29:30], v2, 1
	v_bfi_b32 v1, v1, 0, 0
	v_bfi_b32 v0, v0, 0, v20
	v_cmp_eq_u64_e64 s[28:29], v[0:1], v[29:30]
	v_lshrrev_b64 v[0:1], v28, v[20:21]
	v_mov_b32_e32 v2, v1
	v_mov_b32_e32 v1, v0
	s_and_saveexec_b64 s[38:39], s[28:29]
; %bb.7583:                             ;   in Loop: Header=BB6_7203 Depth=3
	v_bfe_u32 v1, v0, 20, 1
	v_add_co_u32_e64 v1, s[28:29], v0, v1
	v_add_co_u32_e64 v1, s[28:29], -1, v1
; %bb.7584:                             ;   in Loop: Header=BB6_7203 Depth=3
	s_or_b64 exec, exec, s[38:39]
	v_add_u32_e32 v2, 0xffffff81, v23
	v_mov_b32_e32 v20, 0xffffff82
	v_cndmask_b32_e32 v2, v2, v20, vcc
	v_lshrrev_b32_e32 v20, 23, v0
	v_add3_u32 v28, v28, v2, v20
	v_add_u32_e32 v23, 6, v28
	v_and_b32_e32 v1, 0xfffff, v1
	v_add_u32_e32 v20, v1, v0
	v_cmp_ne_u32_e32 vcc, 0, v23
                                        ; implicit-def: $vgpr0_vgpr1
                                        ; implicit-def: $vgpr2
	s_and_saveexec_b64 s[28:29], vcc
	s_xor_b64 s[28:29], exec, s[28:29]
; %bb.7585:                             ;   in Loop: Header=BB6_7203 Depth=3
	v_cmp_lt_u64_e32 vcc, s[88:89], v[20:21]
	v_add_u32_e32 v0, 7, v28
	v_cndmask_b32_e32 v2, v23, v0, vcc
	v_cndmask_b32_e64 v0, 0, 1, vcc
	v_lshrrev_b64 v[0:1], v0, v[20:21]
; %bb.7586:                             ;   in Loop: Header=BB6_7203 Depth=3
	s_andn2_saveexec_b64 s[28:29], s[28:29]
; %bb.7587:                             ;   in Loop: Header=BB6_7203 Depth=3
	v_mov_b32_e32 v0, v20
	v_bfe_u32 v2, v20, 23, 1
	v_mov_b32_e32 v1, v21
; %bb.7588:                             ;   in Loop: Header=BB6_7203 Depth=3
	s_or_b64 exec, exec, s[28:29]
	v_lshrrev_b64 v[0:1], 20, v[0:1]
	v_cmp_gt_i32_e32 vcc, 16, v2
	v_cndmask_b32_e32 v1, 0, v1, vcc
	v_cndmask_b32_e32 v0, 7, v0, vcc
	v_cmp_eq_u64_e64 s[28:29], 0, v[0:1]
	v_min_i32_e32 v1, 15, v2
	v_lshlrev_b32_e32 v1, 3, v1
	v_cmp_eq_u32_e32 vcc, 0, v2
	v_and_b32_e32 v1, 0xf8, v1
	v_and_or_b32 v0, v0, 7, v1
	s_and_b64 s[28:29], vcc, s[28:29]
	v_cndmask_b32_e64 v0, v0, 0, s[28:29]
	v_or_b32_e32 v0, v0, v22
	buffer_store_dword v0, off, s[0:3], s33 offset:148 ; 4-byte Folded Spill
.LBB6_7589:                             ;   in Loop: Header=BB6_7203 Depth=3
	s_or_b64 exec, exec, s[36:37]
                                        ; implicit-def: $vgpr22
.LBB6_7590:                             ;   in Loop: Header=BB6_7203 Depth=3
	s_andn2_saveexec_b64 s[28:29], s[34:35]
	s_cbranch_execz .LBB6_7592
; %bb.7591:                             ;   in Loop: Header=BB6_7203 Depth=3
	v_or_b32_e32 v0, 0x7e, v22
	buffer_store_dword v0, off, s[0:3], s33 offset:148 ; 4-byte Folded Spill
.LBB6_7592:                             ;   in Loop: Header=BB6_7203 Depth=3
	s_or_b64 exec, exec, s[28:29]
                                        ; implicit-def: $vgpr0
.LBB6_7593:                             ;   in Loop: Header=BB6_7203 Depth=3
	s_andn2_saveexec_b64 s[28:29], s[30:31]
	s_cbranch_execz .LBB6_7595
; %bb.7594:                             ;   in Loop: Header=BB6_7203 Depth=3
	v_or_b32_sdwa v0, v0, s81 dst_sel:DWORD dst_unused:UNUSED_PAD src0_sel:BYTE_3 src1_sel:DWORD
	buffer_store_dword v0, off, s[0:3], s33 offset:148 ; 4-byte Folded Spill
.LBB6_7595:                             ;   in Loop: Header=BB6_7203 Depth=3
	s_or_b64 exec, exec, s[28:29]
	v_lshrrev_b32_e32 v0, 16, v51
	v_cmp_ne_u16_sdwa vcc, v0, v21 src0_sel:BYTE_0 src1_sel:DWORD
	v_mov_b32_e32 v1, 0
	v_mov_b32_e32 v2, 0
	s_and_saveexec_b64 s[28:29], vcc
	s_cbranch_execz .LBB6_7601
; %bb.7596:                             ;   in Loop: Header=BB6_7203 Depth=3
	v_cmp_ne_u16_sdwa vcc, v0, s80 src0_sel:BYTE_0 src1_sel:DWORD
	v_bfrev_b32_e32 v2, 1
	s_and_saveexec_b64 s[30:31], vcc
	s_cbranch_execz .LBB6_7600
; %bb.7597:                             ;   in Loop: Header=BB6_7203 Depth=3
	v_bfe_u32 v20, v51, 16, 7
	v_cmp_ne_u32_e32 vcc, s81, v20
	v_mov_b32_e32 v2, 0x7f800001
	s_and_saveexec_b64 s[34:35], vcc
	s_cbranch_execz .LBB6_7599
; %bb.7598:                             ;   in Loop: Header=BB6_7203 Depth=3
	v_and_b32_e32 v2, 7, v0
	v_lshrrev_b32_e32 v28, 3, v20
	v_cmp_gt_u32_e32 vcc, 8, v20
	v_ffbh_u32_e32 v20, v2
	v_min_u32_e32 v20, 32, v20
	v_subrev_u32_e32 v22, 28, v20
	v_lshlrev_b64 v[22:23], v22, v[0:1]
	v_sub_u32_e32 v20, 29, v20
	v_and_b32_e32 v22, 7, v22
	v_cndmask_b32_e32 v20, v28, v20, vcc
	v_cndmask_b32_e32 v2, v2, v22, vcc
	v_lshlrev_b32_e32 v0, 24, v0
	v_bfrev_b32_e32 v22, 60
	v_lshlrev_b32_e32 v2, 20, v2
	v_and_b32_e32 v0, 0x80000000, v0
	v_lshl_add_u32 v20, v20, 23, v22
	v_or3_b32 v2, v0, v20, v2
.LBB6_7599:                             ;   in Loop: Header=BB6_7203 Depth=3
	s_or_b64 exec, exec, s[34:35]
.LBB6_7600:                             ;   in Loop: Header=BB6_7203 Depth=3
	s_or_b64 exec, exec, s[30:31]
.LBB6_7601:                             ;   in Loop: Header=BB6_7203 Depth=3
	s_or_b64 exec, exec, s[28:29]
	v_lshrrev_b32_e32 v0, 16, v39
	v_cmp_ne_u16_sdwa vcc, v0, v21 src0_sel:BYTE_0 src1_sel:DWORD
	s_and_saveexec_b64 s[28:29], vcc
	s_cbranch_execz .LBB6_7607
; %bb.7602:                             ;   in Loop: Header=BB6_7203 Depth=3
	v_cmp_ne_u16_sdwa vcc, v0, s80 src0_sel:BYTE_0 src1_sel:DWORD
	v_bfrev_b32_e32 v1, 1
	s_and_saveexec_b64 s[30:31], vcc
	s_cbranch_execz .LBB6_7606
; %bb.7603:                             ;   in Loop: Header=BB6_7203 Depth=3
	v_bfe_u32 v20, v39, 16, 7
	v_cmp_ne_u32_e32 vcc, s81, v20
	v_mov_b32_e32 v1, 0x7f800001
	s_and_saveexec_b64 s[34:35], vcc
	s_cbranch_execz .LBB6_7605
; %bb.7604:                             ;   in Loop: Header=BB6_7203 Depth=3
	v_and_b32_e32 v22, 7, v0
	v_ffbh_u32_e32 v1, v22
	v_lshrrev_b32_e32 v23, 3, v20
	v_cmp_gt_u32_e32 vcc, 8, v20
	v_min_u32_e32 v20, 32, v1
	v_subrev_u32_e32 v1, 28, v20
	v_lshlrev_b64 v[0:1], v1, v[0:1]
	v_sub_u32_e32 v1, 29, v20
	v_and_b32_e32 v0, 7, v0
	v_cndmask_b32_e32 v1, v23, v1, vcc
	v_cndmask_b32_e32 v0, v22, v0, vcc
	v_lshlrev_b32_e32 v20, 8, v39
	v_bfrev_b32_e32 v22, 60
	v_lshlrev_b32_e32 v0, 20, v0
	v_and_b32_e32 v20, 0x80000000, v20
	v_lshl_add_u32 v1, v1, 23, v22
	v_or3_b32 v1, v20, v1, v0
.LBB6_7605:                             ;   in Loop: Header=BB6_7203 Depth=3
	s_or_b64 exec, exec, s[34:35]
.LBB6_7606:                             ;   in Loop: Header=BB6_7203 Depth=3
	s_or_b64 exec, exec, s[30:31]
.LBB6_7607:                             ;   in Loop: Header=BB6_7203 Depth=3
	s_or_b64 exec, exec, s[28:29]
	v_mul_f32_e32 v0, v2, v1
	v_and_b32_e32 v20, 0x7f800000, v0
	v_cmp_ne_u64_e32 vcc, s[62:63], v[20:21]
                                        ; implicit-def: $vgpr1
                                        ; kill: killed $vgpr1
	s_and_saveexec_b64 s[28:29], vcc
	s_xor_b64 s[30:31], exec, s[28:29]
	s_cbranch_execz .LBB6_7621
; %bb.7608:                             ;   in Loop: Header=BB6_7203 Depth=3
	v_and_b32_e32 v20, 0x7fffffff, v0
	v_cmp_gt_u64_e32 vcc, s[78:79], v[20:21]
	v_and_b32_sdwa v22, v0, s80 dst_sel:DWORD dst_unused:UNUSED_PAD src0_sel:BYTE_3 src1_sel:DWORD
                                        ; implicit-def: $vgpr1
                                        ; kill: killed $vgpr1
	s_and_saveexec_b64 s[28:29], vcc
	s_xor_b64 s[34:35], exec, s[28:29]
	s_cbranch_execz .LBB6_7618
; %bb.7609:                             ;   in Loop: Header=BB6_7203 Depth=3
	v_mov_b32_e32 v1, 0
	v_cmp_ne_u32_e32 vcc, 0, v0
	buffer_store_dword v1, off, s[0:3], s33 offset:152 ; 4-byte Folded Spill
	s_and_saveexec_b64 s[36:37], vcc
	s_cbranch_execz .LBB6_7617
; %bb.7610:                             ;   in Loop: Header=BB6_7203 Depth=3
	v_bfe_u32 v23, v0, 23, 8
	v_and_b32_e32 v1, 0x7fffff, v0
	v_cmp_gt_u32_e64 s[28:29], s47, v23
	v_sub_u32_e32 v0, 0x79, v23
	v_cmp_eq_u32_e32 vcc, 0, v23
	v_cndmask_b32_e64 v0, 0, v0, s[28:29]
	v_mov_b32_e32 v20, 0x78
	v_cndmask_b32_e32 v28, v0, v20, vcc
	v_or_b32_e32 v2, 0x800000, v1
	v_add_u32_e32 v0, 20, v28
	v_cndmask_b32_e32 v20, v2, v1, vcc
	v_lshlrev_b64 v[0:1], v0, -1
	v_add_u32_e32 v2, 19, v28
	v_lshlrev_b64 v[29:30], v2, 1
	v_bfi_b32 v1, v1, 0, 0
	v_bfi_b32 v0, v0, 0, v20
	v_cmp_eq_u64_e64 s[28:29], v[0:1], v[29:30]
	v_lshrrev_b64 v[0:1], v28, v[20:21]
	v_mov_b32_e32 v2, v1
	v_mov_b32_e32 v1, v0
	s_and_saveexec_b64 s[38:39], s[28:29]
; %bb.7611:                             ;   in Loop: Header=BB6_7203 Depth=3
	v_bfe_u32 v1, v0, 20, 1
	v_add_co_u32_e64 v1, s[28:29], v0, v1
	v_add_co_u32_e64 v1, s[28:29], -1, v1
; %bb.7612:                             ;   in Loop: Header=BB6_7203 Depth=3
	s_or_b64 exec, exec, s[38:39]
	v_add_u32_e32 v2, 0xffffff81, v23
	v_mov_b32_e32 v20, 0xffffff82
	v_cndmask_b32_e32 v2, v2, v20, vcc
	v_lshrrev_b32_e32 v20, 23, v0
	v_add3_u32 v28, v28, v2, v20
	v_add_u32_e32 v23, 6, v28
	v_and_b32_e32 v1, 0xfffff, v1
	v_add_u32_e32 v20, v1, v0
	v_cmp_ne_u32_e32 vcc, 0, v23
                                        ; implicit-def: $vgpr0_vgpr1
                                        ; implicit-def: $vgpr2
	s_and_saveexec_b64 s[28:29], vcc
	s_xor_b64 s[28:29], exec, s[28:29]
; %bb.7613:                             ;   in Loop: Header=BB6_7203 Depth=3
	v_cmp_lt_u64_e32 vcc, s[88:89], v[20:21]
	v_add_u32_e32 v0, 7, v28
	v_cndmask_b32_e32 v2, v23, v0, vcc
	v_cndmask_b32_e64 v0, 0, 1, vcc
	v_lshrrev_b64 v[0:1], v0, v[20:21]
; %bb.7614:                             ;   in Loop: Header=BB6_7203 Depth=3
	s_andn2_saveexec_b64 s[28:29], s[28:29]
; %bb.7615:                             ;   in Loop: Header=BB6_7203 Depth=3
	v_mov_b32_e32 v0, v20
	v_bfe_u32 v2, v20, 23, 1
	v_mov_b32_e32 v1, v21
; %bb.7616:                             ;   in Loop: Header=BB6_7203 Depth=3
	s_or_b64 exec, exec, s[28:29]
	v_lshrrev_b64 v[0:1], 20, v[0:1]
	v_cmp_gt_i32_e32 vcc, 16, v2
	v_cndmask_b32_e32 v1, 0, v1, vcc
	v_cndmask_b32_e32 v0, 7, v0, vcc
	v_cmp_eq_u64_e64 s[28:29], 0, v[0:1]
	v_min_i32_e32 v1, 15, v2
	v_lshlrev_b32_e32 v1, 3, v1
	v_cmp_eq_u32_e32 vcc, 0, v2
	v_and_b32_e32 v1, 0xf8, v1
	v_and_or_b32 v0, v0, 7, v1
	s_and_b64 s[28:29], vcc, s[28:29]
	v_cndmask_b32_e64 v0, v0, 0, s[28:29]
	v_or_b32_e32 v0, v0, v22
	buffer_store_dword v0, off, s[0:3], s33 offset:152 ; 4-byte Folded Spill
.LBB6_7617:                             ;   in Loop: Header=BB6_7203 Depth=3
	s_or_b64 exec, exec, s[36:37]
                                        ; implicit-def: $vgpr22
.LBB6_7618:                             ;   in Loop: Header=BB6_7203 Depth=3
	s_andn2_saveexec_b64 s[28:29], s[34:35]
	s_cbranch_execz .LBB6_7620
; %bb.7619:                             ;   in Loop: Header=BB6_7203 Depth=3
	v_or_b32_e32 v0, 0x7e, v22
	buffer_store_dword v0, off, s[0:3], s33 offset:152 ; 4-byte Folded Spill
.LBB6_7620:                             ;   in Loop: Header=BB6_7203 Depth=3
	s_or_b64 exec, exec, s[28:29]
                                        ; implicit-def: $vgpr0
.LBB6_7621:                             ;   in Loop: Header=BB6_7203 Depth=3
	s_andn2_saveexec_b64 s[28:29], s[30:31]
	s_cbranch_execz .LBB6_7623
; %bb.7622:                             ;   in Loop: Header=BB6_7203 Depth=3
	v_or_b32_sdwa v0, v0, s81 dst_sel:DWORD dst_unused:UNUSED_PAD src0_sel:BYTE_3 src1_sel:DWORD
	buffer_store_dword v0, off, s[0:3], s33 offset:152 ; 4-byte Folded Spill
.LBB6_7623:                             ;   in Loop: Header=BB6_7203 Depth=3
	s_or_b64 exec, exec, s[28:29]
	v_cmp_lt_u64_e32 vcc, s[56:57], v[50:51]
	v_mov_b32_e32 v1, 0
	v_mov_b32_e32 v2, 0
	s_and_saveexec_b64 s[28:29], vcc
	s_cbranch_execz .LBB6_7629
; %bb.7624:                             ;   in Loop: Header=BB6_7203 Depth=3
	v_lshrrev_b32_e32 v0, 24, v51
	v_cmp_ne_u32_e32 vcc, s80, v0
	v_bfrev_b32_e32 v2, 1
	s_and_saveexec_b64 s[30:31], vcc
	s_cbranch_execz .LBB6_7628
; %bb.7625:                             ;   in Loop: Header=BB6_7203 Depth=3
	v_bfe_u32 v20, v51, 24, 7
	v_cmp_ne_u32_e32 vcc, s81, v20
	v_mov_b32_e32 v2, 0x7f800001
	s_and_saveexec_b64 s[34:35], vcc
	s_cbranch_execz .LBB6_7627
; %bb.7626:                             ;   in Loop: Header=BB6_7203 Depth=3
	v_and_b32_e32 v2, 7, v0
	v_lshrrev_b32_e32 v28, 3, v20
	v_cmp_gt_u32_e32 vcc, 8, v20
	v_ffbh_u32_e32 v20, v2
	v_min_u32_e32 v20, 32, v20
	v_subrev_u32_e32 v22, 28, v20
	v_lshlrev_b64 v[22:23], v22, v[0:1]
	v_sub_u32_e32 v20, 29, v20
	v_and_b32_e32 v22, 7, v22
	v_cndmask_b32_e32 v20, v28, v20, vcc
	v_cndmask_b32_e32 v2, v2, v22, vcc
	v_lshlrev_b32_e32 v0, 24, v0
	v_bfrev_b32_e32 v22, 60
	v_lshlrev_b32_e32 v2, 20, v2
	v_and_b32_e32 v0, 0x80000000, v0
	v_lshl_add_u32 v20, v20, 23, v22
	v_or3_b32 v2, v0, v20, v2
.LBB6_7627:                             ;   in Loop: Header=BB6_7203 Depth=3
	s_or_b64 exec, exec, s[34:35]
.LBB6_7628:                             ;   in Loop: Header=BB6_7203 Depth=3
	s_or_b64 exec, exec, s[30:31]
.LBB6_7629:                             ;   in Loop: Header=BB6_7203 Depth=3
	s_or_b64 exec, exec, s[28:29]
	v_cmp_lt_u64_e32 vcc, s[56:57], v[38:39]
	s_and_saveexec_b64 s[28:29], vcc
	s_cbranch_execz .LBB6_7635
; %bb.7630:                             ;   in Loop: Header=BB6_7203 Depth=3
	v_lshrrev_b32_e32 v0, 24, v39
	v_cmp_ne_u32_e32 vcc, s80, v0
	v_bfrev_b32_e32 v1, 1
	s_and_saveexec_b64 s[30:31], vcc
	s_cbranch_execz .LBB6_7634
; %bb.7631:                             ;   in Loop: Header=BB6_7203 Depth=3
	v_bfe_u32 v20, v39, 24, 7
	v_cmp_ne_u32_e32 vcc, s81, v20
	v_mov_b32_e32 v1, 0x7f800001
	s_and_saveexec_b64 s[34:35], vcc
	s_cbranch_execz .LBB6_7633
; %bb.7632:                             ;   in Loop: Header=BB6_7203 Depth=3
	v_and_b32_e32 v1, 7, v0
	v_lshrrev_b32_e32 v28, 3, v20
	v_cmp_gt_u32_e32 vcc, 8, v20
	v_ffbh_u32_e32 v20, v1
	v_min_u32_e32 v20, 32, v20
	v_subrev_u32_e32 v22, 28, v20
	v_lshlrev_b64 v[22:23], v22, v[0:1]
	v_sub_u32_e32 v20, 29, v20
	v_and_b32_e32 v22, 7, v22
	v_cndmask_b32_e32 v20, v28, v20, vcc
	v_cndmask_b32_e32 v1, v1, v22, vcc
	v_lshlrev_b32_e32 v0, 24, v0
	v_bfrev_b32_e32 v22, 60
	v_lshlrev_b32_e32 v1, 20, v1
	v_and_b32_e32 v0, 0x80000000, v0
	v_lshl_add_u32 v20, v20, 23, v22
	v_or3_b32 v1, v0, v20, v1
.LBB6_7633:                             ;   in Loop: Header=BB6_7203 Depth=3
	s_or_b64 exec, exec, s[34:35]
.LBB6_7634:                             ;   in Loop: Header=BB6_7203 Depth=3
	s_or_b64 exec, exec, s[30:31]
.LBB6_7635:                             ;   in Loop: Header=BB6_7203 Depth=3
	s_or_b64 exec, exec, s[28:29]
	v_mul_f32_e32 v0, v2, v1
	v_and_b32_e32 v20, 0x7f800000, v0
	v_cmp_ne_u64_e32 vcc, s[62:63], v[20:21]
                                        ; implicit-def: $vgpr1
                                        ; kill: killed $vgpr1
	s_and_saveexec_b64 s[28:29], vcc
	s_xor_b64 s[30:31], exec, s[28:29]
	s_cbranch_execz .LBB6_7649
; %bb.7636:                             ;   in Loop: Header=BB6_7203 Depth=3
	v_and_b32_e32 v20, 0x7fffffff, v0
	v_cmp_gt_u64_e32 vcc, s[78:79], v[20:21]
	v_and_b32_sdwa v22, v0, s80 dst_sel:DWORD dst_unused:UNUSED_PAD src0_sel:BYTE_3 src1_sel:DWORD
                                        ; implicit-def: $vgpr1
                                        ; kill: killed $vgpr1
	s_and_saveexec_b64 s[28:29], vcc
	s_xor_b64 s[34:35], exec, s[28:29]
	s_cbranch_execz .LBB6_7646
; %bb.7637:                             ;   in Loop: Header=BB6_7203 Depth=3
	v_mov_b32_e32 v1, 0
	v_cmp_ne_u32_e32 vcc, 0, v0
	buffer_store_dword v1, off, s[0:3], s33 offset:156 ; 4-byte Folded Spill
	s_and_saveexec_b64 s[36:37], vcc
	s_cbranch_execz .LBB6_7645
; %bb.7638:                             ;   in Loop: Header=BB6_7203 Depth=3
	v_bfe_u32 v23, v0, 23, 8
	v_and_b32_e32 v1, 0x7fffff, v0
	v_cmp_gt_u32_e64 s[28:29], s47, v23
	v_sub_u32_e32 v0, 0x79, v23
	v_cmp_eq_u32_e32 vcc, 0, v23
	v_cndmask_b32_e64 v0, 0, v0, s[28:29]
	v_mov_b32_e32 v20, 0x78
	v_cndmask_b32_e32 v28, v0, v20, vcc
	v_or_b32_e32 v2, 0x800000, v1
	v_add_u32_e32 v0, 20, v28
	v_cndmask_b32_e32 v20, v2, v1, vcc
	v_lshlrev_b64 v[0:1], v0, -1
	v_add_u32_e32 v2, 19, v28
	v_lshlrev_b64 v[29:30], v2, 1
	v_bfi_b32 v1, v1, 0, 0
	v_bfi_b32 v0, v0, 0, v20
	v_cmp_eq_u64_e64 s[28:29], v[0:1], v[29:30]
	v_lshrrev_b64 v[0:1], v28, v[20:21]
	v_mov_b32_e32 v2, v1
	v_mov_b32_e32 v1, v0
	s_and_saveexec_b64 s[38:39], s[28:29]
; %bb.7639:                             ;   in Loop: Header=BB6_7203 Depth=3
	v_bfe_u32 v1, v0, 20, 1
	v_add_co_u32_e64 v1, s[28:29], v0, v1
	v_add_co_u32_e64 v1, s[28:29], -1, v1
; %bb.7640:                             ;   in Loop: Header=BB6_7203 Depth=3
	s_or_b64 exec, exec, s[38:39]
	v_add_u32_e32 v2, 0xffffff81, v23
	v_mov_b32_e32 v20, 0xffffff82
	v_cndmask_b32_e32 v2, v2, v20, vcc
	v_lshrrev_b32_e32 v20, 23, v0
	v_add3_u32 v28, v28, v2, v20
	v_add_u32_e32 v23, 6, v28
	v_and_b32_e32 v1, 0xfffff, v1
	v_add_u32_e32 v20, v1, v0
	v_cmp_ne_u32_e32 vcc, 0, v23
                                        ; implicit-def: $vgpr0_vgpr1
                                        ; implicit-def: $vgpr2
	s_and_saveexec_b64 s[28:29], vcc
	s_xor_b64 s[28:29], exec, s[28:29]
; %bb.7641:                             ;   in Loop: Header=BB6_7203 Depth=3
	v_cmp_lt_u64_e32 vcc, s[88:89], v[20:21]
	v_add_u32_e32 v0, 7, v28
	v_cndmask_b32_e32 v2, v23, v0, vcc
	v_cndmask_b32_e64 v0, 0, 1, vcc
	v_lshrrev_b64 v[0:1], v0, v[20:21]
; %bb.7642:                             ;   in Loop: Header=BB6_7203 Depth=3
	s_andn2_saveexec_b64 s[28:29], s[28:29]
; %bb.7643:                             ;   in Loop: Header=BB6_7203 Depth=3
	v_mov_b32_e32 v0, v20
	v_bfe_u32 v2, v20, 23, 1
	v_mov_b32_e32 v1, v21
; %bb.7644:                             ;   in Loop: Header=BB6_7203 Depth=3
	s_or_b64 exec, exec, s[28:29]
	v_lshrrev_b64 v[0:1], 20, v[0:1]
	v_cmp_gt_i32_e32 vcc, 16, v2
	v_cndmask_b32_e32 v1, 0, v1, vcc
	v_cndmask_b32_e32 v0, 7, v0, vcc
	v_cmp_eq_u64_e64 s[28:29], 0, v[0:1]
	v_min_i32_e32 v1, 15, v2
	v_lshlrev_b32_e32 v1, 3, v1
	v_cmp_eq_u32_e32 vcc, 0, v2
	v_and_b32_e32 v1, 0xf8, v1
	v_and_or_b32 v0, v0, 7, v1
	s_and_b64 s[28:29], vcc, s[28:29]
	v_cndmask_b32_e64 v0, v0, 0, s[28:29]
	v_or_b32_e32 v0, v0, v22
	buffer_store_dword v0, off, s[0:3], s33 offset:156 ; 4-byte Folded Spill
.LBB6_7645:                             ;   in Loop: Header=BB6_7203 Depth=3
	s_or_b64 exec, exec, s[36:37]
                                        ; implicit-def: $vgpr22
.LBB6_7646:                             ;   in Loop: Header=BB6_7203 Depth=3
	s_andn2_saveexec_b64 s[28:29], s[34:35]
	s_cbranch_execz .LBB6_7648
; %bb.7647:                             ;   in Loop: Header=BB6_7203 Depth=3
	v_or_b32_e32 v0, 0x7e, v22
	buffer_store_dword v0, off, s[0:3], s33 offset:156 ; 4-byte Folded Spill
.LBB6_7648:                             ;   in Loop: Header=BB6_7203 Depth=3
	s_or_b64 exec, exec, s[28:29]
                                        ; implicit-def: $vgpr0
.LBB6_7649:                             ;   in Loop: Header=BB6_7203 Depth=3
	s_andn2_saveexec_b64 s[28:29], s[30:31]
	s_cbranch_execz .LBB6_7651
; %bb.7650:                             ;   in Loop: Header=BB6_7203 Depth=3
	v_or_b32_sdwa v0, v0, s81 dst_sel:DWORD dst_unused:UNUSED_PAD src0_sel:BYTE_3 src1_sel:DWORD
	buffer_store_dword v0, off, s[0:3], s33 offset:156 ; 4-byte Folded Spill
.LBB6_7651:                             ;   in Loop: Header=BB6_7203 Depth=3
	s_or_b64 exec, exec, s[28:29]
	v_cmp_ne_u16_sdwa vcc, v32, v21 src0_sel:BYTE_0 src1_sel:DWORD
	v_mov_b32_e32 v0, 0
	v_mov_b32_e32 v1, 0
	s_and_saveexec_b64 s[28:29], vcc
	s_cbranch_execz .LBB6_7657
; %bb.7652:                             ;   in Loop: Header=BB6_7203 Depth=3
	v_cmp_ne_u16_sdwa vcc, v32, s80 src0_sel:BYTE_0 src1_sel:DWORD
	v_bfrev_b32_e32 v1, 1
	s_and_saveexec_b64 s[30:31], vcc
	s_cbranch_execz .LBB6_7656
; %bb.7653:                             ;   in Loop: Header=BB6_7203 Depth=3
	v_and_b32_e32 v2, 0x7f, v32
	v_cmp_ne_u32_e32 vcc, s81, v2
	v_mov_b32_e32 v1, 0x7f800001
	s_and_saveexec_b64 s[34:35], vcc
	s_cbranch_execz .LBB6_7655
; %bb.7654:                             ;   in Loop: Header=BB6_7203 Depth=3
	v_and_b32_e32 v1, 7, v32
	v_ffbh_u32_e32 v1, v1
	v_min_u32_e32 v1, 32, v1
	v_lshrrev_b32_e32 v20, 3, v2
	v_cmp_gt_u32_e32 vcc, 8, v2
	v_subrev_u32_e32 v2, 28, v1
	v_sub_u32_e32 v1, 29, v1
	v_cndmask_b32_e32 v20, v20, v1, vcc
	v_cndmask_b32_e32 v1, 0, v2, vcc
	v_lshlrev_b64 v[1:2], v1, v[32:33]
	v_lshlrev_b32_e32 v2, 24, v32
	v_lshlrev_b32_e32 v1, 20, v1
	v_bfrev_b32_e32 v22, 60
	v_and_b32_e32 v1, 0x700000, v1
	v_and_b32_e32 v2, 0x80000000, v2
	v_lshl_add_u32 v20, v20, 23, v22
	v_or3_b32 v1, v2, v20, v1
.LBB6_7655:                             ;   in Loop: Header=BB6_7203 Depth=3
	s_or_b64 exec, exec, s[34:35]
.LBB6_7656:                             ;   in Loop: Header=BB6_7203 Depth=3
	s_or_b64 exec, exec, s[30:31]
.LBB6_7657:                             ;   in Loop: Header=BB6_7203 Depth=3
	s_or_b64 exec, exec, s[28:29]
	s_waitcnt vmcnt(2)
	v_cmp_ne_u16_sdwa vcc, v24, v21 src0_sel:BYTE_0 src1_sel:DWORD
	s_and_saveexec_b64 s[28:29], vcc
	s_cbranch_execz .LBB6_7663
; %bb.7658:                             ;   in Loop: Header=BB6_7203 Depth=3
	v_cmp_ne_u16_sdwa vcc, v24, s80 src0_sel:BYTE_0 src1_sel:DWORD
	v_bfrev_b32_e32 v0, 1
	s_and_saveexec_b64 s[30:31], vcc
	s_cbranch_execz .LBB6_7662
; %bb.7659:                             ;   in Loop: Header=BB6_7203 Depth=3
	v_and_b32_e32 v2, 0x7f, v24
	v_cmp_ne_u32_e32 vcc, s81, v2
	v_mov_b32_e32 v0, 0x7f800001
	s_and_saveexec_b64 s[34:35], vcc
	s_cbranch_execz .LBB6_7661
; %bb.7660:                             ;   in Loop: Header=BB6_7203 Depth=3
	v_and_b32_e32 v0, 7, v24
	v_ffbh_u32_e32 v0, v0
	v_min_u32_e32 v0, 32, v0
	v_lshrrev_b32_e32 v20, 3, v2
	v_cmp_gt_u32_e32 vcc, 8, v2
	v_subrev_u32_e32 v2, 28, v0
	v_cndmask_b32_e32 v2, 0, v2, vcc
	v_lshlrev_b64 v[22:23], v2, v[24:25]
	v_sub_u32_e32 v0, 29, v0
	v_cndmask_b32_e32 v0, v20, v0, vcc
	v_lshlrev_b32_e32 v2, 20, v22
	v_lshlrev_b32_e32 v20, 24, v24
	v_bfrev_b32_e32 v22, 60
	v_and_b32_e32 v2, 0x700000, v2
	v_and_b32_e32 v20, 0x80000000, v20
	v_lshl_add_u32 v0, v0, 23, v22
	v_or3_b32 v0, v20, v0, v2
.LBB6_7661:                             ;   in Loop: Header=BB6_7203 Depth=3
	s_or_b64 exec, exec, s[34:35]
.LBB6_7662:                             ;   in Loop: Header=BB6_7203 Depth=3
	s_or_b64 exec, exec, s[30:31]
.LBB6_7663:                             ;   in Loop: Header=BB6_7203 Depth=3
	s_or_b64 exec, exec, s[28:29]
	v_mul_f32_e32 v0, v1, v0
	v_and_b32_e32 v20, 0x7f800000, v0
	v_cmp_ne_u64_e32 vcc, s[62:63], v[20:21]
                                        ; implicit-def: $vgpr1
                                        ; kill: killed $vgpr1
	s_and_saveexec_b64 s[28:29], vcc
	s_xor_b64 s[30:31], exec, s[28:29]
	s_cbranch_execz .LBB6_7677
; %bb.7664:                             ;   in Loop: Header=BB6_7203 Depth=3
	v_and_b32_e32 v20, 0x7fffffff, v0
	v_cmp_gt_u64_e32 vcc, s[78:79], v[20:21]
	v_and_b32_sdwa v22, v0, s80 dst_sel:DWORD dst_unused:UNUSED_PAD src0_sel:BYTE_3 src1_sel:DWORD
                                        ; implicit-def: $vgpr1
                                        ; kill: killed $vgpr1
	s_and_saveexec_b64 s[28:29], vcc
	s_xor_b64 s[34:35], exec, s[28:29]
	s_cbranch_execz .LBB6_7674
; %bb.7665:                             ;   in Loop: Header=BB6_7203 Depth=3
	v_mov_b32_e32 v1, 0
	v_cmp_ne_u32_e32 vcc, 0, v0
	buffer_store_dword v1, off, s[0:3], s33 offset:160 ; 4-byte Folded Spill
	s_and_saveexec_b64 s[36:37], vcc
	s_cbranch_execz .LBB6_7673
; %bb.7666:                             ;   in Loop: Header=BB6_7203 Depth=3
	v_bfe_u32 v23, v0, 23, 8
	v_and_b32_e32 v1, 0x7fffff, v0
	v_cmp_gt_u32_e64 s[28:29], s47, v23
	v_sub_u32_e32 v0, 0x79, v23
	v_cmp_eq_u32_e32 vcc, 0, v23
	v_cndmask_b32_e64 v0, 0, v0, s[28:29]
	v_mov_b32_e32 v20, 0x78
	v_cndmask_b32_e32 v28, v0, v20, vcc
	v_or_b32_e32 v2, 0x800000, v1
	v_add_u32_e32 v0, 20, v28
	v_cndmask_b32_e32 v20, v2, v1, vcc
	v_lshlrev_b64 v[0:1], v0, -1
	v_add_u32_e32 v2, 19, v28
	v_lshlrev_b64 v[29:30], v2, 1
	v_bfi_b32 v1, v1, 0, 0
	v_bfi_b32 v0, v0, 0, v20
	v_cmp_eq_u64_e64 s[28:29], v[0:1], v[29:30]
	v_lshrrev_b64 v[0:1], v28, v[20:21]
	v_mov_b32_e32 v2, v1
	v_mov_b32_e32 v1, v0
	s_and_saveexec_b64 s[38:39], s[28:29]
; %bb.7667:                             ;   in Loop: Header=BB6_7203 Depth=3
	v_bfe_u32 v1, v0, 20, 1
	v_add_co_u32_e64 v1, s[28:29], v0, v1
	v_add_co_u32_e64 v1, s[28:29], -1, v1
; %bb.7668:                             ;   in Loop: Header=BB6_7203 Depth=3
	s_or_b64 exec, exec, s[38:39]
	v_add_u32_e32 v2, 0xffffff81, v23
	v_mov_b32_e32 v20, 0xffffff82
	v_cndmask_b32_e32 v2, v2, v20, vcc
	v_lshrrev_b32_e32 v20, 23, v0
	v_add3_u32 v28, v28, v2, v20
	v_add_u32_e32 v23, 6, v28
	v_and_b32_e32 v1, 0xfffff, v1
	v_add_u32_e32 v20, v1, v0
	v_cmp_ne_u32_e32 vcc, 0, v23
                                        ; implicit-def: $vgpr0_vgpr1
                                        ; implicit-def: $vgpr2
	s_and_saveexec_b64 s[28:29], vcc
	s_xor_b64 s[28:29], exec, s[28:29]
; %bb.7669:                             ;   in Loop: Header=BB6_7203 Depth=3
	v_cmp_lt_u64_e32 vcc, s[88:89], v[20:21]
	v_add_u32_e32 v0, 7, v28
	v_cndmask_b32_e32 v2, v23, v0, vcc
	v_cndmask_b32_e64 v0, 0, 1, vcc
	v_lshrrev_b64 v[0:1], v0, v[20:21]
; %bb.7670:                             ;   in Loop: Header=BB6_7203 Depth=3
	s_andn2_saveexec_b64 s[28:29], s[28:29]
; %bb.7671:                             ;   in Loop: Header=BB6_7203 Depth=3
	v_mov_b32_e32 v0, v20
	v_bfe_u32 v2, v20, 23, 1
	v_mov_b32_e32 v1, v21
; %bb.7672:                             ;   in Loop: Header=BB6_7203 Depth=3
	s_or_b64 exec, exec, s[28:29]
	v_lshrrev_b64 v[0:1], 20, v[0:1]
	v_cmp_gt_i32_e32 vcc, 16, v2
	v_cndmask_b32_e32 v1, 0, v1, vcc
	v_cndmask_b32_e32 v0, 7, v0, vcc
	v_cmp_eq_u64_e64 s[28:29], 0, v[0:1]
	v_min_i32_e32 v1, 15, v2
	v_lshlrev_b32_e32 v1, 3, v1
	v_cmp_eq_u32_e32 vcc, 0, v2
	v_and_b32_e32 v1, 0xf8, v1
	v_and_or_b32 v0, v0, 7, v1
	s_and_b64 s[28:29], vcc, s[28:29]
	v_cndmask_b32_e64 v0, v0, 0, s[28:29]
	v_or_b32_e32 v0, v0, v22
	buffer_store_dword v0, off, s[0:3], s33 offset:160 ; 4-byte Folded Spill
.LBB6_7673:                             ;   in Loop: Header=BB6_7203 Depth=3
	s_or_b64 exec, exec, s[36:37]
                                        ; implicit-def: $vgpr22
.LBB6_7674:                             ;   in Loop: Header=BB6_7203 Depth=3
	s_andn2_saveexec_b64 s[28:29], s[34:35]
	s_cbranch_execz .LBB6_7676
; %bb.7675:                             ;   in Loop: Header=BB6_7203 Depth=3
	v_or_b32_e32 v0, 0x7e, v22
	buffer_store_dword v0, off, s[0:3], s33 offset:160 ; 4-byte Folded Spill
.LBB6_7676:                             ;   in Loop: Header=BB6_7203 Depth=3
	s_or_b64 exec, exec, s[28:29]
                                        ; implicit-def: $vgpr0
.LBB6_7677:                             ;   in Loop: Header=BB6_7203 Depth=3
	s_andn2_saveexec_b64 s[28:29], s[30:31]
	s_cbranch_execz .LBB6_7679
; %bb.7678:                             ;   in Loop: Header=BB6_7203 Depth=3
	v_or_b32_sdwa v0, v0, s81 dst_sel:DWORD dst_unused:UNUSED_PAD src0_sel:BYTE_3 src1_sel:DWORD
	buffer_store_dword v0, off, s[0:3], s33 offset:160 ; 4-byte Folded Spill
.LBB6_7679:                             ;   in Loop: Header=BB6_7203 Depth=3
	s_or_b64 exec, exec, s[28:29]
	v_lshrrev_b16_e32 v0, 8, v32
	v_cmp_ne_u16_e32 vcc, 0, v0
	v_mov_b32_e32 v1, 0
	v_mov_b32_e32 v2, 0
	s_and_saveexec_b64 s[28:29], vcc
	s_cbranch_execz .LBB6_7685
; %bb.7680:                             ;   in Loop: Header=BB6_7203 Depth=3
	v_cmp_ne_u16_e32 vcc, s80, v0
	v_bfrev_b32_e32 v2, 1
	s_and_saveexec_b64 s[30:31], vcc
	s_cbranch_execz .LBB6_7684
; %bb.7681:                             ;   in Loop: Header=BB6_7203 Depth=3
	v_and_b32_e32 v20, 0x7f, v0
	v_cmp_ne_u32_e32 vcc, s81, v20
	v_mov_b32_e32 v2, 0x7f800001
	s_and_saveexec_b64 s[34:35], vcc
	s_cbranch_execz .LBB6_7683
; %bb.7682:                             ;   in Loop: Header=BB6_7203 Depth=3
	v_and_b32_e32 v2, 7, v0
	v_lshrrev_b32_e32 v28, 3, v20
	v_cmp_gt_u32_e32 vcc, 8, v20
	v_ffbh_u32_e32 v20, v2
	v_min_u32_e32 v20, 32, v20
	v_subrev_u32_e32 v22, 28, v20
	v_lshlrev_b64 v[22:23], v22, v[0:1]
	v_sub_u32_e32 v0, 29, v20
	v_and_b32_e32 v20, 7, v22
	v_cndmask_b32_e32 v0, v28, v0, vcc
	v_cndmask_b32_e32 v2, v2, v20, vcc
	v_lshlrev_b32_e32 v20, 16, v32
	v_bfrev_b32_e32 v22, 60
	v_lshlrev_b32_e32 v2, 20, v2
	v_and_b32_e32 v20, 0x80000000, v20
	v_lshl_add_u32 v0, v0, 23, v22
	v_or3_b32 v2, v20, v0, v2
.LBB6_7683:                             ;   in Loop: Header=BB6_7203 Depth=3
	s_or_b64 exec, exec, s[34:35]
.LBB6_7684:                             ;   in Loop: Header=BB6_7203 Depth=3
	s_or_b64 exec, exec, s[30:31]
.LBB6_7685:                             ;   in Loop: Header=BB6_7203 Depth=3
	s_or_b64 exec, exec, s[28:29]
	v_lshrrev_b16_e32 v0, 8, v24
	v_cmp_ne_u16_e32 vcc, 0, v0
	s_and_saveexec_b64 s[28:29], vcc
	s_cbranch_execz .LBB6_7691
; %bb.7686:                             ;   in Loop: Header=BB6_7203 Depth=3
	v_cmp_ne_u16_e32 vcc, s80, v0
	v_bfrev_b32_e32 v1, 1
	s_and_saveexec_b64 s[30:31], vcc
	s_cbranch_execz .LBB6_7690
; %bb.7687:                             ;   in Loop: Header=BB6_7203 Depth=3
	v_and_b32_e32 v20, 0x7f, v0
	v_cmp_ne_u32_e32 vcc, s81, v20
	v_mov_b32_e32 v1, 0x7f800001
	s_and_saveexec_b64 s[34:35], vcc
	s_cbranch_execz .LBB6_7689
; %bb.7688:                             ;   in Loop: Header=BB6_7203 Depth=3
	v_and_b32_e32 v22, 7, v0
	v_ffbh_u32_e32 v1, v22
	v_lshrrev_b32_e32 v23, 3, v20
	v_cmp_gt_u32_e32 vcc, 8, v20
	v_min_u32_e32 v20, 32, v1
	v_subrev_u32_e32 v1, 28, v20
	v_lshlrev_b64 v[0:1], v1, v[0:1]
	v_sub_u32_e32 v1, 29, v20
	v_and_b32_e32 v0, 7, v0
	v_cndmask_b32_e32 v1, v23, v1, vcc
	v_cndmask_b32_e32 v0, v22, v0, vcc
	v_lshlrev_b32_e32 v20, 16, v24
	v_bfrev_b32_e32 v22, 60
	v_lshlrev_b32_e32 v0, 20, v0
	v_and_b32_e32 v20, 0x80000000, v20
	v_lshl_add_u32 v1, v1, 23, v22
	v_or3_b32 v1, v20, v1, v0
.LBB6_7689:                             ;   in Loop: Header=BB6_7203 Depth=3
	s_or_b64 exec, exec, s[34:35]
.LBB6_7690:                             ;   in Loop: Header=BB6_7203 Depth=3
	s_or_b64 exec, exec, s[30:31]
.LBB6_7691:                             ;   in Loop: Header=BB6_7203 Depth=3
	s_or_b64 exec, exec, s[28:29]
	v_mul_f32_e32 v0, v2, v1
	v_and_b32_e32 v20, 0x7f800000, v0
	v_cmp_ne_u64_e32 vcc, s[62:63], v[20:21]
                                        ; implicit-def: $vgpr1
                                        ; kill: killed $vgpr1
	s_and_saveexec_b64 s[28:29], vcc
	s_xor_b64 s[30:31], exec, s[28:29]
	s_cbranch_execz .LBB6_7705
; %bb.7692:                             ;   in Loop: Header=BB6_7203 Depth=3
	v_and_b32_e32 v20, 0x7fffffff, v0
	v_cmp_gt_u64_e32 vcc, s[78:79], v[20:21]
	v_and_b32_sdwa v22, v0, s80 dst_sel:DWORD dst_unused:UNUSED_PAD src0_sel:BYTE_3 src1_sel:DWORD
                                        ; implicit-def: $vgpr1
                                        ; kill: killed $vgpr1
	s_and_saveexec_b64 s[28:29], vcc
	s_xor_b64 s[34:35], exec, s[28:29]
	s_cbranch_execz .LBB6_7702
; %bb.7693:                             ;   in Loop: Header=BB6_7203 Depth=3
	v_mov_b32_e32 v1, 0
	v_cmp_ne_u32_e32 vcc, 0, v0
	buffer_store_dword v1, off, s[0:3], s33 offset:164 ; 4-byte Folded Spill
	s_and_saveexec_b64 s[36:37], vcc
	s_cbranch_execz .LBB6_7701
; %bb.7694:                             ;   in Loop: Header=BB6_7203 Depth=3
	v_bfe_u32 v23, v0, 23, 8
	v_and_b32_e32 v1, 0x7fffff, v0
	v_cmp_gt_u32_e64 s[28:29], s47, v23
	v_sub_u32_e32 v0, 0x79, v23
	v_cmp_eq_u32_e32 vcc, 0, v23
	v_cndmask_b32_e64 v0, 0, v0, s[28:29]
	v_mov_b32_e32 v20, 0x78
	v_cndmask_b32_e32 v28, v0, v20, vcc
	v_or_b32_e32 v2, 0x800000, v1
	v_add_u32_e32 v0, 20, v28
	v_cndmask_b32_e32 v20, v2, v1, vcc
	v_lshlrev_b64 v[0:1], v0, -1
	v_add_u32_e32 v2, 19, v28
	v_lshlrev_b64 v[29:30], v2, 1
	v_bfi_b32 v1, v1, 0, 0
	v_bfi_b32 v0, v0, 0, v20
	v_cmp_eq_u64_e64 s[28:29], v[0:1], v[29:30]
	v_lshrrev_b64 v[0:1], v28, v[20:21]
	v_mov_b32_e32 v2, v1
	v_mov_b32_e32 v1, v0
	s_and_saveexec_b64 s[38:39], s[28:29]
; %bb.7695:                             ;   in Loop: Header=BB6_7203 Depth=3
	v_bfe_u32 v1, v0, 20, 1
	v_add_co_u32_e64 v1, s[28:29], v0, v1
	v_add_co_u32_e64 v1, s[28:29], -1, v1
; %bb.7696:                             ;   in Loop: Header=BB6_7203 Depth=3
	s_or_b64 exec, exec, s[38:39]
	v_add_u32_e32 v2, 0xffffff81, v23
	v_mov_b32_e32 v20, 0xffffff82
	v_cndmask_b32_e32 v2, v2, v20, vcc
	v_lshrrev_b32_e32 v20, 23, v0
	v_add3_u32 v28, v28, v2, v20
	v_add_u32_e32 v23, 6, v28
	v_and_b32_e32 v1, 0xfffff, v1
	v_add_u32_e32 v20, v1, v0
	v_cmp_ne_u32_e32 vcc, 0, v23
                                        ; implicit-def: $vgpr0_vgpr1
                                        ; implicit-def: $vgpr2
	s_and_saveexec_b64 s[28:29], vcc
	s_xor_b64 s[28:29], exec, s[28:29]
; %bb.7697:                             ;   in Loop: Header=BB6_7203 Depth=3
	v_cmp_lt_u64_e32 vcc, s[88:89], v[20:21]
	v_add_u32_e32 v0, 7, v28
	v_cndmask_b32_e32 v2, v23, v0, vcc
	v_cndmask_b32_e64 v0, 0, 1, vcc
	v_lshrrev_b64 v[0:1], v0, v[20:21]
; %bb.7698:                             ;   in Loop: Header=BB6_7203 Depth=3
	s_andn2_saveexec_b64 s[28:29], s[28:29]
; %bb.7699:                             ;   in Loop: Header=BB6_7203 Depth=3
	v_mov_b32_e32 v0, v20
	v_bfe_u32 v2, v20, 23, 1
	v_mov_b32_e32 v1, v21
; %bb.7700:                             ;   in Loop: Header=BB6_7203 Depth=3
	s_or_b64 exec, exec, s[28:29]
	v_lshrrev_b64 v[0:1], 20, v[0:1]
	v_cmp_gt_i32_e32 vcc, 16, v2
	v_cndmask_b32_e32 v1, 0, v1, vcc
	v_cndmask_b32_e32 v0, 7, v0, vcc
	v_cmp_eq_u64_e64 s[28:29], 0, v[0:1]
	v_min_i32_e32 v1, 15, v2
	v_lshlrev_b32_e32 v1, 3, v1
	v_cmp_eq_u32_e32 vcc, 0, v2
	v_and_b32_e32 v1, 0xf8, v1
	v_and_or_b32 v0, v0, 7, v1
	s_and_b64 s[28:29], vcc, s[28:29]
	v_cndmask_b32_e64 v0, v0, 0, s[28:29]
	v_or_b32_e32 v0, v0, v22
	buffer_store_dword v0, off, s[0:3], s33 offset:164 ; 4-byte Folded Spill
.LBB6_7701:                             ;   in Loop: Header=BB6_7203 Depth=3
	s_or_b64 exec, exec, s[36:37]
                                        ; implicit-def: $vgpr22
.LBB6_7702:                             ;   in Loop: Header=BB6_7203 Depth=3
	s_andn2_saveexec_b64 s[28:29], s[34:35]
	s_cbranch_execz .LBB6_7704
; %bb.7703:                             ;   in Loop: Header=BB6_7203 Depth=3
	v_or_b32_e32 v0, 0x7e, v22
	buffer_store_dword v0, off, s[0:3], s33 offset:164 ; 4-byte Folded Spill
.LBB6_7704:                             ;   in Loop: Header=BB6_7203 Depth=3
	s_or_b64 exec, exec, s[28:29]
                                        ; implicit-def: $vgpr0
.LBB6_7705:                             ;   in Loop: Header=BB6_7203 Depth=3
	s_andn2_saveexec_b64 s[28:29], s[30:31]
	s_cbranch_execz .LBB6_7707
; %bb.7706:                             ;   in Loop: Header=BB6_7203 Depth=3
	v_or_b32_sdwa v0, v0, s81 dst_sel:DWORD dst_unused:UNUSED_PAD src0_sel:BYTE_3 src1_sel:DWORD
	buffer_store_dword v0, off, s[0:3], s33 offset:164 ; 4-byte Folded Spill
.LBB6_7707:                             ;   in Loop: Header=BB6_7203 Depth=3
	s_or_b64 exec, exec, s[28:29]
	v_lshrrev_b32_e32 v0, 16, v32
	v_cmp_ne_u16_sdwa vcc, v0, v21 src0_sel:BYTE_0 src1_sel:DWORD
	v_mov_b32_e32 v1, 0
	v_mov_b32_e32 v2, 0
	s_and_saveexec_b64 s[28:29], vcc
	s_cbranch_execz .LBB6_7713
; %bb.7708:                             ;   in Loop: Header=BB6_7203 Depth=3
	v_cmp_ne_u16_sdwa vcc, v0, s80 src0_sel:BYTE_0 src1_sel:DWORD
	v_bfrev_b32_e32 v2, 1
	s_and_saveexec_b64 s[30:31], vcc
	s_cbranch_execz .LBB6_7712
; %bb.7709:                             ;   in Loop: Header=BB6_7203 Depth=3
	v_bfe_u32 v20, v32, 16, 7
	v_cmp_ne_u32_e32 vcc, s81, v20
	v_mov_b32_e32 v2, 0x7f800001
	s_and_saveexec_b64 s[34:35], vcc
	s_cbranch_execz .LBB6_7711
; %bb.7710:                             ;   in Loop: Header=BB6_7203 Depth=3
	v_and_b32_e32 v2, 7, v0
	v_lshrrev_b32_e32 v28, 3, v20
	v_cmp_gt_u32_e32 vcc, 8, v20
	v_ffbh_u32_e32 v20, v2
	v_min_u32_e32 v20, 32, v20
	v_subrev_u32_e32 v22, 28, v20
	v_lshlrev_b64 v[22:23], v22, v[0:1]
	v_sub_u32_e32 v20, 29, v20
	v_and_b32_e32 v22, 7, v22
	v_cndmask_b32_e32 v20, v28, v20, vcc
	v_cndmask_b32_e32 v2, v2, v22, vcc
	v_lshlrev_b32_e32 v0, 24, v0
	v_bfrev_b32_e32 v22, 60
	v_lshlrev_b32_e32 v2, 20, v2
	v_and_b32_e32 v0, 0x80000000, v0
	v_lshl_add_u32 v20, v20, 23, v22
	v_or3_b32 v2, v0, v20, v2
.LBB6_7711:                             ;   in Loop: Header=BB6_7203 Depth=3
	s_or_b64 exec, exec, s[34:35]
.LBB6_7712:                             ;   in Loop: Header=BB6_7203 Depth=3
	s_or_b64 exec, exec, s[30:31]
.LBB6_7713:                             ;   in Loop: Header=BB6_7203 Depth=3
	s_or_b64 exec, exec, s[28:29]
	v_lshrrev_b32_e32 v0, 16, v24
	v_cmp_ne_u16_sdwa vcc, v0, v21 src0_sel:BYTE_0 src1_sel:DWORD
	s_and_saveexec_b64 s[28:29], vcc
	s_cbranch_execz .LBB6_7719
; %bb.7714:                             ;   in Loop: Header=BB6_7203 Depth=3
	v_cmp_ne_u16_sdwa vcc, v0, s80 src0_sel:BYTE_0 src1_sel:DWORD
	v_bfrev_b32_e32 v1, 1
	s_and_saveexec_b64 s[30:31], vcc
	s_cbranch_execz .LBB6_7718
; %bb.7715:                             ;   in Loop: Header=BB6_7203 Depth=3
	v_bfe_u32 v20, v24, 16, 7
	v_cmp_ne_u32_e32 vcc, s81, v20
	v_mov_b32_e32 v1, 0x7f800001
	s_and_saveexec_b64 s[34:35], vcc
	s_cbranch_execz .LBB6_7717
; %bb.7716:                             ;   in Loop: Header=BB6_7203 Depth=3
	v_and_b32_e32 v22, 7, v0
	v_ffbh_u32_e32 v1, v22
	v_lshrrev_b32_e32 v23, 3, v20
	v_cmp_gt_u32_e32 vcc, 8, v20
	v_min_u32_e32 v20, 32, v1
	v_subrev_u32_e32 v1, 28, v20
	v_lshlrev_b64 v[0:1], v1, v[0:1]
	v_sub_u32_e32 v1, 29, v20
	v_and_b32_e32 v0, 7, v0
	v_cndmask_b32_e32 v1, v23, v1, vcc
	v_cndmask_b32_e32 v0, v22, v0, vcc
	v_lshlrev_b32_e32 v20, 8, v24
	v_bfrev_b32_e32 v22, 60
	v_lshlrev_b32_e32 v0, 20, v0
	v_and_b32_e32 v20, 0x80000000, v20
	v_lshl_add_u32 v1, v1, 23, v22
	v_or3_b32 v1, v20, v1, v0
.LBB6_7717:                             ;   in Loop: Header=BB6_7203 Depth=3
	s_or_b64 exec, exec, s[34:35]
.LBB6_7718:                             ;   in Loop: Header=BB6_7203 Depth=3
	s_or_b64 exec, exec, s[30:31]
.LBB6_7719:                             ;   in Loop: Header=BB6_7203 Depth=3
	s_or_b64 exec, exec, s[28:29]
	v_mul_f32_e32 v0, v2, v1
	v_and_b32_e32 v20, 0x7f800000, v0
	v_cmp_ne_u64_e32 vcc, s[62:63], v[20:21]
                                        ; implicit-def: $vgpr1
                                        ; kill: killed $vgpr1
	s_and_saveexec_b64 s[28:29], vcc
	s_xor_b64 s[30:31], exec, s[28:29]
	s_cbranch_execz .LBB6_7733
; %bb.7720:                             ;   in Loop: Header=BB6_7203 Depth=3
	v_and_b32_e32 v20, 0x7fffffff, v0
	v_cmp_gt_u64_e32 vcc, s[78:79], v[20:21]
	v_and_b32_sdwa v22, v0, s80 dst_sel:DWORD dst_unused:UNUSED_PAD src0_sel:BYTE_3 src1_sel:DWORD
                                        ; implicit-def: $vgpr1
                                        ; kill: killed $vgpr1
	s_and_saveexec_b64 s[28:29], vcc
	s_xor_b64 s[34:35], exec, s[28:29]
	s_cbranch_execz .LBB6_7730
; %bb.7721:                             ;   in Loop: Header=BB6_7203 Depth=3
	v_mov_b32_e32 v1, 0
	v_cmp_ne_u32_e32 vcc, 0, v0
	buffer_store_dword v1, off, s[0:3], s33 offset:168 ; 4-byte Folded Spill
	s_and_saveexec_b64 s[36:37], vcc
	s_cbranch_execz .LBB6_7729
; %bb.7722:                             ;   in Loop: Header=BB6_7203 Depth=3
	v_bfe_u32 v23, v0, 23, 8
	v_and_b32_e32 v1, 0x7fffff, v0
	v_cmp_gt_u32_e64 s[28:29], s47, v23
	v_sub_u32_e32 v0, 0x79, v23
	v_cmp_eq_u32_e32 vcc, 0, v23
	v_cndmask_b32_e64 v0, 0, v0, s[28:29]
	v_mov_b32_e32 v20, 0x78
	v_cndmask_b32_e32 v28, v0, v20, vcc
	v_or_b32_e32 v2, 0x800000, v1
	v_add_u32_e32 v0, 20, v28
	v_cndmask_b32_e32 v20, v2, v1, vcc
	v_lshlrev_b64 v[0:1], v0, -1
	v_add_u32_e32 v2, 19, v28
	v_lshlrev_b64 v[29:30], v2, 1
	v_bfi_b32 v1, v1, 0, 0
	v_bfi_b32 v0, v0, 0, v20
	v_cmp_eq_u64_e64 s[28:29], v[0:1], v[29:30]
	v_lshrrev_b64 v[0:1], v28, v[20:21]
	v_mov_b32_e32 v2, v1
	v_mov_b32_e32 v1, v0
	s_and_saveexec_b64 s[38:39], s[28:29]
; %bb.7723:                             ;   in Loop: Header=BB6_7203 Depth=3
	v_bfe_u32 v1, v0, 20, 1
	v_add_co_u32_e64 v1, s[28:29], v0, v1
	v_add_co_u32_e64 v1, s[28:29], -1, v1
; %bb.7724:                             ;   in Loop: Header=BB6_7203 Depth=3
	s_or_b64 exec, exec, s[38:39]
	v_add_u32_e32 v2, 0xffffff81, v23
	v_mov_b32_e32 v20, 0xffffff82
	v_cndmask_b32_e32 v2, v2, v20, vcc
	v_lshrrev_b32_e32 v20, 23, v0
	v_add3_u32 v28, v28, v2, v20
	v_add_u32_e32 v23, 6, v28
	v_and_b32_e32 v1, 0xfffff, v1
	v_add_u32_e32 v20, v1, v0
	v_cmp_ne_u32_e32 vcc, 0, v23
                                        ; implicit-def: $vgpr0_vgpr1
                                        ; implicit-def: $vgpr2
	s_and_saveexec_b64 s[28:29], vcc
	s_xor_b64 s[28:29], exec, s[28:29]
; %bb.7725:                             ;   in Loop: Header=BB6_7203 Depth=3
	v_cmp_lt_u64_e32 vcc, s[88:89], v[20:21]
	v_add_u32_e32 v0, 7, v28
	v_cndmask_b32_e32 v2, v23, v0, vcc
	v_cndmask_b32_e64 v0, 0, 1, vcc
	v_lshrrev_b64 v[0:1], v0, v[20:21]
; %bb.7726:                             ;   in Loop: Header=BB6_7203 Depth=3
	s_andn2_saveexec_b64 s[28:29], s[28:29]
; %bb.7727:                             ;   in Loop: Header=BB6_7203 Depth=3
	v_mov_b32_e32 v0, v20
	v_bfe_u32 v2, v20, 23, 1
	v_mov_b32_e32 v1, v21
; %bb.7728:                             ;   in Loop: Header=BB6_7203 Depth=3
	s_or_b64 exec, exec, s[28:29]
	v_lshrrev_b64 v[0:1], 20, v[0:1]
	v_cmp_gt_i32_e32 vcc, 16, v2
	v_cndmask_b32_e32 v1, 0, v1, vcc
	v_cndmask_b32_e32 v0, 7, v0, vcc
	v_cmp_eq_u64_e64 s[28:29], 0, v[0:1]
	v_min_i32_e32 v1, 15, v2
	v_lshlrev_b32_e32 v1, 3, v1
	v_cmp_eq_u32_e32 vcc, 0, v2
	v_and_b32_e32 v1, 0xf8, v1
	v_and_or_b32 v0, v0, 7, v1
	s_and_b64 s[28:29], vcc, s[28:29]
	v_cndmask_b32_e64 v0, v0, 0, s[28:29]
	v_or_b32_e32 v0, v0, v22
	buffer_store_dword v0, off, s[0:3], s33 offset:168 ; 4-byte Folded Spill
.LBB6_7729:                             ;   in Loop: Header=BB6_7203 Depth=3
	s_or_b64 exec, exec, s[36:37]
                                        ; implicit-def: $vgpr22
.LBB6_7730:                             ;   in Loop: Header=BB6_7203 Depth=3
	s_andn2_saveexec_b64 s[28:29], s[34:35]
	s_cbranch_execz .LBB6_7732
; %bb.7731:                             ;   in Loop: Header=BB6_7203 Depth=3
	v_or_b32_e32 v0, 0x7e, v22
	buffer_store_dword v0, off, s[0:3], s33 offset:168 ; 4-byte Folded Spill
.LBB6_7732:                             ;   in Loop: Header=BB6_7203 Depth=3
	s_or_b64 exec, exec, s[28:29]
                                        ; implicit-def: $vgpr0
.LBB6_7733:                             ;   in Loop: Header=BB6_7203 Depth=3
	s_andn2_saveexec_b64 s[28:29], s[30:31]
	s_cbranch_execz .LBB6_7735
; %bb.7734:                             ;   in Loop: Header=BB6_7203 Depth=3
	v_or_b32_sdwa v0, v0, s81 dst_sel:DWORD dst_unused:UNUSED_PAD src0_sel:BYTE_3 src1_sel:DWORD
	buffer_store_dword v0, off, s[0:3], s33 offset:168 ; 4-byte Folded Spill
.LBB6_7735:                             ;   in Loop: Header=BB6_7203 Depth=3
	s_or_b64 exec, exec, s[28:29]
	v_cmp_lt_u32_e32 vcc, s57, v32
	v_mov_b32_e32 v1, 0
	v_mov_b32_e32 v2, 0
	s_and_saveexec_b64 s[28:29], vcc
	s_cbranch_execz .LBB6_7741
; %bb.7736:                             ;   in Loop: Header=BB6_7203 Depth=3
	v_lshrrev_b32_e32 v0, 24, v32
	v_cmp_ne_u32_e32 vcc, s80, v0
	v_bfrev_b32_e32 v2, 1
	s_and_saveexec_b64 s[30:31], vcc
	s_cbranch_execz .LBB6_7740
; %bb.7737:                             ;   in Loop: Header=BB6_7203 Depth=3
	v_bfe_u32 v20, v32, 24, 7
	v_cmp_ne_u32_e32 vcc, s81, v20
	v_mov_b32_e32 v2, 0x7f800001
	s_and_saveexec_b64 s[34:35], vcc
	s_cbranch_execz .LBB6_7739
; %bb.7738:                             ;   in Loop: Header=BB6_7203 Depth=3
	v_and_b32_e32 v2, 7, v0
	v_lshrrev_b32_e32 v28, 3, v20
	v_cmp_gt_u32_e32 vcc, 8, v20
	v_ffbh_u32_e32 v20, v2
	v_min_u32_e32 v20, 32, v20
	v_subrev_u32_e32 v22, 28, v20
	v_lshlrev_b64 v[22:23], v22, v[0:1]
	v_sub_u32_e32 v20, 29, v20
	v_and_b32_e32 v22, 7, v22
	v_cndmask_b32_e32 v20, v28, v20, vcc
	v_cndmask_b32_e32 v2, v2, v22, vcc
	v_lshlrev_b32_e32 v0, 24, v0
	v_bfrev_b32_e32 v22, 60
	v_lshlrev_b32_e32 v2, 20, v2
	v_and_b32_e32 v0, 0x80000000, v0
	v_lshl_add_u32 v20, v20, 23, v22
	v_or3_b32 v2, v0, v20, v2
.LBB6_7739:                             ;   in Loop: Header=BB6_7203 Depth=3
	s_or_b64 exec, exec, s[34:35]
.LBB6_7740:                             ;   in Loop: Header=BB6_7203 Depth=3
	s_or_b64 exec, exec, s[30:31]
.LBB6_7741:                             ;   in Loop: Header=BB6_7203 Depth=3
	s_or_b64 exec, exec, s[28:29]
	v_cmp_lt_u32_e32 vcc, s57, v24
	s_and_saveexec_b64 s[28:29], vcc
	s_cbranch_execz .LBB6_7747
; %bb.7742:                             ;   in Loop: Header=BB6_7203 Depth=3
	v_lshrrev_b32_e32 v0, 24, v24
	v_cmp_ne_u32_e32 vcc, s80, v0
	v_bfrev_b32_e32 v1, 1
	s_and_saveexec_b64 s[30:31], vcc
	s_cbranch_execz .LBB6_7746
; %bb.7743:                             ;   in Loop: Header=BB6_7203 Depth=3
	v_bfe_u32 v20, v24, 24, 7
	v_cmp_ne_u32_e32 vcc, s81, v20
	v_mov_b32_e32 v1, 0x7f800001
	s_and_saveexec_b64 s[34:35], vcc
	s_cbranch_execz .LBB6_7745
; %bb.7744:                             ;   in Loop: Header=BB6_7203 Depth=3
	v_and_b32_e32 v1, 7, v0
	v_lshrrev_b32_e32 v28, 3, v20
	v_cmp_gt_u32_e32 vcc, 8, v20
	v_ffbh_u32_e32 v20, v1
	v_min_u32_e32 v20, 32, v20
	v_subrev_u32_e32 v22, 28, v20
	v_lshlrev_b64 v[22:23], v22, v[0:1]
	v_sub_u32_e32 v20, 29, v20
	v_and_b32_e32 v22, 7, v22
	v_cndmask_b32_e32 v20, v28, v20, vcc
	v_cndmask_b32_e32 v1, v1, v22, vcc
	v_lshlrev_b32_e32 v0, 24, v0
	v_bfrev_b32_e32 v22, 60
	v_lshlrev_b32_e32 v1, 20, v1
	v_and_b32_e32 v0, 0x80000000, v0
	v_lshl_add_u32 v20, v20, 23, v22
	v_or3_b32 v1, v0, v20, v1
.LBB6_7745:                             ;   in Loop: Header=BB6_7203 Depth=3
	s_or_b64 exec, exec, s[34:35]
.LBB6_7746:                             ;   in Loop: Header=BB6_7203 Depth=3
	s_or_b64 exec, exec, s[30:31]
.LBB6_7747:                             ;   in Loop: Header=BB6_7203 Depth=3
	s_or_b64 exec, exec, s[28:29]
	v_mul_f32_e32 v0, v2, v1
	v_and_b32_e32 v20, 0x7f800000, v0
	v_cmp_ne_u64_e32 vcc, s[62:63], v[20:21]
                                        ; implicit-def: $vgpr1
                                        ; kill: killed $vgpr1
	s_and_saveexec_b64 s[28:29], vcc
	s_xor_b64 s[30:31], exec, s[28:29]
	s_cbranch_execz .LBB6_7761
; %bb.7748:                             ;   in Loop: Header=BB6_7203 Depth=3
	v_and_b32_e32 v20, 0x7fffffff, v0
	v_cmp_gt_u64_e32 vcc, s[78:79], v[20:21]
	v_and_b32_sdwa v22, v0, s80 dst_sel:DWORD dst_unused:UNUSED_PAD src0_sel:BYTE_3 src1_sel:DWORD
                                        ; implicit-def: $vgpr1
                                        ; kill: killed $vgpr1
	s_and_saveexec_b64 s[28:29], vcc
	s_xor_b64 s[34:35], exec, s[28:29]
	s_cbranch_execz .LBB6_7758
; %bb.7749:                             ;   in Loop: Header=BB6_7203 Depth=3
	v_mov_b32_e32 v1, 0
	v_cmp_ne_u32_e32 vcc, 0, v0
	buffer_store_dword v1, off, s[0:3], s33 offset:184 ; 4-byte Folded Spill
	s_and_saveexec_b64 s[36:37], vcc
	s_cbranch_execz .LBB6_7757
; %bb.7750:                             ;   in Loop: Header=BB6_7203 Depth=3
	v_bfe_u32 v23, v0, 23, 8
	v_and_b32_e32 v1, 0x7fffff, v0
	v_cmp_gt_u32_e64 s[28:29], s47, v23
	v_sub_u32_e32 v0, 0x79, v23
	v_cmp_eq_u32_e32 vcc, 0, v23
	v_cndmask_b32_e64 v0, 0, v0, s[28:29]
	v_mov_b32_e32 v20, 0x78
	v_cndmask_b32_e32 v28, v0, v20, vcc
	v_or_b32_e32 v2, 0x800000, v1
	v_add_u32_e32 v0, 20, v28
	v_cndmask_b32_e32 v20, v2, v1, vcc
	v_lshlrev_b64 v[0:1], v0, -1
	v_add_u32_e32 v2, 19, v28
	v_lshlrev_b64 v[29:30], v2, 1
	v_bfi_b32 v1, v1, 0, 0
	v_bfi_b32 v0, v0, 0, v20
	v_cmp_eq_u64_e64 s[28:29], v[0:1], v[29:30]
	v_lshrrev_b64 v[0:1], v28, v[20:21]
	v_mov_b32_e32 v2, v1
	v_mov_b32_e32 v1, v0
	s_and_saveexec_b64 s[38:39], s[28:29]
; %bb.7751:                             ;   in Loop: Header=BB6_7203 Depth=3
	v_bfe_u32 v1, v0, 20, 1
	v_add_co_u32_e64 v1, s[28:29], v0, v1
	v_add_co_u32_e64 v1, s[28:29], -1, v1
; %bb.7752:                             ;   in Loop: Header=BB6_7203 Depth=3
	s_or_b64 exec, exec, s[38:39]
	v_add_u32_e32 v2, 0xffffff81, v23
	v_mov_b32_e32 v20, 0xffffff82
	v_cndmask_b32_e32 v2, v2, v20, vcc
	v_lshrrev_b32_e32 v20, 23, v0
	v_add3_u32 v28, v28, v2, v20
	v_add_u32_e32 v23, 6, v28
	v_and_b32_e32 v1, 0xfffff, v1
	v_add_u32_e32 v20, v1, v0
	v_cmp_ne_u32_e32 vcc, 0, v23
                                        ; implicit-def: $vgpr0_vgpr1
                                        ; implicit-def: $vgpr2
	s_and_saveexec_b64 s[28:29], vcc
	s_xor_b64 s[28:29], exec, s[28:29]
; %bb.7753:                             ;   in Loop: Header=BB6_7203 Depth=3
	v_cmp_lt_u64_e32 vcc, s[88:89], v[20:21]
	v_add_u32_e32 v0, 7, v28
	v_cndmask_b32_e32 v2, v23, v0, vcc
	v_cndmask_b32_e64 v0, 0, 1, vcc
	v_lshrrev_b64 v[0:1], v0, v[20:21]
; %bb.7754:                             ;   in Loop: Header=BB6_7203 Depth=3
	s_andn2_saveexec_b64 s[28:29], s[28:29]
; %bb.7755:                             ;   in Loop: Header=BB6_7203 Depth=3
	v_mov_b32_e32 v0, v20
	v_bfe_u32 v2, v20, 23, 1
	v_mov_b32_e32 v1, v21
; %bb.7756:                             ;   in Loop: Header=BB6_7203 Depth=3
	s_or_b64 exec, exec, s[28:29]
	v_lshrrev_b64 v[0:1], 20, v[0:1]
	v_cmp_gt_i32_e32 vcc, 16, v2
	v_cndmask_b32_e32 v1, 0, v1, vcc
	v_cndmask_b32_e32 v0, 7, v0, vcc
	v_cmp_eq_u64_e64 s[28:29], 0, v[0:1]
	v_min_i32_e32 v1, 15, v2
	v_lshlrev_b32_e32 v1, 3, v1
	v_cmp_eq_u32_e32 vcc, 0, v2
	v_and_b32_e32 v1, 0xf8, v1
	v_and_or_b32 v0, v0, 7, v1
	s_and_b64 s[28:29], vcc, s[28:29]
	v_cndmask_b32_e64 v0, v0, 0, s[28:29]
	v_or_b32_e32 v0, v0, v22
	buffer_store_dword v0, off, s[0:3], s33 offset:184 ; 4-byte Folded Spill
.LBB6_7757:                             ;   in Loop: Header=BB6_7203 Depth=3
	s_or_b64 exec, exec, s[36:37]
                                        ; implicit-def: $vgpr22
.LBB6_7758:                             ;   in Loop: Header=BB6_7203 Depth=3
	s_andn2_saveexec_b64 s[28:29], s[34:35]
	s_cbranch_execz .LBB6_7760
; %bb.7759:                             ;   in Loop: Header=BB6_7203 Depth=3
	v_or_b32_e32 v0, 0x7e, v22
	buffer_store_dword v0, off, s[0:3], s33 offset:184 ; 4-byte Folded Spill
.LBB6_7760:                             ;   in Loop: Header=BB6_7203 Depth=3
	s_or_b64 exec, exec, s[28:29]
                                        ; implicit-def: $vgpr0
.LBB6_7761:                             ;   in Loop: Header=BB6_7203 Depth=3
	s_andn2_saveexec_b64 s[28:29], s[30:31]
	s_cbranch_execz .LBB6_7763
; %bb.7762:                             ;   in Loop: Header=BB6_7203 Depth=3
	v_or_b32_sdwa v0, v0, s81 dst_sel:DWORD dst_unused:UNUSED_PAD src0_sel:BYTE_3 src1_sel:DWORD
	buffer_store_dword v0, off, s[0:3], s33 offset:184 ; 4-byte Folded Spill
.LBB6_7763:                             ;   in Loop: Header=BB6_7203 Depth=3
	s_or_b64 exec, exec, s[28:29]
	v_mov_b32_e32 v20, v33
	v_cmp_ne_u16_sdwa vcc, v33, v21 src0_sel:BYTE_0 src1_sel:DWORD
	v_mov_b32_e32 v1, 0
	v_mov_b32_e32 v0, 0
	s_and_saveexec_b64 s[28:29], vcc
	s_cbranch_execz .LBB6_7769
; %bb.7764:                             ;   in Loop: Header=BB6_7203 Depth=3
	v_cmp_ne_u16_sdwa vcc, v33, s80 src0_sel:BYTE_0 src1_sel:DWORD
	v_bfrev_b32_e32 v0, 1
	s_and_saveexec_b64 s[30:31], vcc
	s_cbranch_execz .LBB6_7768
; %bb.7765:                             ;   in Loop: Header=BB6_7203 Depth=3
	v_and_b32_e32 v2, 0x7f, v33
	v_cmp_ne_u32_e32 vcc, s81, v2
	v_mov_b32_e32 v0, 0x7f800001
	s_and_saveexec_b64 s[34:35], vcc
	s_cbranch_execz .LBB6_7767
; %bb.7766:                             ;   in Loop: Header=BB6_7203 Depth=3
	v_and_b32_e32 v0, 7, v33
	v_ffbh_u32_e32 v0, v0
	v_min_u32_e32 v0, 32, v0
	v_lshrrev_b32_e32 v22, 3, v2
	v_cmp_gt_u32_e32 vcc, 8, v2
	v_subrev_u32_e32 v2, 28, v0
	v_sub_u32_e32 v0, 29, v0
	v_cndmask_b32_e32 v2, 0, v2, vcc
	v_cndmask_b32_e32 v0, v22, v0, vcc
	v_lshlrev_b64 v[22:23], v2, v[20:21]
	v_bfrev_b32_e32 v23, 60
	v_lshlrev_b32_e32 v2, 20, v22
	v_lshlrev_b32_e32 v22, 24, v20
	v_and_b32_e32 v2, 0x700000, v2
	v_and_b32_e32 v22, 0x80000000, v22
	v_lshl_add_u32 v0, v0, 23, v23
	v_or3_b32 v0, v22, v0, v2
.LBB6_7767:                             ;   in Loop: Header=BB6_7203 Depth=3
	s_or_b64 exec, exec, s[34:35]
.LBB6_7768:                             ;   in Loop: Header=BB6_7203 Depth=3
	s_or_b64 exec, exec, s[30:31]
.LBB6_7769:                             ;   in Loop: Header=BB6_7203 Depth=3
	s_or_b64 exec, exec, s[28:29]
	v_cmp_ne_u16_sdwa vcc, v25, v21 src0_sel:BYTE_0 src1_sel:DWORD
	s_and_saveexec_b64 s[28:29], vcc
	s_cbranch_execz .LBB6_7775
; %bb.7770:                             ;   in Loop: Header=BB6_7203 Depth=3
	v_cmp_ne_u16_sdwa vcc, v25, s80 src0_sel:BYTE_0 src1_sel:DWORD
	v_bfrev_b32_e32 v1, 1
	s_and_saveexec_b64 s[30:31], vcc
	s_cbranch_execz .LBB6_7774
; %bb.7771:                             ;   in Loop: Header=BB6_7203 Depth=3
	v_and_b32_e32 v2, 0x7f, v25
	v_cmp_ne_u32_e32 vcc, s81, v2
	v_mov_b32_e32 v1, 0x7f800001
	s_and_saveexec_b64 s[34:35], vcc
	s_cbranch_execz .LBB6_7773
; %bb.7772:                             ;   in Loop: Header=BB6_7203 Depth=3
	v_and_b32_e32 v1, 7, v25
	v_ffbh_u32_e32 v1, v1
	v_min_u32_e32 v1, 32, v1
	v_lshrrev_b32_e32 v28, 3, v2
	v_cmp_gt_u32_e32 vcc, 8, v2
	v_subrev_u32_e32 v2, 28, v1
	v_sub_u32_e32 v1, 29, v1
	v_mov_b32_e32 v22, v25
	v_mov_b32_e32 v23, v21
	v_cndmask_b32_e32 v28, v28, v1, vcc
	v_cndmask_b32_e32 v1, 0, v2, vcc
	v_lshlrev_b64 v[1:2], v1, v[22:23]
	v_lshlrev_b32_e32 v2, 24, v22
	v_lshlrev_b32_e32 v1, 20, v1
	v_bfrev_b32_e32 v22, 60
	v_and_b32_e32 v1, 0x700000, v1
	v_and_b32_e32 v2, 0x80000000, v2
	v_lshl_add_u32 v22, v28, 23, v22
	v_or3_b32 v1, v2, v22, v1
.LBB6_7773:                             ;   in Loop: Header=BB6_7203 Depth=3
	s_or_b64 exec, exec, s[34:35]
.LBB6_7774:                             ;   in Loop: Header=BB6_7203 Depth=3
	s_or_b64 exec, exec, s[30:31]
.LBB6_7775:                             ;   in Loop: Header=BB6_7203 Depth=3
	s_or_b64 exec, exec, s[28:29]
	v_mul_f32_e32 v0, v0, v1
	v_and_b32_e32 v1, 0x7f800000, v0
	v_mov_b32_e32 v2, v21
	v_cmp_ne_u64_e32 vcc, s[62:63], v[1:2]
                                        ; implicit-def: $vgpr57
	s_and_saveexec_b64 s[28:29], vcc
	s_xor_b64 s[30:31], exec, s[28:29]
	s_cbranch_execz .LBB6_7789
; %bb.7776:                             ;   in Loop: Header=BB6_7203 Depth=3
	v_and_b32_e32 v1, 0x7fffffff, v0
	v_mov_b32_e32 v2, v21
	v_cmp_gt_u64_e32 vcc, s[78:79], v[1:2]
	v_and_b32_sdwa v22, v0, s80 dst_sel:DWORD dst_unused:UNUSED_PAD src0_sel:BYTE_3 src1_sel:DWORD
                                        ; implicit-def: $vgpr57
	s_and_saveexec_b64 s[28:29], vcc
	s_xor_b64 s[34:35], exec, s[28:29]
	s_cbranch_execz .LBB6_7786
; %bb.7777:                             ;   in Loop: Header=BB6_7203 Depth=3
	v_mov_b32_e32 v57, 0
	v_cmp_ne_u32_e32 vcc, 0, v0
	s_and_saveexec_b64 s[36:37], vcc
	s_cbranch_execz .LBB6_7785
; %bb.7778:                             ;   in Loop: Header=BB6_7203 Depth=3
	v_bfe_u32 v23, v0, 23, 8
	v_and_b32_e32 v1, 0x7fffff, v0
	v_cmp_gt_u32_e64 s[28:29], s47, v23
	v_sub_u32_e32 v0, 0x79, v23
	v_cmp_eq_u32_e32 vcc, 0, v23
	v_cndmask_b32_e64 v0, 0, v0, s[28:29]
	v_mov_b32_e32 v28, 0x78
	v_or_b32_e32 v2, 0x800000, v1
	v_cndmask_b32_e32 v28, v0, v28, vcc
	v_cndmask_b32_e32 v0, v2, v1, vcc
	v_add_u32_e32 v2, 20, v28
	v_lshlrev_b64 v[29:30], v2, -1
	v_mov_b32_e32 v1, v21
	v_add_u32_e32 v2, 19, v28
	v_bfi_b32 v29, v29, 0, v0
	v_lshlrev_b64 v[36:37], v2, 1
	v_lshrrev_b64 v[0:1], v28, v[0:1]
	v_bfi_b32 v30, v30, 0, 0
	v_cmp_eq_u64_e64 s[28:29], v[29:30], v[36:37]
	v_mov_b32_e32 v2, v1
	v_mov_b32_e32 v1, v0
	s_and_saveexec_b64 s[38:39], s[28:29]
; %bb.7779:                             ;   in Loop: Header=BB6_7203 Depth=3
	v_bfe_u32 v1, v0, 20, 1
	v_add_co_u32_e64 v1, s[28:29], v0, v1
	v_add_co_u32_e64 v1, s[28:29], -1, v1
; %bb.7780:                             ;   in Loop: Header=BB6_7203 Depth=3
	s_or_b64 exec, exec, s[38:39]
	v_add_u32_e32 v2, 0xffffff81, v23
	v_mov_b32_e32 v23, 0xffffff82
	v_cndmask_b32_e32 v2, v2, v23, vcc
	v_lshrrev_b32_e32 v23, 23, v0
	v_add3_u32 v28, v28, v2, v23
	v_add_u32_e32 v23, 6, v28
	v_and_b32_e32 v1, 0xfffff, v1
	v_add_u32_e32 v0, v1, v0
	v_mov_b32_e32 v1, v21
	v_cmp_ne_u32_e32 vcc, 0, v23
                                        ; implicit-def: $vgpr2
	s_and_saveexec_b64 s[28:29], vcc
	s_xor_b64 s[28:29], exec, s[28:29]
; %bb.7781:                             ;   in Loop: Header=BB6_7203 Depth=3
	v_cmp_lt_u64_e32 vcc, s[88:89], v[0:1]
	v_add_u32_e32 v2, 7, v28
	v_cndmask_b32_e32 v2, v23, v2, vcc
	v_cndmask_b32_e64 v23, 0, 1, vcc
	v_lshrrev_b64 v[0:1], v23, v[0:1]
; %bb.7782:                             ;   in Loop: Header=BB6_7203 Depth=3
	s_andn2_saveexec_b64 s[28:29], s[28:29]
; %bb.7783:                             ;   in Loop: Header=BB6_7203 Depth=3
	v_bfe_u32 v2, v0, 23, 1
; %bb.7784:                             ;   in Loop: Header=BB6_7203 Depth=3
	s_or_b64 exec, exec, s[28:29]
	v_lshrrev_b64 v[0:1], 20, v[0:1]
	v_cmp_gt_i32_e32 vcc, 16, v2
	v_cndmask_b32_e32 v1, 0, v1, vcc
	v_cndmask_b32_e32 v0, 7, v0, vcc
	v_cmp_eq_u64_e64 s[28:29], 0, v[0:1]
	v_min_i32_e32 v1, 15, v2
	v_lshlrev_b32_e32 v1, 3, v1
	v_cmp_eq_u32_e32 vcc, 0, v2
	v_and_b32_e32 v1, 0xf8, v1
	v_and_or_b32 v0, v0, 7, v1
	s_and_b64 s[28:29], vcc, s[28:29]
	v_cndmask_b32_e64 v0, v0, 0, s[28:29]
	v_or_b32_e32 v57, v0, v22
.LBB6_7785:                             ;   in Loop: Header=BB6_7203 Depth=3
	s_or_b64 exec, exec, s[36:37]
                                        ; implicit-def: $vgpr22
.LBB6_7786:                             ;   in Loop: Header=BB6_7203 Depth=3
	s_andn2_saveexec_b64 s[28:29], s[34:35]
; %bb.7787:                             ;   in Loop: Header=BB6_7203 Depth=3
	v_or_b32_e32 v57, 0x7e, v22
; %bb.7788:                             ;   in Loop: Header=BB6_7203 Depth=3
	s_or_b64 exec, exec, s[28:29]
                                        ; implicit-def: $vgpr0
.LBB6_7789:                             ;   in Loop: Header=BB6_7203 Depth=3
	s_andn2_saveexec_b64 s[28:29], s[30:31]
; %bb.7790:                             ;   in Loop: Header=BB6_7203 Depth=3
	v_or_b32_sdwa v57, v0, s81 dst_sel:DWORD dst_unused:UNUSED_PAD src0_sel:BYTE_3 src1_sel:DWORD
; %bb.7791:                             ;   in Loop: Header=BB6_7203 Depth=3
	s_or_b64 exec, exec, s[28:29]
	v_lshrrev_b16_e32 v0, 8, v20
	v_cmp_ne_u16_e32 vcc, 0, v0
	v_mov_b32_e32 v1, 0
	v_mov_b32_e32 v2, 0
	s_and_saveexec_b64 s[28:29], vcc
	s_cbranch_execz .LBB6_7797
; %bb.7792:                             ;   in Loop: Header=BB6_7203 Depth=3
	v_cmp_ne_u16_e32 vcc, s80, v0
	v_bfrev_b32_e32 v2, 1
	s_and_saveexec_b64 s[30:31], vcc
	s_cbranch_execz .LBB6_7796
; %bb.7793:                             ;   in Loop: Header=BB6_7203 Depth=3
	v_and_b32_e32 v22, 0x7f, v0
	v_cmp_ne_u32_e32 vcc, s81, v22
	v_mov_b32_e32 v2, 0x7f800001
	s_and_saveexec_b64 s[34:35], vcc
	s_cbranch_execz .LBB6_7795
; %bb.7794:                             ;   in Loop: Header=BB6_7203 Depth=3
	v_and_b32_e32 v2, 7, v0
	v_lshrrev_b32_e32 v23, 3, v22
	v_cmp_gt_u32_e32 vcc, 8, v22
	v_ffbh_u32_e32 v22, v2
	v_min_u32_e32 v22, 32, v22
	v_subrev_u32_e32 v28, 28, v22
	v_lshlrev_b64 v[28:29], v28, v[0:1]
	v_sub_u32_e32 v0, 29, v22
	v_and_b32_e32 v22, 7, v28
	v_cndmask_b32_e32 v0, v23, v0, vcc
	v_cndmask_b32_e32 v2, v2, v22, vcc
	v_lshlrev_b32_e32 v20, 16, v20
	v_bfrev_b32_e32 v22, 60
	v_lshlrev_b32_e32 v2, 20, v2
	v_and_b32_e32 v20, 0x80000000, v20
	v_lshl_add_u32 v0, v0, 23, v22
	v_or3_b32 v2, v20, v0, v2
.LBB6_7795:                             ;   in Loop: Header=BB6_7203 Depth=3
	s_or_b64 exec, exec, s[34:35]
.LBB6_7796:                             ;   in Loop: Header=BB6_7203 Depth=3
	s_or_b64 exec, exec, s[30:31]
.LBB6_7797:                             ;   in Loop: Header=BB6_7203 Depth=3
	s_or_b64 exec, exec, s[28:29]
	v_lshrrev_b16_e32 v0, 8, v25
	v_cmp_ne_u16_e32 vcc, 0, v0
	s_and_saveexec_b64 s[28:29], vcc
	s_cbranch_execz .LBB6_7803
; %bb.7798:                             ;   in Loop: Header=BB6_7203 Depth=3
	v_cmp_ne_u16_e32 vcc, s80, v0
	v_bfrev_b32_e32 v1, 1
	s_and_saveexec_b64 s[30:31], vcc
	s_cbranch_execz .LBB6_7802
; %bb.7799:                             ;   in Loop: Header=BB6_7203 Depth=3
	v_and_b32_e32 v20, 0x7f, v0
	v_cmp_ne_u32_e32 vcc, s81, v20
	v_mov_b32_e32 v1, 0x7f800001
	s_and_saveexec_b64 s[34:35], vcc
	s_cbranch_execz .LBB6_7801
; %bb.7800:                             ;   in Loop: Header=BB6_7203 Depth=3
	v_and_b32_e32 v22, 7, v0
	v_ffbh_u32_e32 v1, v22
	v_lshrrev_b32_e32 v23, 3, v20
	v_cmp_gt_u32_e32 vcc, 8, v20
	v_min_u32_e32 v20, 32, v1
	v_subrev_u32_e32 v1, 28, v20
	v_lshlrev_b64 v[0:1], v1, v[0:1]
	v_sub_u32_e32 v1, 29, v20
	v_and_b32_e32 v0, 7, v0
	v_cndmask_b32_e32 v1, v23, v1, vcc
	v_cndmask_b32_e32 v0, v22, v0, vcc
	v_lshlrev_b32_e32 v20, 16, v25
	v_bfrev_b32_e32 v22, 60
	v_lshlrev_b32_e32 v0, 20, v0
	v_and_b32_e32 v20, 0x80000000, v20
	v_lshl_add_u32 v1, v1, 23, v22
	v_or3_b32 v1, v20, v1, v0
.LBB6_7801:                             ;   in Loop: Header=BB6_7203 Depth=3
	s_or_b64 exec, exec, s[34:35]
.LBB6_7802:                             ;   in Loop: Header=BB6_7203 Depth=3
	s_or_b64 exec, exec, s[30:31]
.LBB6_7803:                             ;   in Loop: Header=BB6_7203 Depth=3
	s_or_b64 exec, exec, s[28:29]
	v_mul_f32_e32 v0, v2, v1
	v_and_b32_e32 v20, 0x7f800000, v0
	v_cmp_ne_u64_e32 vcc, s[62:63], v[20:21]
                                        ; implicit-def: $vgpr1
                                        ; kill: killed $vgpr1
	s_and_saveexec_b64 s[28:29], vcc
	s_xor_b64 s[30:31], exec, s[28:29]
	s_cbranch_execz .LBB6_7817
; %bb.7804:                             ;   in Loop: Header=BB6_7203 Depth=3
	v_and_b32_e32 v20, 0x7fffffff, v0
	v_cmp_gt_u64_e32 vcc, s[78:79], v[20:21]
	v_and_b32_sdwa v22, v0, s80 dst_sel:DWORD dst_unused:UNUSED_PAD src0_sel:BYTE_3 src1_sel:DWORD
                                        ; implicit-def: $vgpr1
                                        ; kill: killed $vgpr1
	s_and_saveexec_b64 s[28:29], vcc
	s_xor_b64 s[34:35], exec, s[28:29]
	s_cbranch_execz .LBB6_7814
; %bb.7805:                             ;   in Loop: Header=BB6_7203 Depth=3
	v_mov_b32_e32 v1, 0
	v_cmp_ne_u32_e32 vcc, 0, v0
	buffer_store_dword v1, off, s[0:3], s33 offset:188 ; 4-byte Folded Spill
	s_and_saveexec_b64 s[36:37], vcc
	s_cbranch_execz .LBB6_7813
; %bb.7806:                             ;   in Loop: Header=BB6_7203 Depth=3
	v_bfe_u32 v28, v0, 23, 8
	v_and_b32_e32 v1, 0x7fffff, v0
	v_cmp_gt_u32_e64 s[28:29], s47, v28
	v_sub_u32_e32 v0, 0x79, v28
	v_cmp_eq_u32_e32 vcc, 0, v28
	v_cndmask_b32_e64 v0, 0, v0, s[28:29]
	v_mov_b32_e32 v20, 0x78
	v_cndmask_b32_e32 v29, v0, v20, vcc
	v_or_b32_e32 v2, 0x800000, v1
	v_add_u32_e32 v0, 20, v29
	v_cndmask_b32_e32 v20, v2, v1, vcc
	v_lshlrev_b64 v[0:1], v0, -1
	v_add_u32_e32 v2, 19, v29
	v_lshlrev_b64 v[30:31], v2, 1
	v_bfi_b32 v1, v1, 0, 0
	v_bfi_b32 v0, v0, 0, v20
	v_cmp_eq_u64_e64 s[28:29], v[0:1], v[30:31]
	v_lshrrev_b64 v[0:1], v29, v[20:21]
	v_mov_b32_e32 v2, v1
	v_mov_b32_e32 v1, v0
	s_and_saveexec_b64 s[38:39], s[28:29]
; %bb.7807:                             ;   in Loop: Header=BB6_7203 Depth=3
	v_bfe_u32 v1, v0, 20, 1
	v_add_co_u32_e64 v1, s[28:29], v0, v1
	v_add_co_u32_e64 v1, s[28:29], -1, v1
; %bb.7808:                             ;   in Loop: Header=BB6_7203 Depth=3
	s_or_b64 exec, exec, s[38:39]
	v_add_u32_e32 v2, 0xffffff81, v28
	v_mov_b32_e32 v20, 0xffffff82
	v_cndmask_b32_e32 v2, v2, v20, vcc
	v_lshrrev_b32_e32 v20, 23, v0
	v_add3_u32 v29, v29, v2, v20
	v_add_u32_e32 v28, 6, v29
	v_and_b32_e32 v1, 0xfffff, v1
	v_add_u32_e32 v20, v1, v0
	v_cmp_ne_u32_e32 vcc, 0, v28
                                        ; implicit-def: $vgpr0_vgpr1
                                        ; implicit-def: $vgpr2
	s_and_saveexec_b64 s[28:29], vcc
	s_xor_b64 s[28:29], exec, s[28:29]
; %bb.7809:                             ;   in Loop: Header=BB6_7203 Depth=3
	v_cmp_lt_u64_e32 vcc, s[88:89], v[20:21]
	v_add_u32_e32 v0, 7, v29
	v_cndmask_b32_e32 v2, v28, v0, vcc
	v_cndmask_b32_e64 v0, 0, 1, vcc
	v_lshrrev_b64 v[0:1], v0, v[20:21]
; %bb.7810:                             ;   in Loop: Header=BB6_7203 Depth=3
	s_andn2_saveexec_b64 s[28:29], s[28:29]
; %bb.7811:                             ;   in Loop: Header=BB6_7203 Depth=3
	v_mov_b32_e32 v0, v20
	v_bfe_u32 v2, v20, 23, 1
	v_mov_b32_e32 v1, v21
; %bb.7812:                             ;   in Loop: Header=BB6_7203 Depth=3
	s_or_b64 exec, exec, s[28:29]
	v_lshrrev_b64 v[0:1], 20, v[0:1]
	v_cmp_gt_i32_e32 vcc, 16, v2
	v_cndmask_b32_e32 v1, 0, v1, vcc
	v_cndmask_b32_e32 v0, 7, v0, vcc
	v_cmp_eq_u64_e64 s[28:29], 0, v[0:1]
	v_min_i32_e32 v1, 15, v2
	v_lshlrev_b32_e32 v1, 3, v1
	v_cmp_eq_u32_e32 vcc, 0, v2
	v_and_b32_e32 v1, 0xf8, v1
	v_and_or_b32 v0, v0, 7, v1
	s_and_b64 s[28:29], vcc, s[28:29]
	v_cndmask_b32_e64 v0, v0, 0, s[28:29]
	v_or_b32_e32 v0, v0, v22
	buffer_store_dword v0, off, s[0:3], s33 offset:188 ; 4-byte Folded Spill
.LBB6_7813:                             ;   in Loop: Header=BB6_7203 Depth=3
	s_or_b64 exec, exec, s[36:37]
                                        ; implicit-def: $vgpr22
.LBB6_7814:                             ;   in Loop: Header=BB6_7203 Depth=3
	s_andn2_saveexec_b64 s[28:29], s[34:35]
	s_cbranch_execz .LBB6_7816
; %bb.7815:                             ;   in Loop: Header=BB6_7203 Depth=3
	v_or_b32_e32 v0, 0x7e, v22
	buffer_store_dword v0, off, s[0:3], s33 offset:188 ; 4-byte Folded Spill
.LBB6_7816:                             ;   in Loop: Header=BB6_7203 Depth=3
	s_or_b64 exec, exec, s[28:29]
                                        ; implicit-def: $vgpr0
.LBB6_7817:                             ;   in Loop: Header=BB6_7203 Depth=3
	s_andn2_saveexec_b64 s[28:29], s[30:31]
	s_cbranch_execz .LBB6_7819
; %bb.7818:                             ;   in Loop: Header=BB6_7203 Depth=3
	v_or_b32_sdwa v0, v0, s81 dst_sel:DWORD dst_unused:UNUSED_PAD src0_sel:BYTE_3 src1_sel:DWORD
	buffer_store_dword v0, off, s[0:3], s33 offset:188 ; 4-byte Folded Spill
.LBB6_7819:                             ;   in Loop: Header=BB6_7203 Depth=3
	s_or_b64 exec, exec, s[28:29]
	v_lshrrev_b32_e32 v0, 16, v33
	v_cmp_ne_u16_sdwa vcc, v0, v21 src0_sel:BYTE_0 src1_sel:DWORD
	v_mov_b32_e32 v1, 0
	v_mov_b32_e32 v2, 0
	s_and_saveexec_b64 s[28:29], vcc
	s_cbranch_execz .LBB6_7825
; %bb.7820:                             ;   in Loop: Header=BB6_7203 Depth=3
	v_cmp_ne_u16_sdwa vcc, v0, s80 src0_sel:BYTE_0 src1_sel:DWORD
	v_bfrev_b32_e32 v2, 1
	s_and_saveexec_b64 s[30:31], vcc
	s_cbranch_execz .LBB6_7824
; %bb.7821:                             ;   in Loop: Header=BB6_7203 Depth=3
	v_bfe_u32 v20, v33, 16, 7
	v_cmp_ne_u32_e32 vcc, s81, v20
	v_mov_b32_e32 v2, 0x7f800001
	s_and_saveexec_b64 s[34:35], vcc
	s_cbranch_execz .LBB6_7823
; %bb.7822:                             ;   in Loop: Header=BB6_7203 Depth=3
	v_and_b32_e32 v2, 7, v0
	v_lshrrev_b32_e32 v22, 3, v20
	v_cmp_gt_u32_e32 vcc, 8, v20
	v_ffbh_u32_e32 v20, v2
	v_min_u32_e32 v20, 32, v20
	v_subrev_u32_e32 v23, 28, v20
	v_lshlrev_b64 v[28:29], v23, v[0:1]
	v_sub_u32_e32 v20, 29, v20
	v_and_b32_e32 v23, 7, v28
	v_cndmask_b32_e32 v20, v22, v20, vcc
	v_cndmask_b32_e32 v2, v2, v23, vcc
	v_lshlrev_b32_e32 v0, 24, v0
	v_bfrev_b32_e32 v22, 60
	v_lshlrev_b32_e32 v2, 20, v2
	v_and_b32_e32 v0, 0x80000000, v0
	v_lshl_add_u32 v20, v20, 23, v22
	v_or3_b32 v2, v0, v20, v2
.LBB6_7823:                             ;   in Loop: Header=BB6_7203 Depth=3
	s_or_b64 exec, exec, s[34:35]
.LBB6_7824:                             ;   in Loop: Header=BB6_7203 Depth=3
	s_or_b64 exec, exec, s[30:31]
.LBB6_7825:                             ;   in Loop: Header=BB6_7203 Depth=3
	s_or_b64 exec, exec, s[28:29]
	v_lshrrev_b32_e32 v0, 16, v25
	v_cmp_ne_u16_sdwa vcc, v0, v21 src0_sel:BYTE_0 src1_sel:DWORD
	s_and_saveexec_b64 s[28:29], vcc
	s_cbranch_execz .LBB6_7831
; %bb.7826:                             ;   in Loop: Header=BB6_7203 Depth=3
	v_cmp_ne_u16_sdwa vcc, v0, s80 src0_sel:BYTE_0 src1_sel:DWORD
	v_bfrev_b32_e32 v1, 1
	s_and_saveexec_b64 s[30:31], vcc
	s_cbranch_execz .LBB6_7830
; %bb.7827:                             ;   in Loop: Header=BB6_7203 Depth=3
	v_bfe_u32 v20, v25, 16, 7
	v_cmp_ne_u32_e32 vcc, s81, v20
	v_mov_b32_e32 v1, 0x7f800001
	s_and_saveexec_b64 s[34:35], vcc
	s_cbranch_execz .LBB6_7829
; %bb.7828:                             ;   in Loop: Header=BB6_7203 Depth=3
	v_and_b32_e32 v22, 7, v0
	v_ffbh_u32_e32 v1, v22
	v_lshrrev_b32_e32 v23, 3, v20
	v_cmp_gt_u32_e32 vcc, 8, v20
	v_min_u32_e32 v20, 32, v1
	v_subrev_u32_e32 v1, 28, v20
	v_lshlrev_b64 v[0:1], v1, v[0:1]
	v_sub_u32_e32 v1, 29, v20
	v_and_b32_e32 v0, 7, v0
	v_cndmask_b32_e32 v1, v23, v1, vcc
	v_cndmask_b32_e32 v0, v22, v0, vcc
	v_lshlrev_b32_e32 v20, 8, v25
	v_bfrev_b32_e32 v22, 60
	v_lshlrev_b32_e32 v0, 20, v0
	v_and_b32_e32 v20, 0x80000000, v20
	v_lshl_add_u32 v1, v1, 23, v22
	v_or3_b32 v1, v20, v1, v0
.LBB6_7829:                             ;   in Loop: Header=BB6_7203 Depth=3
	s_or_b64 exec, exec, s[34:35]
.LBB6_7830:                             ;   in Loop: Header=BB6_7203 Depth=3
	s_or_b64 exec, exec, s[30:31]
.LBB6_7831:                             ;   in Loop: Header=BB6_7203 Depth=3
	s_or_b64 exec, exec, s[28:29]
	v_mul_f32_e32 v0, v2, v1
	v_and_b32_e32 v20, 0x7f800000, v0
	v_cmp_ne_u64_e32 vcc, s[62:63], v[20:21]
                                        ; implicit-def: $vgpr31
	s_and_saveexec_b64 s[28:29], vcc
	s_xor_b64 s[30:31], exec, s[28:29]
	s_cbranch_execz .LBB6_7845
; %bb.7832:                             ;   in Loop: Header=BB6_7203 Depth=3
	v_and_b32_e32 v20, 0x7fffffff, v0
	v_cmp_gt_u64_e32 vcc, s[78:79], v[20:21]
	v_and_b32_sdwa v28, v0, s80 dst_sel:DWORD dst_unused:UNUSED_PAD src0_sel:BYTE_3 src1_sel:DWORD
                                        ; implicit-def: $vgpr31
	s_and_saveexec_b64 s[28:29], vcc
	s_xor_b64 s[34:35], exec, s[28:29]
	s_cbranch_execz .LBB6_7842
; %bb.7833:                             ;   in Loop: Header=BB6_7203 Depth=3
	v_mov_b32_e32 v31, 0
	v_cmp_ne_u32_e32 vcc, 0, v0
	s_and_saveexec_b64 s[36:37], vcc
	s_cbranch_execz .LBB6_7841
; %bb.7834:                             ;   in Loop: Header=BB6_7203 Depth=3
	v_bfe_u32 v22, v0, 23, 8
	v_and_b32_e32 v1, 0x7fffff, v0
	v_cmp_gt_u32_e64 s[28:29], s47, v22
	v_sub_u32_e32 v0, 0x79, v22
	v_cmp_eq_u32_e32 vcc, 0, v22
	v_cndmask_b32_e64 v0, 0, v0, s[28:29]
	v_mov_b32_e32 v20, 0x78
	v_cndmask_b32_e32 v29, v0, v20, vcc
	v_or_b32_e32 v2, 0x800000, v1
	v_add_u32_e32 v0, 20, v29
	v_cndmask_b32_e32 v20, v2, v1, vcc
	v_lshlrev_b64 v[0:1], v0, -1
	v_add_u32_e32 v2, 19, v29
	v_lshlrev_b64 v[36:37], v2, 1
	v_bfi_b32 v1, v1, 0, 0
	v_bfi_b32 v0, v0, 0, v20
	v_cmp_eq_u64_e64 s[28:29], v[0:1], v[36:37]
	v_lshrrev_b64 v[0:1], v29, v[20:21]
	v_mov_b32_e32 v2, v1
	v_mov_b32_e32 v1, v0
	s_and_saveexec_b64 s[38:39], s[28:29]
; %bb.7835:                             ;   in Loop: Header=BB6_7203 Depth=3
	v_bfe_u32 v1, v0, 20, 1
	v_add_co_u32_e64 v1, s[28:29], v0, v1
	v_add_co_u32_e64 v1, s[28:29], -1, v1
; %bb.7836:                             ;   in Loop: Header=BB6_7203 Depth=3
	s_or_b64 exec, exec, s[38:39]
	v_add_u32_e32 v2, 0xffffff81, v22
	v_mov_b32_e32 v20, 0xffffff82
	v_cndmask_b32_e32 v2, v2, v20, vcc
	v_lshrrev_b32_e32 v20, 23, v0
	v_add3_u32 v29, v29, v2, v20
	v_add_u32_e32 v22, 6, v29
	v_and_b32_e32 v1, 0xfffff, v1
	v_add_u32_e32 v20, v1, v0
	v_cmp_ne_u32_e32 vcc, 0, v22
                                        ; implicit-def: $vgpr0_vgpr1
                                        ; implicit-def: $vgpr2
	s_and_saveexec_b64 s[28:29], vcc
	s_xor_b64 s[28:29], exec, s[28:29]
; %bb.7837:                             ;   in Loop: Header=BB6_7203 Depth=3
	v_cmp_lt_u64_e32 vcc, s[88:89], v[20:21]
	v_add_u32_e32 v0, 7, v29
	v_cndmask_b32_e32 v2, v22, v0, vcc
	v_cndmask_b32_e64 v0, 0, 1, vcc
	v_lshrrev_b64 v[0:1], v0, v[20:21]
; %bb.7838:                             ;   in Loop: Header=BB6_7203 Depth=3
	s_andn2_saveexec_b64 s[28:29], s[28:29]
; %bb.7839:                             ;   in Loop: Header=BB6_7203 Depth=3
	v_mov_b32_e32 v0, v20
	v_bfe_u32 v2, v20, 23, 1
	v_mov_b32_e32 v1, v21
; %bb.7840:                             ;   in Loop: Header=BB6_7203 Depth=3
	s_or_b64 exec, exec, s[28:29]
	v_lshrrev_b64 v[0:1], 20, v[0:1]
	v_cmp_gt_i32_e32 vcc, 16, v2
	v_cndmask_b32_e32 v1, 0, v1, vcc
	v_cndmask_b32_e32 v0, 7, v0, vcc
	v_cmp_eq_u64_e64 s[28:29], 0, v[0:1]
	v_min_i32_e32 v1, 15, v2
	v_lshlrev_b32_e32 v1, 3, v1
	v_cmp_eq_u32_e32 vcc, 0, v2
	v_and_b32_e32 v1, 0xf8, v1
	v_and_or_b32 v0, v0, 7, v1
	s_and_b64 s[28:29], vcc, s[28:29]
	v_cndmask_b32_e64 v0, v0, 0, s[28:29]
	v_or_b32_e32 v31, v0, v28
.LBB6_7841:                             ;   in Loop: Header=BB6_7203 Depth=3
	s_or_b64 exec, exec, s[36:37]
                                        ; implicit-def: $vgpr28
.LBB6_7842:                             ;   in Loop: Header=BB6_7203 Depth=3
	s_andn2_saveexec_b64 s[28:29], s[34:35]
; %bb.7843:                             ;   in Loop: Header=BB6_7203 Depth=3
	v_or_b32_e32 v31, 0x7e, v28
; %bb.7844:                             ;   in Loop: Header=BB6_7203 Depth=3
	s_or_b64 exec, exec, s[28:29]
                                        ; implicit-def: $vgpr0
.LBB6_7845:                             ;   in Loop: Header=BB6_7203 Depth=3
	s_andn2_saveexec_b64 s[28:29], s[30:31]
; %bb.7846:                             ;   in Loop: Header=BB6_7203 Depth=3
	v_or_b32_sdwa v31, v0, s81 dst_sel:DWORD dst_unused:UNUSED_PAD src0_sel:BYTE_3 src1_sel:DWORD
; %bb.7847:                             ;   in Loop: Header=BB6_7203 Depth=3
	s_or_b64 exec, exec, s[28:29]
	v_cmp_lt_u64_e32 vcc, s[56:57], v[32:33]
	v_mov_b32_e32 v1, 0
	v_mov_b32_e32 v2, 0
	s_and_saveexec_b64 s[28:29], vcc
	s_cbranch_execz .LBB6_7853
; %bb.7848:                             ;   in Loop: Header=BB6_7203 Depth=3
	v_lshrrev_b32_e32 v0, 24, v33
	v_cmp_ne_u32_e32 vcc, s80, v0
	v_bfrev_b32_e32 v2, 1
	s_and_saveexec_b64 s[30:31], vcc
	s_cbranch_execz .LBB6_7852
; %bb.7849:                             ;   in Loop: Header=BB6_7203 Depth=3
	v_bfe_u32 v20, v33, 24, 7
	v_cmp_ne_u32_e32 vcc, s81, v20
	v_mov_b32_e32 v2, 0x7f800001
	s_and_saveexec_b64 s[34:35], vcc
	s_cbranch_execz .LBB6_7851
; %bb.7850:                             ;   in Loop: Header=BB6_7203 Depth=3
	v_and_b32_e32 v2, 7, v0
	v_lshrrev_b32_e32 v22, 3, v20
	v_cmp_gt_u32_e32 vcc, 8, v20
	v_ffbh_u32_e32 v20, v2
	v_min_u32_e32 v20, 32, v20
	v_subrev_u32_e32 v23, 28, v20
	v_lshlrev_b64 v[28:29], v23, v[0:1]
	v_sub_u32_e32 v20, 29, v20
	v_and_b32_e32 v23, 7, v28
	v_cndmask_b32_e32 v20, v22, v20, vcc
	v_cndmask_b32_e32 v2, v2, v23, vcc
	v_lshlrev_b32_e32 v0, 24, v0
	v_bfrev_b32_e32 v22, 60
	v_lshlrev_b32_e32 v2, 20, v2
	v_and_b32_e32 v0, 0x80000000, v0
	v_lshl_add_u32 v20, v20, 23, v22
	v_or3_b32 v2, v0, v20, v2
.LBB6_7851:                             ;   in Loop: Header=BB6_7203 Depth=3
	s_or_b64 exec, exec, s[34:35]
.LBB6_7852:                             ;   in Loop: Header=BB6_7203 Depth=3
	s_or_b64 exec, exec, s[30:31]
.LBB6_7853:                             ;   in Loop: Header=BB6_7203 Depth=3
	s_or_b64 exec, exec, s[28:29]
	v_cmp_lt_u64_e32 vcc, s[56:57], v[24:25]
	s_and_saveexec_b64 s[28:29], vcc
	s_cbranch_execz .LBB6_7859
; %bb.7854:                             ;   in Loop: Header=BB6_7203 Depth=3
	v_lshrrev_b32_e32 v0, 24, v25
	v_cmp_ne_u32_e32 vcc, s80, v0
	v_bfrev_b32_e32 v1, 1
	s_and_saveexec_b64 s[30:31], vcc
	s_cbranch_execz .LBB6_7858
; %bb.7855:                             ;   in Loop: Header=BB6_7203 Depth=3
	v_bfe_u32 v20, v25, 24, 7
	v_cmp_ne_u32_e32 vcc, s81, v20
	v_mov_b32_e32 v1, 0x7f800001
	s_and_saveexec_b64 s[34:35], vcc
	s_cbranch_execz .LBB6_7857
; %bb.7856:                             ;   in Loop: Header=BB6_7203 Depth=3
	v_and_b32_e32 v1, 7, v0
	v_lshrrev_b32_e32 v22, 3, v20
	v_cmp_gt_u32_e32 vcc, 8, v20
	v_ffbh_u32_e32 v20, v1
	v_min_u32_e32 v20, 32, v20
	v_subrev_u32_e32 v23, 28, v20
	v_lshlrev_b64 v[24:25], v23, v[0:1]
	v_sub_u32_e32 v20, 29, v20
	v_and_b32_e32 v23, 7, v24
	v_cndmask_b32_e32 v20, v22, v20, vcc
	v_cndmask_b32_e32 v1, v1, v23, vcc
	v_lshlrev_b32_e32 v0, 24, v0
	v_bfrev_b32_e32 v22, 60
	v_lshlrev_b32_e32 v1, 20, v1
	v_and_b32_e32 v0, 0x80000000, v0
	v_lshl_add_u32 v20, v20, 23, v22
	v_or3_b32 v1, v0, v20, v1
.LBB6_7857:                             ;   in Loop: Header=BB6_7203 Depth=3
	s_or_b64 exec, exec, s[34:35]
.LBB6_7858:                             ;   in Loop: Header=BB6_7203 Depth=3
	s_or_b64 exec, exec, s[30:31]
.LBB6_7859:                             ;   in Loop: Header=BB6_7203 Depth=3
	s_or_b64 exec, exec, s[28:29]
	v_mul_f32_e32 v0, v2, v1
	v_and_b32_e32 v20, 0x7f800000, v0
	v_cmp_ne_u64_e32 vcc, s[62:63], v[20:21]
                                        ; implicit-def: $vgpr24
	s_and_saveexec_b64 s[28:29], vcc
	s_xor_b64 s[30:31], exec, s[28:29]
	s_cbranch_execz .LBB6_7873
; %bb.7860:                             ;   in Loop: Header=BB6_7203 Depth=3
	v_and_b32_e32 v20, 0x7fffffff, v0
	v_cmp_gt_u64_e32 vcc, s[78:79], v[20:21]
	v_and_b32_sdwa v25, v0, s80 dst_sel:DWORD dst_unused:UNUSED_PAD src0_sel:BYTE_3 src1_sel:DWORD
                                        ; implicit-def: $vgpr24
	s_and_saveexec_b64 s[28:29], vcc
	s_xor_b64 s[34:35], exec, s[28:29]
	s_cbranch_execz .LBB6_7870
; %bb.7861:                             ;   in Loop: Header=BB6_7203 Depth=3
	v_mov_b32_e32 v24, 0
	v_cmp_ne_u32_e32 vcc, 0, v0
	s_and_saveexec_b64 s[36:37], vcc
	s_cbranch_execz .LBB6_7869
; %bb.7862:                             ;   in Loop: Header=BB6_7203 Depth=3
	v_bfe_u32 v24, v0, 23, 8
	v_and_b32_e32 v1, 0x7fffff, v0
	v_cmp_gt_u32_e64 s[28:29], s47, v24
	v_sub_u32_e32 v0, 0x79, v24
	v_cmp_eq_u32_e32 vcc, 0, v24
	v_cndmask_b32_e64 v0, 0, v0, s[28:29]
	v_mov_b32_e32 v20, 0x78
	v_cndmask_b32_e32 v28, v0, v20, vcc
	v_or_b32_e32 v2, 0x800000, v1
	v_add_u32_e32 v0, 20, v28
	v_cndmask_b32_e32 v20, v2, v1, vcc
	v_lshlrev_b64 v[0:1], v0, -1
	v_add_u32_e32 v2, 19, v28
	v_lshlrev_b64 v[29:30], v2, 1
	v_bfi_b32 v1, v1, 0, 0
	v_bfi_b32 v0, v0, 0, v20
	v_cmp_eq_u64_e64 s[28:29], v[0:1], v[29:30]
	v_lshrrev_b64 v[0:1], v28, v[20:21]
	v_mov_b32_e32 v2, v1
	v_mov_b32_e32 v1, v0
	s_and_saveexec_b64 s[38:39], s[28:29]
; %bb.7863:                             ;   in Loop: Header=BB6_7203 Depth=3
	v_bfe_u32 v1, v0, 20, 1
	v_add_co_u32_e64 v1, s[28:29], v0, v1
	v_add_co_u32_e64 v1, s[28:29], -1, v1
; %bb.7864:                             ;   in Loop: Header=BB6_7203 Depth=3
	s_or_b64 exec, exec, s[38:39]
	v_add_u32_e32 v2, 0xffffff81, v24
	v_mov_b32_e32 v20, 0xffffff82
	v_cndmask_b32_e32 v2, v2, v20, vcc
	v_lshrrev_b32_e32 v20, 23, v0
	v_add3_u32 v28, v28, v2, v20
	v_add_u32_e32 v24, 6, v28
	v_and_b32_e32 v1, 0xfffff, v1
	v_add_u32_e32 v20, v1, v0
	v_cmp_ne_u32_e32 vcc, 0, v24
                                        ; implicit-def: $vgpr0_vgpr1
                                        ; implicit-def: $vgpr2
	s_and_saveexec_b64 s[28:29], vcc
	s_xor_b64 s[28:29], exec, s[28:29]
; %bb.7865:                             ;   in Loop: Header=BB6_7203 Depth=3
	v_cmp_lt_u64_e32 vcc, s[88:89], v[20:21]
	v_add_u32_e32 v0, 7, v28
	v_cndmask_b32_e32 v2, v24, v0, vcc
	v_cndmask_b32_e64 v0, 0, 1, vcc
	v_lshrrev_b64 v[0:1], v0, v[20:21]
; %bb.7866:                             ;   in Loop: Header=BB6_7203 Depth=3
	s_andn2_saveexec_b64 s[28:29], s[28:29]
; %bb.7867:                             ;   in Loop: Header=BB6_7203 Depth=3
	v_mov_b32_e32 v0, v20
	v_bfe_u32 v2, v20, 23, 1
	v_mov_b32_e32 v1, v21
; %bb.7868:                             ;   in Loop: Header=BB6_7203 Depth=3
	s_or_b64 exec, exec, s[28:29]
	v_lshrrev_b64 v[0:1], 20, v[0:1]
	v_cmp_gt_i32_e32 vcc, 16, v2
	v_cndmask_b32_e32 v1, 0, v1, vcc
	v_cndmask_b32_e32 v0, 7, v0, vcc
	v_cmp_eq_u64_e64 s[28:29], 0, v[0:1]
	v_min_i32_e32 v1, 15, v2
	v_lshlrev_b32_e32 v1, 3, v1
	v_cmp_eq_u32_e32 vcc, 0, v2
	v_and_b32_e32 v1, 0xf8, v1
	v_and_or_b32 v0, v0, 7, v1
	s_and_b64 s[28:29], vcc, s[28:29]
	v_cndmask_b32_e64 v0, v0, 0, s[28:29]
	v_or_b32_e32 v24, v0, v25
.LBB6_7869:                             ;   in Loop: Header=BB6_7203 Depth=3
	s_or_b64 exec, exec, s[36:37]
                                        ; implicit-def: $vgpr25
.LBB6_7870:                             ;   in Loop: Header=BB6_7203 Depth=3
	s_andn2_saveexec_b64 s[28:29], s[34:35]
; %bb.7871:                             ;   in Loop: Header=BB6_7203 Depth=3
	v_or_b32_e32 v24, 0x7e, v25
; %bb.7872:                             ;   in Loop: Header=BB6_7203 Depth=3
	s_or_b64 exec, exec, s[28:29]
                                        ; implicit-def: $vgpr0
.LBB6_7873:                             ;   in Loop: Header=BB6_7203 Depth=3
	s_andn2_saveexec_b64 s[28:29], s[30:31]
; %bb.7874:                             ;   in Loop: Header=BB6_7203 Depth=3
	v_or_b32_sdwa v24, v0, s81 dst_sel:DWORD dst_unused:UNUSED_PAD src0_sel:BYTE_3 src1_sel:DWORD
; %bb.7875:                             ;   in Loop: Header=BB6_7203 Depth=3
	s_or_b64 exec, exec, s[28:29]
	v_cmp_ne_u16_sdwa vcc, v34, v21 src0_sel:BYTE_0 src1_sel:DWORD
	v_mov_b32_e32 v0, 0
	v_mov_b32_e32 v1, 0
	s_and_saveexec_b64 s[28:29], vcc
	s_cbranch_execz .LBB6_7881
; %bb.7876:                             ;   in Loop: Header=BB6_7203 Depth=3
	v_cmp_ne_u16_sdwa vcc, v34, s80 src0_sel:BYTE_0 src1_sel:DWORD
	v_bfrev_b32_e32 v1, 1
	s_and_saveexec_b64 s[30:31], vcc
	s_cbranch_execz .LBB6_7880
; %bb.7877:                             ;   in Loop: Header=BB6_7203 Depth=3
	v_and_b32_e32 v2, 0x7f, v34
	v_cmp_ne_u32_e32 vcc, s81, v2
	v_mov_b32_e32 v1, 0x7f800001
	s_and_saveexec_b64 s[34:35], vcc
	s_cbranch_execz .LBB6_7879
; %bb.7878:                             ;   in Loop: Header=BB6_7203 Depth=3
	v_and_b32_e32 v1, 7, v34
	v_ffbh_u32_e32 v1, v1
	v_min_u32_e32 v1, 32, v1
	v_lshrrev_b32_e32 v20, 3, v2
	v_cmp_gt_u32_e32 vcc, 8, v2
	v_subrev_u32_e32 v2, 28, v1
	v_sub_u32_e32 v1, 29, v1
	v_cndmask_b32_e32 v20, v20, v1, vcc
	v_cndmask_b32_e32 v1, 0, v2, vcc
	v_lshlrev_b64 v[1:2], v1, v[34:35]
	v_lshlrev_b32_e32 v2, 24, v34
	v_lshlrev_b32_e32 v1, 20, v1
	v_bfrev_b32_e32 v22, 60
	v_and_b32_e32 v1, 0x700000, v1
	v_and_b32_e32 v2, 0x80000000, v2
	v_lshl_add_u32 v20, v20, 23, v22
	v_or3_b32 v1, v2, v20, v1
.LBB6_7879:                             ;   in Loop: Header=BB6_7203 Depth=3
	s_or_b64 exec, exec, s[34:35]
.LBB6_7880:                             ;   in Loop: Header=BB6_7203 Depth=3
	s_or_b64 exec, exec, s[30:31]
.LBB6_7881:                             ;   in Loop: Header=BB6_7203 Depth=3
	s_or_b64 exec, exec, s[28:29]
	v_cmp_ne_u16_sdwa vcc, v26, v21 src0_sel:BYTE_0 src1_sel:DWORD
	s_and_saveexec_b64 s[28:29], vcc
	s_cbranch_execz .LBB6_7887
; %bb.7882:                             ;   in Loop: Header=BB6_7203 Depth=3
	v_cmp_ne_u16_sdwa vcc, v26, s80 src0_sel:BYTE_0 src1_sel:DWORD
	v_bfrev_b32_e32 v0, 1
	s_and_saveexec_b64 s[30:31], vcc
	s_cbranch_execz .LBB6_7886
; %bb.7883:                             ;   in Loop: Header=BB6_7203 Depth=3
	v_and_b32_e32 v2, 0x7f, v26
	v_cmp_ne_u32_e32 vcc, s81, v2
	v_mov_b32_e32 v0, 0x7f800001
	s_and_saveexec_b64 s[34:35], vcc
	s_cbranch_execz .LBB6_7885
; %bb.7884:                             ;   in Loop: Header=BB6_7203 Depth=3
	v_and_b32_e32 v0, 7, v26
	v_ffbh_u32_e32 v0, v0
	v_min_u32_e32 v0, 32, v0
	v_lshrrev_b32_e32 v20, 3, v2
	v_cmp_gt_u32_e32 vcc, 8, v2
	v_subrev_u32_e32 v2, 28, v0
	v_cndmask_b32_e32 v2, 0, v2, vcc
	v_lshlrev_b64 v[28:29], v2, v[26:27]
	v_sub_u32_e32 v0, 29, v0
	v_cndmask_b32_e32 v0, v20, v0, vcc
	v_lshlrev_b32_e32 v2, 20, v28
	v_lshlrev_b32_e32 v20, 24, v26
	v_bfrev_b32_e32 v22, 60
	v_and_b32_e32 v2, 0x700000, v2
	v_and_b32_e32 v20, 0x80000000, v20
	v_lshl_add_u32 v0, v0, 23, v22
	v_or3_b32 v0, v20, v0, v2
.LBB6_7885:                             ;   in Loop: Header=BB6_7203 Depth=3
	s_or_b64 exec, exec, s[34:35]
.LBB6_7886:                             ;   in Loop: Header=BB6_7203 Depth=3
	s_or_b64 exec, exec, s[30:31]
.LBB6_7887:                             ;   in Loop: Header=BB6_7203 Depth=3
	s_or_b64 exec, exec, s[28:29]
	v_mul_f32_e32 v0, v1, v0
	v_and_b32_e32 v20, 0x7f800000, v0
	v_cmp_ne_u64_e32 vcc, s[62:63], v[20:21]
                                        ; implicit-def: $vgpr25
	s_and_saveexec_b64 s[28:29], vcc
	s_xor_b64 s[30:31], exec, s[28:29]
	s_cbranch_execz .LBB6_7901
; %bb.7888:                             ;   in Loop: Header=BB6_7203 Depth=3
	v_and_b32_e32 v20, 0x7fffffff, v0
	v_cmp_gt_u64_e32 vcc, s[78:79], v[20:21]
	v_and_b32_sdwa v28, v0, s80 dst_sel:DWORD dst_unused:UNUSED_PAD src0_sel:BYTE_3 src1_sel:DWORD
                                        ; implicit-def: $vgpr25
	s_and_saveexec_b64 s[28:29], vcc
	s_xor_b64 s[34:35], exec, s[28:29]
	s_cbranch_execz .LBB6_7898
; %bb.7889:                             ;   in Loop: Header=BB6_7203 Depth=3
	v_mov_b32_e32 v25, 0
	v_cmp_ne_u32_e32 vcc, 0, v0
	s_and_saveexec_b64 s[36:37], vcc
	s_cbranch_execz .LBB6_7897
; %bb.7890:                             ;   in Loop: Header=BB6_7203 Depth=3
	v_bfe_u32 v25, v0, 23, 8
	v_and_b32_e32 v1, 0x7fffff, v0
	v_cmp_gt_u32_e64 s[28:29], s47, v25
	v_sub_u32_e32 v0, 0x79, v25
	v_cmp_eq_u32_e32 vcc, 0, v25
	v_cndmask_b32_e64 v0, 0, v0, s[28:29]
	v_mov_b32_e32 v20, 0x78
	v_cndmask_b32_e32 v29, v0, v20, vcc
	v_or_b32_e32 v2, 0x800000, v1
	v_add_u32_e32 v0, 20, v29
	v_cndmask_b32_e32 v20, v2, v1, vcc
	v_lshlrev_b64 v[0:1], v0, -1
	v_add_u32_e32 v2, 19, v29
	v_lshlrev_b64 v[32:33], v2, 1
	v_bfi_b32 v1, v1, 0, 0
	v_bfi_b32 v0, v0, 0, v20
	v_cmp_eq_u64_e64 s[28:29], v[0:1], v[32:33]
	v_lshrrev_b64 v[0:1], v29, v[20:21]
	v_mov_b32_e32 v2, v1
	v_mov_b32_e32 v1, v0
	s_and_saveexec_b64 s[38:39], s[28:29]
; %bb.7891:                             ;   in Loop: Header=BB6_7203 Depth=3
	v_bfe_u32 v1, v0, 20, 1
	v_add_co_u32_e64 v1, s[28:29], v0, v1
	v_add_co_u32_e64 v1, s[28:29], -1, v1
; %bb.7892:                             ;   in Loop: Header=BB6_7203 Depth=3
	s_or_b64 exec, exec, s[38:39]
	v_add_u32_e32 v2, 0xffffff81, v25
	v_mov_b32_e32 v20, 0xffffff82
	v_cndmask_b32_e32 v2, v2, v20, vcc
	v_lshrrev_b32_e32 v20, 23, v0
	v_add3_u32 v29, v29, v2, v20
	v_add_u32_e32 v25, 6, v29
	v_and_b32_e32 v1, 0xfffff, v1
	v_add_u32_e32 v20, v1, v0
	v_cmp_ne_u32_e32 vcc, 0, v25
                                        ; implicit-def: $vgpr0_vgpr1
                                        ; implicit-def: $vgpr2
	s_and_saveexec_b64 s[28:29], vcc
	s_xor_b64 s[28:29], exec, s[28:29]
; %bb.7893:                             ;   in Loop: Header=BB6_7203 Depth=3
	v_cmp_lt_u64_e32 vcc, s[88:89], v[20:21]
	v_add_u32_e32 v0, 7, v29
	v_cndmask_b32_e32 v2, v25, v0, vcc
	v_cndmask_b32_e64 v0, 0, 1, vcc
	v_lshrrev_b64 v[0:1], v0, v[20:21]
; %bb.7894:                             ;   in Loop: Header=BB6_7203 Depth=3
	s_andn2_saveexec_b64 s[28:29], s[28:29]
; %bb.7895:                             ;   in Loop: Header=BB6_7203 Depth=3
	v_mov_b32_e32 v0, v20
	v_bfe_u32 v2, v20, 23, 1
	v_mov_b32_e32 v1, v21
; %bb.7896:                             ;   in Loop: Header=BB6_7203 Depth=3
	s_or_b64 exec, exec, s[28:29]
	v_lshrrev_b64 v[0:1], 20, v[0:1]
	v_cmp_gt_i32_e32 vcc, 16, v2
	v_cndmask_b32_e32 v1, 0, v1, vcc
	v_cndmask_b32_e32 v0, 7, v0, vcc
	v_cmp_eq_u64_e64 s[28:29], 0, v[0:1]
	v_min_i32_e32 v1, 15, v2
	v_lshlrev_b32_e32 v1, 3, v1
	v_cmp_eq_u32_e32 vcc, 0, v2
	v_and_b32_e32 v1, 0xf8, v1
	v_and_or_b32 v0, v0, 7, v1
	s_and_b64 s[28:29], vcc, s[28:29]
	v_cndmask_b32_e64 v0, v0, 0, s[28:29]
	v_or_b32_e32 v25, v0, v28
.LBB6_7897:                             ;   in Loop: Header=BB6_7203 Depth=3
	s_or_b64 exec, exec, s[36:37]
                                        ; implicit-def: $vgpr28
.LBB6_7898:                             ;   in Loop: Header=BB6_7203 Depth=3
	s_andn2_saveexec_b64 s[28:29], s[34:35]
; %bb.7899:                             ;   in Loop: Header=BB6_7203 Depth=3
	v_or_b32_e32 v25, 0x7e, v28
; %bb.7900:                             ;   in Loop: Header=BB6_7203 Depth=3
	s_or_b64 exec, exec, s[28:29]
                                        ; implicit-def: $vgpr0
.LBB6_7901:                             ;   in Loop: Header=BB6_7203 Depth=3
	s_andn2_saveexec_b64 s[28:29], s[30:31]
; %bb.7902:                             ;   in Loop: Header=BB6_7203 Depth=3
	v_or_b32_sdwa v25, v0, s81 dst_sel:DWORD dst_unused:UNUSED_PAD src0_sel:BYTE_3 src1_sel:DWORD
; %bb.7903:                             ;   in Loop: Header=BB6_7203 Depth=3
	s_or_b64 exec, exec, s[28:29]
	v_lshrrev_b16_e32 v0, 8, v34
	v_cmp_ne_u16_e32 vcc, 0, v0
	v_mov_b32_e32 v1, 0
	v_mov_b32_e32 v2, 0
	s_and_saveexec_b64 s[28:29], vcc
	s_cbranch_execz .LBB6_7909
; %bb.7904:                             ;   in Loop: Header=BB6_7203 Depth=3
	v_cmp_ne_u16_e32 vcc, s80, v0
	v_bfrev_b32_e32 v2, 1
	s_and_saveexec_b64 s[30:31], vcc
	s_cbranch_execz .LBB6_7908
; %bb.7905:                             ;   in Loop: Header=BB6_7203 Depth=3
	v_and_b32_e32 v20, 0x7f, v0
	v_cmp_ne_u32_e32 vcc, s81, v20
	v_mov_b32_e32 v2, 0x7f800001
	s_and_saveexec_b64 s[34:35], vcc
	s_cbranch_execz .LBB6_7907
; %bb.7906:                             ;   in Loop: Header=BB6_7203 Depth=3
	v_and_b32_e32 v2, 7, v0
	v_lshrrev_b32_e32 v22, 3, v20
	v_cmp_gt_u32_e32 vcc, 8, v20
	v_ffbh_u32_e32 v20, v2
	v_min_u32_e32 v20, 32, v20
	v_subrev_u32_e32 v23, 28, v20
	v_lshlrev_b64 v[28:29], v23, v[0:1]
	v_sub_u32_e32 v0, 29, v20
	v_and_b32_e32 v20, 7, v28
	v_cndmask_b32_e32 v0, v22, v0, vcc
	v_cndmask_b32_e32 v2, v2, v20, vcc
	v_lshlrev_b32_e32 v20, 16, v34
	v_bfrev_b32_e32 v22, 60
	v_lshlrev_b32_e32 v2, 20, v2
	v_and_b32_e32 v20, 0x80000000, v20
	v_lshl_add_u32 v0, v0, 23, v22
	v_or3_b32 v2, v20, v0, v2
.LBB6_7907:                             ;   in Loop: Header=BB6_7203 Depth=3
	s_or_b64 exec, exec, s[34:35]
.LBB6_7908:                             ;   in Loop: Header=BB6_7203 Depth=3
	s_or_b64 exec, exec, s[30:31]
.LBB6_7909:                             ;   in Loop: Header=BB6_7203 Depth=3
	s_or_b64 exec, exec, s[28:29]
	v_lshrrev_b16_e32 v0, 8, v26
	v_cmp_ne_u16_e32 vcc, 0, v0
	s_and_saveexec_b64 s[28:29], vcc
	s_cbranch_execz .LBB6_7915
; %bb.7910:                             ;   in Loop: Header=BB6_7203 Depth=3
	v_cmp_ne_u16_e32 vcc, s80, v0
	v_bfrev_b32_e32 v1, 1
	s_and_saveexec_b64 s[30:31], vcc
	s_cbranch_execz .LBB6_7914
; %bb.7911:                             ;   in Loop: Header=BB6_7203 Depth=3
	v_and_b32_e32 v20, 0x7f, v0
	v_cmp_ne_u32_e32 vcc, s81, v20
	v_mov_b32_e32 v1, 0x7f800001
	s_and_saveexec_b64 s[34:35], vcc
	s_cbranch_execz .LBB6_7913
; %bb.7912:                             ;   in Loop: Header=BB6_7203 Depth=3
	v_and_b32_e32 v22, 7, v0
	v_ffbh_u32_e32 v1, v22
	v_lshrrev_b32_e32 v23, 3, v20
	v_cmp_gt_u32_e32 vcc, 8, v20
	v_min_u32_e32 v20, 32, v1
	v_subrev_u32_e32 v1, 28, v20
	v_lshlrev_b64 v[0:1], v1, v[0:1]
	v_sub_u32_e32 v1, 29, v20
	v_and_b32_e32 v0, 7, v0
	v_cndmask_b32_e32 v1, v23, v1, vcc
	v_cndmask_b32_e32 v0, v22, v0, vcc
	v_lshlrev_b32_e32 v20, 16, v26
	v_bfrev_b32_e32 v22, 60
	v_lshlrev_b32_e32 v0, 20, v0
	v_and_b32_e32 v20, 0x80000000, v20
	v_lshl_add_u32 v1, v1, 23, v22
	v_or3_b32 v1, v20, v1, v0
.LBB6_7913:                             ;   in Loop: Header=BB6_7203 Depth=3
	s_or_b64 exec, exec, s[34:35]
.LBB6_7914:                             ;   in Loop: Header=BB6_7203 Depth=3
	s_or_b64 exec, exec, s[30:31]
.LBB6_7915:                             ;   in Loop: Header=BB6_7203 Depth=3
	s_or_b64 exec, exec, s[28:29]
	v_mul_f32_e32 v0, v2, v1
	v_and_b32_e32 v20, 0x7f800000, v0
	v_cmp_ne_u64_e32 vcc, s[62:63], v[20:21]
                                        ; implicit-def: $vgpr32
	s_and_saveexec_b64 s[28:29], vcc
	s_xor_b64 s[30:31], exec, s[28:29]
	s_cbranch_execz .LBB6_7929
; %bb.7916:                             ;   in Loop: Header=BB6_7203 Depth=3
	v_and_b32_e32 v20, 0x7fffffff, v0
	v_cmp_gt_u64_e32 vcc, s[78:79], v[20:21]
	v_and_b32_sdwa v28, v0, s80 dst_sel:DWORD dst_unused:UNUSED_PAD src0_sel:BYTE_3 src1_sel:DWORD
                                        ; implicit-def: $vgpr32
	s_and_saveexec_b64 s[28:29], vcc
	s_xor_b64 s[34:35], exec, s[28:29]
	s_cbranch_execz .LBB6_7926
; %bb.7917:                             ;   in Loop: Header=BB6_7203 Depth=3
	v_mov_b32_e32 v32, 0
	v_cmp_ne_u32_e32 vcc, 0, v0
	s_and_saveexec_b64 s[36:37], vcc
	s_cbranch_execz .LBB6_7925
; %bb.7918:                             ;   in Loop: Header=BB6_7203 Depth=3
	v_bfe_u32 v29, v0, 23, 8
	v_and_b32_e32 v1, 0x7fffff, v0
	v_cmp_gt_u32_e64 s[28:29], s47, v29
	v_sub_u32_e32 v0, 0x79, v29
	v_cmp_eq_u32_e32 vcc, 0, v29
	v_cndmask_b32_e64 v0, 0, v0, s[28:29]
	v_mov_b32_e32 v20, 0x78
	v_cndmask_b32_e32 v30, v0, v20, vcc
	v_or_b32_e32 v2, 0x800000, v1
	v_add_u32_e32 v0, 20, v30
	v_cndmask_b32_e32 v20, v2, v1, vcc
	v_lshlrev_b64 v[0:1], v0, -1
	v_add_u32_e32 v2, 19, v30
	v_lshlrev_b64 v[32:33], v2, 1
	v_bfi_b32 v1, v1, 0, 0
	v_bfi_b32 v0, v0, 0, v20
	v_cmp_eq_u64_e64 s[28:29], v[0:1], v[32:33]
	v_lshrrev_b64 v[0:1], v30, v[20:21]
	v_mov_b32_e32 v2, v1
	v_mov_b32_e32 v1, v0
	s_and_saveexec_b64 s[38:39], s[28:29]
; %bb.7919:                             ;   in Loop: Header=BB6_7203 Depth=3
	v_bfe_u32 v1, v0, 20, 1
	v_add_co_u32_e64 v1, s[28:29], v0, v1
	v_add_co_u32_e64 v1, s[28:29], -1, v1
; %bb.7920:                             ;   in Loop: Header=BB6_7203 Depth=3
	s_or_b64 exec, exec, s[38:39]
	v_add_u32_e32 v2, 0xffffff81, v29
	v_mov_b32_e32 v20, 0xffffff82
	v_cndmask_b32_e32 v2, v2, v20, vcc
	v_lshrrev_b32_e32 v20, 23, v0
	v_add3_u32 v30, v30, v2, v20
	v_add_u32_e32 v29, 6, v30
	v_and_b32_e32 v1, 0xfffff, v1
	v_add_u32_e32 v20, v1, v0
	v_cmp_ne_u32_e32 vcc, 0, v29
                                        ; implicit-def: $vgpr0_vgpr1
                                        ; implicit-def: $vgpr2
	s_and_saveexec_b64 s[28:29], vcc
	s_xor_b64 s[28:29], exec, s[28:29]
; %bb.7921:                             ;   in Loop: Header=BB6_7203 Depth=3
	v_cmp_lt_u64_e32 vcc, s[88:89], v[20:21]
	v_add_u32_e32 v0, 7, v30
	v_cndmask_b32_e32 v2, v29, v0, vcc
	v_cndmask_b32_e64 v0, 0, 1, vcc
	v_lshrrev_b64 v[0:1], v0, v[20:21]
; %bb.7922:                             ;   in Loop: Header=BB6_7203 Depth=3
	s_andn2_saveexec_b64 s[28:29], s[28:29]
; %bb.7923:                             ;   in Loop: Header=BB6_7203 Depth=3
	v_mov_b32_e32 v0, v20
	v_bfe_u32 v2, v20, 23, 1
	v_mov_b32_e32 v1, v21
; %bb.7924:                             ;   in Loop: Header=BB6_7203 Depth=3
	s_or_b64 exec, exec, s[28:29]
	v_lshrrev_b64 v[0:1], 20, v[0:1]
	v_cmp_gt_i32_e32 vcc, 16, v2
	v_cndmask_b32_e32 v1, 0, v1, vcc
	v_cndmask_b32_e32 v0, 7, v0, vcc
	v_cmp_eq_u64_e64 s[28:29], 0, v[0:1]
	v_min_i32_e32 v1, 15, v2
	v_lshlrev_b32_e32 v1, 3, v1
	v_cmp_eq_u32_e32 vcc, 0, v2
	v_and_b32_e32 v1, 0xf8, v1
	v_and_or_b32 v0, v0, 7, v1
	s_and_b64 s[28:29], vcc, s[28:29]
	v_cndmask_b32_e64 v0, v0, 0, s[28:29]
	v_or_b32_e32 v32, v0, v28
.LBB6_7925:                             ;   in Loop: Header=BB6_7203 Depth=3
	s_or_b64 exec, exec, s[36:37]
                                        ; implicit-def: $vgpr28
.LBB6_7926:                             ;   in Loop: Header=BB6_7203 Depth=3
	s_andn2_saveexec_b64 s[28:29], s[34:35]
; %bb.7927:                             ;   in Loop: Header=BB6_7203 Depth=3
	v_or_b32_e32 v32, 0x7e, v28
; %bb.7928:                             ;   in Loop: Header=BB6_7203 Depth=3
	s_or_b64 exec, exec, s[28:29]
                                        ; implicit-def: $vgpr0
.LBB6_7929:                             ;   in Loop: Header=BB6_7203 Depth=3
	s_andn2_saveexec_b64 s[28:29], s[30:31]
; %bb.7930:                             ;   in Loop: Header=BB6_7203 Depth=3
	v_or_b32_sdwa v32, v0, s81 dst_sel:DWORD dst_unused:UNUSED_PAD src0_sel:BYTE_3 src1_sel:DWORD
; %bb.7931:                             ;   in Loop: Header=BB6_7203 Depth=3
	s_or_b64 exec, exec, s[28:29]
	v_lshrrev_b32_e32 v0, 16, v34
	v_cmp_ne_u16_sdwa vcc, v0, v21 src0_sel:BYTE_0 src1_sel:DWORD
	v_mov_b32_e32 v1, 0
	v_mov_b32_e32 v2, 0
	s_and_saveexec_b64 s[28:29], vcc
	s_cbranch_execz .LBB6_7937
; %bb.7932:                             ;   in Loop: Header=BB6_7203 Depth=3
	v_cmp_ne_u16_sdwa vcc, v0, s80 src0_sel:BYTE_0 src1_sel:DWORD
	v_bfrev_b32_e32 v2, 1
	s_and_saveexec_b64 s[30:31], vcc
	s_cbranch_execz .LBB6_7936
; %bb.7933:                             ;   in Loop: Header=BB6_7203 Depth=3
	v_bfe_u32 v20, v34, 16, 7
	v_cmp_ne_u32_e32 vcc, s81, v20
	v_mov_b32_e32 v2, 0x7f800001
	s_and_saveexec_b64 s[34:35], vcc
	s_cbranch_execz .LBB6_7935
; %bb.7934:                             ;   in Loop: Header=BB6_7203 Depth=3
	v_and_b32_e32 v2, 7, v0
	v_lshrrev_b32_e32 v22, 3, v20
	v_cmp_gt_u32_e32 vcc, 8, v20
	v_ffbh_u32_e32 v20, v2
	v_min_u32_e32 v20, 32, v20
	v_subrev_u32_e32 v23, 28, v20
	v_lshlrev_b64 v[28:29], v23, v[0:1]
	v_sub_u32_e32 v20, 29, v20
	v_and_b32_e32 v23, 7, v28
	v_cndmask_b32_e32 v20, v22, v20, vcc
	v_cndmask_b32_e32 v2, v2, v23, vcc
	v_lshlrev_b32_e32 v0, 24, v0
	v_bfrev_b32_e32 v22, 60
	v_lshlrev_b32_e32 v2, 20, v2
	v_and_b32_e32 v0, 0x80000000, v0
	v_lshl_add_u32 v20, v20, 23, v22
	v_or3_b32 v2, v0, v20, v2
.LBB6_7935:                             ;   in Loop: Header=BB6_7203 Depth=3
	s_or_b64 exec, exec, s[34:35]
.LBB6_7936:                             ;   in Loop: Header=BB6_7203 Depth=3
	s_or_b64 exec, exec, s[30:31]
.LBB6_7937:                             ;   in Loop: Header=BB6_7203 Depth=3
	s_or_b64 exec, exec, s[28:29]
	v_lshrrev_b32_e32 v0, 16, v26
	v_cmp_ne_u16_sdwa vcc, v0, v21 src0_sel:BYTE_0 src1_sel:DWORD
	s_and_saveexec_b64 s[28:29], vcc
	s_cbranch_execz .LBB6_7943
; %bb.7938:                             ;   in Loop: Header=BB6_7203 Depth=3
	v_cmp_ne_u16_sdwa vcc, v0, s80 src0_sel:BYTE_0 src1_sel:DWORD
	v_bfrev_b32_e32 v1, 1
	s_and_saveexec_b64 s[30:31], vcc
	s_cbranch_execz .LBB6_7942
; %bb.7939:                             ;   in Loop: Header=BB6_7203 Depth=3
	v_bfe_u32 v20, v26, 16, 7
	v_cmp_ne_u32_e32 vcc, s81, v20
	v_mov_b32_e32 v1, 0x7f800001
	s_and_saveexec_b64 s[34:35], vcc
	s_cbranch_execz .LBB6_7941
; %bb.7940:                             ;   in Loop: Header=BB6_7203 Depth=3
	v_and_b32_e32 v22, 7, v0
	v_ffbh_u32_e32 v1, v22
	v_lshrrev_b32_e32 v23, 3, v20
	v_cmp_gt_u32_e32 vcc, 8, v20
	v_min_u32_e32 v20, 32, v1
	v_subrev_u32_e32 v1, 28, v20
	v_lshlrev_b64 v[0:1], v1, v[0:1]
	v_sub_u32_e32 v1, 29, v20
	v_and_b32_e32 v0, 7, v0
	v_cndmask_b32_e32 v1, v23, v1, vcc
	v_cndmask_b32_e32 v0, v22, v0, vcc
	v_lshlrev_b32_e32 v20, 8, v26
	v_bfrev_b32_e32 v22, 60
	v_lshlrev_b32_e32 v0, 20, v0
	v_and_b32_e32 v20, 0x80000000, v20
	v_lshl_add_u32 v1, v1, 23, v22
	v_or3_b32 v1, v20, v1, v0
.LBB6_7941:                             ;   in Loop: Header=BB6_7203 Depth=3
	s_or_b64 exec, exec, s[34:35]
.LBB6_7942:                             ;   in Loop: Header=BB6_7203 Depth=3
	s_or_b64 exec, exec, s[30:31]
.LBB6_7943:                             ;   in Loop: Header=BB6_7203 Depth=3
	s_or_b64 exec, exec, s[28:29]
	v_mul_f32_e32 v0, v2, v1
	v_and_b32_e32 v20, 0x7f800000, v0
	v_cmp_ne_u64_e32 vcc, s[62:63], v[20:21]
                                        ; implicit-def: $vgpr33
	s_and_saveexec_b64 s[28:29], vcc
	s_xor_b64 s[30:31], exec, s[28:29]
	s_cbranch_execz .LBB6_7957
; %bb.7944:                             ;   in Loop: Header=BB6_7203 Depth=3
	v_and_b32_e32 v20, 0x7fffffff, v0
	v_cmp_gt_u64_e32 vcc, s[78:79], v[20:21]
	v_and_b32_sdwa v28, v0, s80 dst_sel:DWORD dst_unused:UNUSED_PAD src0_sel:BYTE_3 src1_sel:DWORD
                                        ; implicit-def: $vgpr33
	s_and_saveexec_b64 s[28:29], vcc
	s_xor_b64 s[34:35], exec, s[28:29]
	s_cbranch_execz .LBB6_7954
; %bb.7945:                             ;   in Loop: Header=BB6_7203 Depth=3
	v_mov_b32_e32 v33, 0
	v_cmp_ne_u32_e32 vcc, 0, v0
	s_and_saveexec_b64 s[36:37], vcc
	s_cbranch_execz .LBB6_7953
; %bb.7946:                             ;   in Loop: Header=BB6_7203 Depth=3
	v_bfe_u32 v29, v0, 23, 8
	v_and_b32_e32 v1, 0x7fffff, v0
	v_cmp_gt_u32_e64 s[28:29], s47, v29
	v_sub_u32_e32 v0, 0x79, v29
	v_cmp_eq_u32_e32 vcc, 0, v29
	v_cndmask_b32_e64 v0, 0, v0, s[28:29]
	v_mov_b32_e32 v20, 0x78
	v_cndmask_b32_e32 v30, v0, v20, vcc
	v_or_b32_e32 v2, 0x800000, v1
	v_add_u32_e32 v0, 20, v30
	v_cndmask_b32_e32 v20, v2, v1, vcc
	v_lshlrev_b64 v[0:1], v0, -1
	v_add_u32_e32 v2, 19, v30
	v_lshlrev_b64 v[36:37], v2, 1
	v_bfi_b32 v1, v1, 0, 0
	v_bfi_b32 v0, v0, 0, v20
	v_cmp_eq_u64_e64 s[28:29], v[0:1], v[36:37]
	v_lshrrev_b64 v[0:1], v30, v[20:21]
	v_mov_b32_e32 v2, v1
	v_mov_b32_e32 v1, v0
	s_and_saveexec_b64 s[38:39], s[28:29]
; %bb.7947:                             ;   in Loop: Header=BB6_7203 Depth=3
	v_bfe_u32 v1, v0, 20, 1
	v_add_co_u32_e64 v1, s[28:29], v0, v1
	v_add_co_u32_e64 v1, s[28:29], -1, v1
; %bb.7948:                             ;   in Loop: Header=BB6_7203 Depth=3
	s_or_b64 exec, exec, s[38:39]
	v_add_u32_e32 v2, 0xffffff81, v29
	v_mov_b32_e32 v20, 0xffffff82
	v_cndmask_b32_e32 v2, v2, v20, vcc
	v_lshrrev_b32_e32 v20, 23, v0
	v_add3_u32 v30, v30, v2, v20
	v_add_u32_e32 v29, 6, v30
	v_and_b32_e32 v1, 0xfffff, v1
	v_add_u32_e32 v20, v1, v0
	v_cmp_ne_u32_e32 vcc, 0, v29
                                        ; implicit-def: $vgpr0_vgpr1
                                        ; implicit-def: $vgpr2
	s_and_saveexec_b64 s[28:29], vcc
	s_xor_b64 s[28:29], exec, s[28:29]
; %bb.7949:                             ;   in Loop: Header=BB6_7203 Depth=3
	v_cmp_lt_u64_e32 vcc, s[88:89], v[20:21]
	v_add_u32_e32 v0, 7, v30
	v_cndmask_b32_e32 v2, v29, v0, vcc
	v_cndmask_b32_e64 v0, 0, 1, vcc
	v_lshrrev_b64 v[0:1], v0, v[20:21]
; %bb.7950:                             ;   in Loop: Header=BB6_7203 Depth=3
	s_andn2_saveexec_b64 s[28:29], s[28:29]
; %bb.7951:                             ;   in Loop: Header=BB6_7203 Depth=3
	v_mov_b32_e32 v0, v20
	v_bfe_u32 v2, v20, 23, 1
	v_mov_b32_e32 v1, v21
; %bb.7952:                             ;   in Loop: Header=BB6_7203 Depth=3
	s_or_b64 exec, exec, s[28:29]
	v_lshrrev_b64 v[0:1], 20, v[0:1]
	v_cmp_gt_i32_e32 vcc, 16, v2
	v_cndmask_b32_e32 v1, 0, v1, vcc
	v_cndmask_b32_e32 v0, 7, v0, vcc
	v_cmp_eq_u64_e64 s[28:29], 0, v[0:1]
	v_min_i32_e32 v1, 15, v2
	v_lshlrev_b32_e32 v1, 3, v1
	v_cmp_eq_u32_e32 vcc, 0, v2
	v_and_b32_e32 v1, 0xf8, v1
	v_and_or_b32 v0, v0, 7, v1
	s_and_b64 s[28:29], vcc, s[28:29]
	v_cndmask_b32_e64 v0, v0, 0, s[28:29]
	v_or_b32_e32 v33, v0, v28
.LBB6_7953:                             ;   in Loop: Header=BB6_7203 Depth=3
	s_or_b64 exec, exec, s[36:37]
                                        ; implicit-def: $vgpr28
.LBB6_7954:                             ;   in Loop: Header=BB6_7203 Depth=3
	s_andn2_saveexec_b64 s[28:29], s[34:35]
; %bb.7955:                             ;   in Loop: Header=BB6_7203 Depth=3
	v_or_b32_e32 v33, 0x7e, v28
; %bb.7956:                             ;   in Loop: Header=BB6_7203 Depth=3
	s_or_b64 exec, exec, s[28:29]
                                        ; implicit-def: $vgpr0
.LBB6_7957:                             ;   in Loop: Header=BB6_7203 Depth=3
	s_andn2_saveexec_b64 s[28:29], s[30:31]
; %bb.7958:                             ;   in Loop: Header=BB6_7203 Depth=3
	v_or_b32_sdwa v33, v0, s81 dst_sel:DWORD dst_unused:UNUSED_PAD src0_sel:BYTE_3 src1_sel:DWORD
; %bb.7959:                             ;   in Loop: Header=BB6_7203 Depth=3
	s_or_b64 exec, exec, s[28:29]
	v_cmp_lt_u32_e32 vcc, s57, v34
	v_mov_b32_e32 v1, 0
	v_mov_b32_e32 v2, 0
	s_and_saveexec_b64 s[28:29], vcc
	s_cbranch_execz .LBB6_7965
; %bb.7960:                             ;   in Loop: Header=BB6_7203 Depth=3
	v_lshrrev_b32_e32 v0, 24, v34
	v_cmp_ne_u32_e32 vcc, s80, v0
	v_bfrev_b32_e32 v2, 1
	s_and_saveexec_b64 s[30:31], vcc
	s_cbranch_execz .LBB6_7964
; %bb.7961:                             ;   in Loop: Header=BB6_7203 Depth=3
	v_bfe_u32 v20, v34, 24, 7
	v_cmp_ne_u32_e32 vcc, s81, v20
	v_mov_b32_e32 v2, 0x7f800001
	s_and_saveexec_b64 s[34:35], vcc
	s_cbranch_execz .LBB6_7963
; %bb.7962:                             ;   in Loop: Header=BB6_7203 Depth=3
	v_and_b32_e32 v2, 7, v0
	v_lshrrev_b32_e32 v22, 3, v20
	v_cmp_gt_u32_e32 vcc, 8, v20
	v_ffbh_u32_e32 v20, v2
	v_min_u32_e32 v20, 32, v20
	v_subrev_u32_e32 v23, 28, v20
	v_lshlrev_b64 v[28:29], v23, v[0:1]
	v_sub_u32_e32 v20, 29, v20
	v_and_b32_e32 v23, 7, v28
	v_cndmask_b32_e32 v20, v22, v20, vcc
	v_cndmask_b32_e32 v2, v2, v23, vcc
	v_lshlrev_b32_e32 v0, 24, v0
	v_bfrev_b32_e32 v22, 60
	v_lshlrev_b32_e32 v2, 20, v2
	v_and_b32_e32 v0, 0x80000000, v0
	v_lshl_add_u32 v20, v20, 23, v22
	v_or3_b32 v2, v0, v20, v2
.LBB6_7963:                             ;   in Loop: Header=BB6_7203 Depth=3
	s_or_b64 exec, exec, s[34:35]
.LBB6_7964:                             ;   in Loop: Header=BB6_7203 Depth=3
	s_or_b64 exec, exec, s[30:31]
.LBB6_7965:                             ;   in Loop: Header=BB6_7203 Depth=3
	s_or_b64 exec, exec, s[28:29]
	v_cmp_lt_u32_e32 vcc, s57, v26
	s_and_saveexec_b64 s[28:29], vcc
	s_cbranch_execz .LBB6_7971
; %bb.7966:                             ;   in Loop: Header=BB6_7203 Depth=3
	v_lshrrev_b32_e32 v0, 24, v26
	v_cmp_ne_u32_e32 vcc, s80, v0
	v_bfrev_b32_e32 v1, 1
	s_and_saveexec_b64 s[30:31], vcc
	s_cbranch_execz .LBB6_7970
; %bb.7967:                             ;   in Loop: Header=BB6_7203 Depth=3
	v_bfe_u32 v20, v26, 24, 7
	v_cmp_ne_u32_e32 vcc, s81, v20
	v_mov_b32_e32 v1, 0x7f800001
	s_and_saveexec_b64 s[34:35], vcc
	s_cbranch_execz .LBB6_7969
; %bb.7968:                             ;   in Loop: Header=BB6_7203 Depth=3
	v_and_b32_e32 v1, 7, v0
	v_lshrrev_b32_e32 v22, 3, v20
	v_cmp_gt_u32_e32 vcc, 8, v20
	v_ffbh_u32_e32 v20, v1
	v_min_u32_e32 v20, 32, v20
	v_subrev_u32_e32 v23, 28, v20
	v_lshlrev_b64 v[28:29], v23, v[0:1]
	v_sub_u32_e32 v20, 29, v20
	v_and_b32_e32 v23, 7, v28
	v_cndmask_b32_e32 v20, v22, v20, vcc
	v_cndmask_b32_e32 v1, v1, v23, vcc
	v_lshlrev_b32_e32 v0, 24, v0
	v_bfrev_b32_e32 v22, 60
	v_lshlrev_b32_e32 v1, 20, v1
	v_and_b32_e32 v0, 0x80000000, v0
	v_lshl_add_u32 v20, v20, 23, v22
	v_or3_b32 v1, v0, v20, v1
.LBB6_7969:                             ;   in Loop: Header=BB6_7203 Depth=3
	s_or_b64 exec, exec, s[34:35]
.LBB6_7970:                             ;   in Loop: Header=BB6_7203 Depth=3
	s_or_b64 exec, exec, s[30:31]
.LBB6_7971:                             ;   in Loop: Header=BB6_7203 Depth=3
	s_or_b64 exec, exec, s[28:29]
	v_mul_f32_e32 v0, v2, v1
	v_and_b32_e32 v20, 0x7f800000, v0
	v_cmp_ne_u64_e32 vcc, s[62:63], v[20:21]
                                        ; implicit-def: $vgpr29
	s_and_saveexec_b64 s[28:29], vcc
	s_xor_b64 s[30:31], exec, s[28:29]
	s_cbranch_execz .LBB6_7985
; %bb.7972:                             ;   in Loop: Header=BB6_7203 Depth=3
	v_and_b32_e32 v20, 0x7fffffff, v0
	v_cmp_gt_u64_e32 vcc, s[78:79], v[20:21]
	v_and_b32_sdwa v28, v0, s80 dst_sel:DWORD dst_unused:UNUSED_PAD src0_sel:BYTE_3 src1_sel:DWORD
                                        ; implicit-def: $vgpr29
	s_and_saveexec_b64 s[28:29], vcc
	s_xor_b64 s[34:35], exec, s[28:29]
	s_cbranch_execz .LBB6_7982
; %bb.7973:                             ;   in Loop: Header=BB6_7203 Depth=3
	v_mov_b32_e32 v29, 0
	v_cmp_ne_u32_e32 vcc, 0, v0
	s_and_saveexec_b64 s[36:37], vcc
	s_cbranch_execz .LBB6_7981
; %bb.7974:                             ;   in Loop: Header=BB6_7203 Depth=3
	v_bfe_u32 v29, v0, 23, 8
	v_and_b32_e32 v1, 0x7fffff, v0
	v_cmp_gt_u32_e64 s[28:29], s47, v29
	v_sub_u32_e32 v0, 0x79, v29
	v_cmp_eq_u32_e32 vcc, 0, v29
	v_cndmask_b32_e64 v0, 0, v0, s[28:29]
	v_mov_b32_e32 v20, 0x78
	v_cndmask_b32_e32 v30, v0, v20, vcc
	v_or_b32_e32 v2, 0x800000, v1
	v_add_u32_e32 v0, 20, v30
	v_cndmask_b32_e32 v20, v2, v1, vcc
	v_lshlrev_b64 v[0:1], v0, -1
	v_add_u32_e32 v2, 19, v30
	v_lshlrev_b64 v[36:37], v2, 1
	v_bfi_b32 v1, v1, 0, 0
	v_bfi_b32 v0, v0, 0, v20
	v_cmp_eq_u64_e64 s[28:29], v[0:1], v[36:37]
	v_lshrrev_b64 v[0:1], v30, v[20:21]
	v_mov_b32_e32 v2, v1
	v_mov_b32_e32 v1, v0
	s_and_saveexec_b64 s[38:39], s[28:29]
; %bb.7975:                             ;   in Loop: Header=BB6_7203 Depth=3
	v_bfe_u32 v1, v0, 20, 1
	v_add_co_u32_e64 v1, s[28:29], v0, v1
	v_add_co_u32_e64 v1, s[28:29], -1, v1
; %bb.7976:                             ;   in Loop: Header=BB6_7203 Depth=3
	s_or_b64 exec, exec, s[38:39]
	v_add_u32_e32 v2, 0xffffff81, v29
	v_mov_b32_e32 v20, 0xffffff82
	v_cndmask_b32_e32 v2, v2, v20, vcc
	v_lshrrev_b32_e32 v20, 23, v0
	v_add3_u32 v30, v30, v2, v20
	v_add_u32_e32 v29, 6, v30
	v_and_b32_e32 v1, 0xfffff, v1
	v_add_u32_e32 v20, v1, v0
	v_cmp_ne_u32_e32 vcc, 0, v29
                                        ; implicit-def: $vgpr0_vgpr1
                                        ; implicit-def: $vgpr2
	s_and_saveexec_b64 s[28:29], vcc
	s_xor_b64 s[28:29], exec, s[28:29]
; %bb.7977:                             ;   in Loop: Header=BB6_7203 Depth=3
	v_cmp_lt_u64_e32 vcc, s[88:89], v[20:21]
	v_add_u32_e32 v0, 7, v30
	v_cndmask_b32_e32 v2, v29, v0, vcc
	v_cndmask_b32_e64 v0, 0, 1, vcc
	v_lshrrev_b64 v[0:1], v0, v[20:21]
; %bb.7978:                             ;   in Loop: Header=BB6_7203 Depth=3
	s_andn2_saveexec_b64 s[28:29], s[28:29]
; %bb.7979:                             ;   in Loop: Header=BB6_7203 Depth=3
	v_mov_b32_e32 v0, v20
	v_bfe_u32 v2, v20, 23, 1
	v_mov_b32_e32 v1, v21
; %bb.7980:                             ;   in Loop: Header=BB6_7203 Depth=3
	s_or_b64 exec, exec, s[28:29]
	v_lshrrev_b64 v[0:1], 20, v[0:1]
	v_cmp_gt_i32_e32 vcc, 16, v2
	v_cndmask_b32_e32 v1, 0, v1, vcc
	v_cndmask_b32_e32 v0, 7, v0, vcc
	v_cmp_eq_u64_e64 s[28:29], 0, v[0:1]
	v_min_i32_e32 v1, 15, v2
	v_lshlrev_b32_e32 v1, 3, v1
	v_cmp_eq_u32_e32 vcc, 0, v2
	v_and_b32_e32 v1, 0xf8, v1
	v_and_or_b32 v0, v0, 7, v1
	s_and_b64 s[28:29], vcc, s[28:29]
	v_cndmask_b32_e64 v0, v0, 0, s[28:29]
	v_or_b32_e32 v29, v0, v28
.LBB6_7981:                             ;   in Loop: Header=BB6_7203 Depth=3
	s_or_b64 exec, exec, s[36:37]
                                        ; implicit-def: $vgpr28
.LBB6_7982:                             ;   in Loop: Header=BB6_7203 Depth=3
	s_andn2_saveexec_b64 s[28:29], s[34:35]
; %bb.7983:                             ;   in Loop: Header=BB6_7203 Depth=3
	v_or_b32_e32 v29, 0x7e, v28
; %bb.7984:                             ;   in Loop: Header=BB6_7203 Depth=3
	s_or_b64 exec, exec, s[28:29]
                                        ; implicit-def: $vgpr0
.LBB6_7985:                             ;   in Loop: Header=BB6_7203 Depth=3
	s_andn2_saveexec_b64 s[28:29], s[30:31]
; %bb.7986:                             ;   in Loop: Header=BB6_7203 Depth=3
	v_or_b32_sdwa v29, v0, s81 dst_sel:DWORD dst_unused:UNUSED_PAD src0_sel:BYTE_3 src1_sel:DWORD
; %bb.7987:                             ;   in Loop: Header=BB6_7203 Depth=3
	s_or_b64 exec, exec, s[28:29]
	v_mov_b32_e32 v20, v35
	v_cmp_ne_u16_sdwa vcc, v35, v21 src0_sel:BYTE_0 src1_sel:DWORD
	v_mov_b32_e32 v1, 0
	v_mov_b32_e32 v0, 0
	s_and_saveexec_b64 s[28:29], vcc
	s_cbranch_execz .LBB6_7993
; %bb.7988:                             ;   in Loop: Header=BB6_7203 Depth=3
	v_cmp_ne_u16_sdwa vcc, v35, s80 src0_sel:BYTE_0 src1_sel:DWORD
	v_bfrev_b32_e32 v0, 1
	s_and_saveexec_b64 s[30:31], vcc
	s_cbranch_execz .LBB6_7992
; %bb.7989:                             ;   in Loop: Header=BB6_7203 Depth=3
	v_and_b32_e32 v2, 0x7f, v35
	v_cmp_ne_u32_e32 vcc, s81, v2
	v_mov_b32_e32 v0, 0x7f800001
	s_and_saveexec_b64 s[34:35], vcc
	s_cbranch_execz .LBB6_7991
; %bb.7990:                             ;   in Loop: Header=BB6_7203 Depth=3
	v_and_b32_e32 v0, 7, v35
	v_ffbh_u32_e32 v0, v0
	v_min_u32_e32 v0, 32, v0
	v_lshrrev_b32_e32 v22, 3, v2
	v_cmp_gt_u32_e32 vcc, 8, v2
	v_subrev_u32_e32 v2, 28, v0
	v_cndmask_b32_e32 v2, 0, v2, vcc
	v_lshlrev_b64 v[36:37], v2, v[20:21]
	v_sub_u32_e32 v0, 29, v0
	v_cndmask_b32_e32 v0, v22, v0, vcc
	v_lshlrev_b32_e32 v2, 20, v36
	v_lshlrev_b32_e32 v22, 24, v20
	v_bfrev_b32_e32 v23, 60
	v_and_b32_e32 v2, 0x700000, v2
	v_and_b32_e32 v22, 0x80000000, v22
	v_lshl_add_u32 v0, v0, 23, v23
	v_or3_b32 v0, v22, v0, v2
.LBB6_7991:                             ;   in Loop: Header=BB6_7203 Depth=3
	s_or_b64 exec, exec, s[34:35]
.LBB6_7992:                             ;   in Loop: Header=BB6_7203 Depth=3
	s_or_b64 exec, exec, s[30:31]
.LBB6_7993:                             ;   in Loop: Header=BB6_7203 Depth=3
	s_or_b64 exec, exec, s[28:29]
	v_cmp_ne_u16_sdwa vcc, v27, v21 src0_sel:BYTE_0 src1_sel:DWORD
	s_and_saveexec_b64 s[28:29], vcc
	s_cbranch_execz .LBB6_7999
; %bb.7994:                             ;   in Loop: Header=BB6_7203 Depth=3
	v_cmp_ne_u16_sdwa vcc, v27, s80 src0_sel:BYTE_0 src1_sel:DWORD
	v_bfrev_b32_e32 v1, 1
	s_and_saveexec_b64 s[30:31], vcc
	s_cbranch_execz .LBB6_7998
; %bb.7995:                             ;   in Loop: Header=BB6_7203 Depth=3
	v_and_b32_e32 v2, 0x7f, v27
	v_cmp_ne_u32_e32 vcc, s81, v2
	v_mov_b32_e32 v1, 0x7f800001
	s_and_saveexec_b64 s[34:35], vcc
	s_cbranch_execz .LBB6_7997
; %bb.7996:                             ;   in Loop: Header=BB6_7203 Depth=3
	v_and_b32_e32 v1, 7, v27
	v_ffbh_u32_e32 v1, v1
	v_min_u32_e32 v1, 32, v1
	v_lshrrev_b32_e32 v22, 3, v2
	v_cmp_gt_u32_e32 vcc, 8, v2
	v_subrev_u32_e32 v2, 28, v1
	v_sub_u32_e32 v1, 29, v1
	v_mov_b32_e32 v36, v27
	v_mov_b32_e32 v37, v21
	v_cndmask_b32_e32 v22, v22, v1, vcc
	v_cndmask_b32_e32 v1, 0, v2, vcc
	v_lshlrev_b64 v[1:2], v1, v[36:37]
	v_lshlrev_b32_e32 v2, 24, v36
	v_lshlrev_b32_e32 v1, 20, v1
	v_bfrev_b32_e32 v23, 60
	v_and_b32_e32 v1, 0x700000, v1
	v_and_b32_e32 v2, 0x80000000, v2
	v_lshl_add_u32 v22, v22, 23, v23
	v_or3_b32 v1, v2, v22, v1
.LBB6_7997:                             ;   in Loop: Header=BB6_7203 Depth=3
	s_or_b64 exec, exec, s[34:35]
.LBB6_7998:                             ;   in Loop: Header=BB6_7203 Depth=3
	s_or_b64 exec, exec, s[30:31]
.LBB6_7999:                             ;   in Loop: Header=BB6_7203 Depth=3
	s_or_b64 exec, exec, s[28:29]
	v_mul_f32_e32 v0, v0, v1
	v_and_b32_e32 v1, 0x7f800000, v0
	v_mov_b32_e32 v2, v21
	v_cmp_ne_u64_e32 vcc, s[62:63], v[1:2]
                                        ; implicit-def: $vgpr43
	s_and_saveexec_b64 s[28:29], vcc
	s_xor_b64 s[30:31], exec, s[28:29]
	s_cbranch_execz .LBB6_8013
; %bb.8000:                             ;   in Loop: Header=BB6_7203 Depth=3
	v_and_b32_e32 v1, 0x7fffffff, v0
	v_mov_b32_e32 v2, v21
	v_cmp_gt_u64_e32 vcc, s[78:79], v[1:2]
	v_and_b32_sdwa v28, v0, s80 dst_sel:DWORD dst_unused:UNUSED_PAD src0_sel:BYTE_3 src1_sel:DWORD
                                        ; implicit-def: $vgpr43
	s_and_saveexec_b64 s[28:29], vcc
	s_xor_b64 s[34:35], exec, s[28:29]
	s_cbranch_execz .LBB6_8010
; %bb.8001:                             ;   in Loop: Header=BB6_7203 Depth=3
	v_mov_b32_e32 v43, 0
	v_cmp_ne_u32_e32 vcc, 0, v0
	s_and_saveexec_b64 s[36:37], vcc
	s_cbranch_execz .LBB6_8009
; %bb.8002:                             ;   in Loop: Header=BB6_7203 Depth=3
	v_bfe_u32 v30, v0, 23, 8
	v_and_b32_e32 v1, 0x7fffff, v0
	v_cmp_gt_u32_e64 s[28:29], s47, v30
	v_sub_u32_e32 v0, 0x79, v30
	v_cmp_eq_u32_e32 vcc, 0, v30
	v_cndmask_b32_e64 v0, 0, v0, s[28:29]
	v_mov_b32_e32 v22, 0x78
	v_or_b32_e32 v2, 0x800000, v1
	v_cndmask_b32_e32 v36, v0, v22, vcc
	v_cndmask_b32_e32 v0, v2, v1, vcc
	v_add_u32_e32 v2, 20, v36
	v_lshlrev_b64 v[37:38], v2, -1
	v_mov_b32_e32 v1, v21
	v_add_u32_e32 v2, 19, v36
	v_bfi_b32 v37, v37, 0, v0
	v_lshlrev_b64 v[48:49], v2, 1
	v_lshrrev_b64 v[0:1], v36, v[0:1]
	v_bfi_b32 v38, v38, 0, 0
	v_cmp_eq_u64_e64 s[28:29], v[37:38], v[48:49]
	v_mov_b32_e32 v2, v1
	v_mov_b32_e32 v1, v0
	s_and_saveexec_b64 s[38:39], s[28:29]
; %bb.8003:                             ;   in Loop: Header=BB6_7203 Depth=3
	v_bfe_u32 v1, v0, 20, 1
	v_add_co_u32_e64 v1, s[28:29], v0, v1
	v_add_co_u32_e64 v1, s[28:29], -1, v1
; %bb.8004:                             ;   in Loop: Header=BB6_7203 Depth=3
	s_or_b64 exec, exec, s[38:39]
	v_add_u32_e32 v2, 0xffffff81, v30
	v_mov_b32_e32 v22, 0xffffff82
	v_cndmask_b32_e32 v2, v2, v22, vcc
	v_lshrrev_b32_e32 v22, 23, v0
	v_add3_u32 v36, v36, v2, v22
	v_add_u32_e32 v30, 6, v36
	v_and_b32_e32 v1, 0xfffff, v1
	v_add_u32_e32 v0, v1, v0
	v_mov_b32_e32 v1, v21
	v_cmp_ne_u32_e32 vcc, 0, v30
                                        ; implicit-def: $vgpr2
	s_and_saveexec_b64 s[28:29], vcc
	s_xor_b64 s[28:29], exec, s[28:29]
; %bb.8005:                             ;   in Loop: Header=BB6_7203 Depth=3
	v_cmp_lt_u64_e32 vcc, s[88:89], v[0:1]
	v_add_u32_e32 v2, 7, v36
	v_cndmask_b32_e64 v22, 0, 1, vcc
	v_lshrrev_b64 v[0:1], v22, v[0:1]
	v_cndmask_b32_e32 v2, v30, v2, vcc
; %bb.8006:                             ;   in Loop: Header=BB6_7203 Depth=3
	s_andn2_saveexec_b64 s[28:29], s[28:29]
; %bb.8007:                             ;   in Loop: Header=BB6_7203 Depth=3
	v_bfe_u32 v2, v0, 23, 1
; %bb.8008:                             ;   in Loop: Header=BB6_7203 Depth=3
	s_or_b64 exec, exec, s[28:29]
	v_lshrrev_b64 v[0:1], 20, v[0:1]
	v_cmp_gt_i32_e32 vcc, 16, v2
	v_cndmask_b32_e32 v1, 0, v1, vcc
	v_cndmask_b32_e32 v0, 7, v0, vcc
	v_cmp_eq_u64_e64 s[28:29], 0, v[0:1]
	v_min_i32_e32 v1, 15, v2
	v_lshlrev_b32_e32 v1, 3, v1
	v_cmp_eq_u32_e32 vcc, 0, v2
	v_and_b32_e32 v1, 0xf8, v1
	v_and_or_b32 v0, v0, 7, v1
	s_and_b64 s[28:29], vcc, s[28:29]
	v_cndmask_b32_e64 v0, v0, 0, s[28:29]
	v_or_b32_e32 v43, v0, v28
.LBB6_8009:                             ;   in Loop: Header=BB6_7203 Depth=3
	s_or_b64 exec, exec, s[36:37]
                                        ; implicit-def: $vgpr28
.LBB6_8010:                             ;   in Loop: Header=BB6_7203 Depth=3
	s_andn2_saveexec_b64 s[28:29], s[34:35]
; %bb.8011:                             ;   in Loop: Header=BB6_7203 Depth=3
	v_or_b32_e32 v43, 0x7e, v28
; %bb.8012:                             ;   in Loop: Header=BB6_7203 Depth=3
	s_or_b64 exec, exec, s[28:29]
                                        ; implicit-def: $vgpr0
.LBB6_8013:                             ;   in Loop: Header=BB6_7203 Depth=3
	s_andn2_saveexec_b64 s[28:29], s[30:31]
; %bb.8014:                             ;   in Loop: Header=BB6_7203 Depth=3
	v_or_b32_sdwa v43, v0, s81 dst_sel:DWORD dst_unused:UNUSED_PAD src0_sel:BYTE_3 src1_sel:DWORD
; %bb.8015:                             ;   in Loop: Header=BB6_7203 Depth=3
	s_or_b64 exec, exec, s[28:29]
	v_lshrrev_b16_e32 v0, 8, v20
	v_cmp_ne_u16_e32 vcc, 0, v0
	v_mov_b32_e32 v1, 0
	v_mov_b32_e32 v2, 0
	s_and_saveexec_b64 s[28:29], vcc
	s_cbranch_execz .LBB6_8021
; %bb.8016:                             ;   in Loop: Header=BB6_7203 Depth=3
	v_cmp_ne_u16_e32 vcc, s80, v0
	v_bfrev_b32_e32 v2, 1
	s_and_saveexec_b64 s[30:31], vcc
	s_cbranch_execz .LBB6_8020
; %bb.8017:                             ;   in Loop: Header=BB6_7203 Depth=3
	v_and_b32_e32 v28, 0x7f, v0
	v_cmp_ne_u32_e32 vcc, s81, v28
	v_mov_b32_e32 v2, 0x7f800001
	s_and_saveexec_b64 s[34:35], vcc
	s_cbranch_execz .LBB6_8019
; %bb.8018:                             ;   in Loop: Header=BB6_7203 Depth=3
	v_and_b32_e32 v2, 7, v0
	v_ffbh_u32_e32 v23, v2
	v_min_u32_e32 v23, 32, v23
	v_lshrrev_b32_e32 v22, 3, v28
	v_cmp_gt_u32_e32 vcc, 8, v28
	v_subrev_u32_e32 v28, 28, v23
	v_lshlrev_b64 v[36:37], v28, v[0:1]
	v_sub_u32_e32 v0, 29, v23
	v_and_b32_e32 v23, 7, v36
	v_cndmask_b32_e32 v0, v22, v0, vcc
	v_cndmask_b32_e32 v2, v2, v23, vcc
	v_lshlrev_b32_e32 v20, 16, v20
	v_bfrev_b32_e32 v22, 60
	v_lshlrev_b32_e32 v2, 20, v2
	v_and_b32_e32 v20, 0x80000000, v20
	v_lshl_add_u32 v0, v0, 23, v22
	v_or3_b32 v2, v20, v0, v2
.LBB6_8019:                             ;   in Loop: Header=BB6_7203 Depth=3
	s_or_b64 exec, exec, s[34:35]
.LBB6_8020:                             ;   in Loop: Header=BB6_7203 Depth=3
	s_or_b64 exec, exec, s[30:31]
.LBB6_8021:                             ;   in Loop: Header=BB6_7203 Depth=3
	s_or_b64 exec, exec, s[28:29]
	v_lshrrev_b16_e32 v0, 8, v27
	v_cmp_ne_u16_e32 vcc, 0, v0
	s_and_saveexec_b64 s[28:29], vcc
	s_cbranch_execz .LBB6_8027
; %bb.8022:                             ;   in Loop: Header=BB6_7203 Depth=3
	v_cmp_ne_u16_e32 vcc, s80, v0
	v_bfrev_b32_e32 v1, 1
	s_and_saveexec_b64 s[30:31], vcc
	s_cbranch_execz .LBB6_8026
; %bb.8023:                             ;   in Loop: Header=BB6_7203 Depth=3
	v_and_b32_e32 v20, 0x7f, v0
	v_cmp_ne_u32_e32 vcc, s81, v20
	v_mov_b32_e32 v1, 0x7f800001
	s_and_saveexec_b64 s[34:35], vcc
	s_cbranch_execz .LBB6_8025
; %bb.8024:                             ;   in Loop: Header=BB6_7203 Depth=3
	v_and_b32_e32 v22, 7, v0
	v_ffbh_u32_e32 v1, v22
	v_lshrrev_b32_e32 v23, 3, v20
	v_cmp_gt_u32_e32 vcc, 8, v20
	v_min_u32_e32 v20, 32, v1
	v_subrev_u32_e32 v1, 28, v20
	v_lshlrev_b64 v[0:1], v1, v[0:1]
	v_sub_u32_e32 v1, 29, v20
	v_and_b32_e32 v0, 7, v0
	v_cndmask_b32_e32 v1, v23, v1, vcc
	v_cndmask_b32_e32 v0, v22, v0, vcc
	v_lshlrev_b32_e32 v20, 16, v27
	v_bfrev_b32_e32 v22, 60
	v_lshlrev_b32_e32 v0, 20, v0
	v_and_b32_e32 v20, 0x80000000, v20
	v_lshl_add_u32 v1, v1, 23, v22
	v_or3_b32 v1, v20, v1, v0
.LBB6_8025:                             ;   in Loop: Header=BB6_7203 Depth=3
	s_or_b64 exec, exec, s[34:35]
.LBB6_8026:                             ;   in Loop: Header=BB6_7203 Depth=3
	s_or_b64 exec, exec, s[30:31]
.LBB6_8027:                             ;   in Loop: Header=BB6_7203 Depth=3
	s_or_b64 exec, exec, s[28:29]
	v_mul_f32_e32 v0, v2, v1
	v_and_b32_e32 v20, 0x7f800000, v0
	v_cmp_ne_u64_e32 vcc, s[62:63], v[20:21]
                                        ; implicit-def: $vgpr54
	s_and_saveexec_b64 s[28:29], vcc
	s_xor_b64 s[30:31], exec, s[28:29]
	s_cbranch_execz .LBB6_8041
; %bb.8028:                             ;   in Loop: Header=BB6_7203 Depth=3
	v_and_b32_e32 v20, 0x7fffffff, v0
	v_cmp_gt_u64_e32 vcc, s[78:79], v[20:21]
	v_and_b32_sdwa v28, v0, s80 dst_sel:DWORD dst_unused:UNUSED_PAD src0_sel:BYTE_3 src1_sel:DWORD
                                        ; implicit-def: $vgpr54
	s_and_saveexec_b64 s[28:29], vcc
	s_xor_b64 s[34:35], exec, s[28:29]
	s_cbranch_execz .LBB6_8038
; %bb.8029:                             ;   in Loop: Header=BB6_7203 Depth=3
	v_mov_b32_e32 v54, 0
	v_cmp_ne_u32_e32 vcc, 0, v0
	s_and_saveexec_b64 s[36:37], vcc
	s_cbranch_execz .LBB6_8037
; %bb.8030:                             ;   in Loop: Header=BB6_7203 Depth=3
	v_bfe_u32 v30, v0, 23, 8
	v_and_b32_e32 v1, 0x7fffff, v0
	v_cmp_gt_u32_e64 s[28:29], s47, v30
	v_sub_u32_e32 v0, 0x79, v30
	v_cmp_eq_u32_e32 vcc, 0, v30
	v_cndmask_b32_e64 v0, 0, v0, s[28:29]
	v_mov_b32_e32 v20, 0x78
	v_cndmask_b32_e32 v36, v0, v20, vcc
	v_or_b32_e32 v2, 0x800000, v1
	v_add_u32_e32 v0, 20, v36
	v_cndmask_b32_e32 v20, v2, v1, vcc
	v_lshlrev_b64 v[0:1], v0, -1
	v_add_u32_e32 v2, 19, v36
	v_lshlrev_b64 v[37:38], v2, 1
	v_bfi_b32 v1, v1, 0, 0
	v_bfi_b32 v0, v0, 0, v20
	v_cmp_eq_u64_e64 s[28:29], v[0:1], v[37:38]
	v_lshrrev_b64 v[0:1], v36, v[20:21]
	v_mov_b32_e32 v2, v1
	v_mov_b32_e32 v1, v0
	s_and_saveexec_b64 s[38:39], s[28:29]
; %bb.8031:                             ;   in Loop: Header=BB6_7203 Depth=3
	v_bfe_u32 v1, v0, 20, 1
	v_add_co_u32_e64 v1, s[28:29], v0, v1
	v_add_co_u32_e64 v1, s[28:29], -1, v1
; %bb.8032:                             ;   in Loop: Header=BB6_7203 Depth=3
	s_or_b64 exec, exec, s[38:39]
	v_add_u32_e32 v2, 0xffffff81, v30
	v_mov_b32_e32 v20, 0xffffff82
	v_cndmask_b32_e32 v2, v2, v20, vcc
	v_lshrrev_b32_e32 v20, 23, v0
	v_add3_u32 v36, v36, v2, v20
	v_add_u32_e32 v30, 6, v36
	v_and_b32_e32 v1, 0xfffff, v1
	v_add_u32_e32 v20, v1, v0
	v_cmp_ne_u32_e32 vcc, 0, v30
                                        ; implicit-def: $vgpr0_vgpr1
                                        ; implicit-def: $vgpr2
	s_and_saveexec_b64 s[28:29], vcc
	s_xor_b64 s[28:29], exec, s[28:29]
; %bb.8033:                             ;   in Loop: Header=BB6_7203 Depth=3
	v_cmp_lt_u64_e32 vcc, s[88:89], v[20:21]
	v_add_u32_e32 v0, 7, v36
	v_cndmask_b32_e32 v2, v30, v0, vcc
	v_cndmask_b32_e64 v0, 0, 1, vcc
	v_lshrrev_b64 v[0:1], v0, v[20:21]
; %bb.8034:                             ;   in Loop: Header=BB6_7203 Depth=3
	s_andn2_saveexec_b64 s[28:29], s[28:29]
; %bb.8035:                             ;   in Loop: Header=BB6_7203 Depth=3
	v_mov_b32_e32 v0, v20
	v_bfe_u32 v2, v20, 23, 1
	v_mov_b32_e32 v1, v21
; %bb.8036:                             ;   in Loop: Header=BB6_7203 Depth=3
	s_or_b64 exec, exec, s[28:29]
	v_lshrrev_b64 v[0:1], 20, v[0:1]
	v_cmp_gt_i32_e32 vcc, 16, v2
	v_cndmask_b32_e32 v1, 0, v1, vcc
	v_cndmask_b32_e32 v0, 7, v0, vcc
	v_cmp_eq_u64_e64 s[28:29], 0, v[0:1]
	v_min_i32_e32 v1, 15, v2
	v_lshlrev_b32_e32 v1, 3, v1
	v_cmp_eq_u32_e32 vcc, 0, v2
	v_and_b32_e32 v1, 0xf8, v1
	v_and_or_b32 v0, v0, 7, v1
	s_and_b64 s[28:29], vcc, s[28:29]
	v_cndmask_b32_e64 v0, v0, 0, s[28:29]
	v_or_b32_e32 v54, v0, v28
.LBB6_8037:                             ;   in Loop: Header=BB6_7203 Depth=3
	s_or_b64 exec, exec, s[36:37]
                                        ; implicit-def: $vgpr28
.LBB6_8038:                             ;   in Loop: Header=BB6_7203 Depth=3
	s_andn2_saveexec_b64 s[28:29], s[34:35]
; %bb.8039:                             ;   in Loop: Header=BB6_7203 Depth=3
	v_or_b32_e32 v54, 0x7e, v28
; %bb.8040:                             ;   in Loop: Header=BB6_7203 Depth=3
	s_or_b64 exec, exec, s[28:29]
                                        ; implicit-def: $vgpr0
.LBB6_8041:                             ;   in Loop: Header=BB6_7203 Depth=3
	s_andn2_saveexec_b64 s[28:29], s[30:31]
; %bb.8042:                             ;   in Loop: Header=BB6_7203 Depth=3
	v_or_b32_sdwa v54, v0, s81 dst_sel:DWORD dst_unused:UNUSED_PAD src0_sel:BYTE_3 src1_sel:DWORD
; %bb.8043:                             ;   in Loop: Header=BB6_7203 Depth=3
	s_or_b64 exec, exec, s[28:29]
	v_lshrrev_b32_e32 v0, 16, v35
	v_cmp_ne_u16_sdwa vcc, v0, v21 src0_sel:BYTE_0 src1_sel:DWORD
	v_mov_b32_e32 v1, 0
	v_mov_b32_e32 v2, 0
	s_and_saveexec_b64 s[28:29], vcc
	s_cbranch_execz .LBB6_8049
; %bb.8044:                             ;   in Loop: Header=BB6_7203 Depth=3
	v_cmp_ne_u16_sdwa vcc, v0, s80 src0_sel:BYTE_0 src1_sel:DWORD
	v_bfrev_b32_e32 v2, 1
	s_and_saveexec_b64 s[30:31], vcc
	s_cbranch_execz .LBB6_8048
; %bb.8045:                             ;   in Loop: Header=BB6_7203 Depth=3
	v_bfe_u32 v20, v35, 16, 7
	v_cmp_ne_u32_e32 vcc, s81, v20
	v_mov_b32_e32 v2, 0x7f800001
	s_and_saveexec_b64 s[34:35], vcc
	s_cbranch_execz .LBB6_8047
; %bb.8046:                             ;   in Loop: Header=BB6_7203 Depth=3
	v_and_b32_e32 v2, 7, v0
	v_lshrrev_b32_e32 v22, 3, v20
	v_cmp_gt_u32_e32 vcc, 8, v20
	v_ffbh_u32_e32 v20, v2
	v_min_u32_e32 v20, 32, v20
	v_subrev_u32_e32 v23, 28, v20
	v_lshlrev_b64 v[36:37], v23, v[0:1]
	v_sub_u32_e32 v20, 29, v20
	v_and_b32_e32 v23, 7, v36
	v_cndmask_b32_e32 v20, v22, v20, vcc
	v_cndmask_b32_e32 v2, v2, v23, vcc
	v_lshlrev_b32_e32 v0, 24, v0
	v_bfrev_b32_e32 v22, 60
	v_lshlrev_b32_e32 v2, 20, v2
	v_and_b32_e32 v0, 0x80000000, v0
	v_lshl_add_u32 v20, v20, 23, v22
	v_or3_b32 v2, v0, v20, v2
.LBB6_8047:                             ;   in Loop: Header=BB6_7203 Depth=3
	s_or_b64 exec, exec, s[34:35]
.LBB6_8048:                             ;   in Loop: Header=BB6_7203 Depth=3
	s_or_b64 exec, exec, s[30:31]
.LBB6_8049:                             ;   in Loop: Header=BB6_7203 Depth=3
	s_or_b64 exec, exec, s[28:29]
	v_lshrrev_b32_e32 v0, 16, v27
	v_cmp_ne_u16_sdwa vcc, v0, v21 src0_sel:BYTE_0 src1_sel:DWORD
	s_and_saveexec_b64 s[28:29], vcc
	s_cbranch_execz .LBB6_8055
; %bb.8050:                             ;   in Loop: Header=BB6_7203 Depth=3
	v_cmp_ne_u16_sdwa vcc, v0, s80 src0_sel:BYTE_0 src1_sel:DWORD
	v_bfrev_b32_e32 v1, 1
	s_and_saveexec_b64 s[30:31], vcc
	s_cbranch_execz .LBB6_8054
; %bb.8051:                             ;   in Loop: Header=BB6_7203 Depth=3
	v_bfe_u32 v20, v27, 16, 7
	v_cmp_ne_u32_e32 vcc, s81, v20
	v_mov_b32_e32 v1, 0x7f800001
	s_and_saveexec_b64 s[34:35], vcc
	s_cbranch_execz .LBB6_8053
; %bb.8052:                             ;   in Loop: Header=BB6_7203 Depth=3
	v_and_b32_e32 v22, 7, v0
	v_ffbh_u32_e32 v1, v22
	v_lshrrev_b32_e32 v23, 3, v20
	v_cmp_gt_u32_e32 vcc, 8, v20
	v_min_u32_e32 v20, 32, v1
	v_subrev_u32_e32 v1, 28, v20
	v_lshlrev_b64 v[0:1], v1, v[0:1]
	v_sub_u32_e32 v1, 29, v20
	v_and_b32_e32 v0, 7, v0
	v_cndmask_b32_e32 v1, v23, v1, vcc
	v_cndmask_b32_e32 v0, v22, v0, vcc
	v_lshlrev_b32_e32 v20, 8, v27
	v_bfrev_b32_e32 v22, 60
	v_lshlrev_b32_e32 v0, 20, v0
	v_and_b32_e32 v20, 0x80000000, v20
	v_lshl_add_u32 v1, v1, 23, v22
	v_or3_b32 v1, v20, v1, v0
.LBB6_8053:                             ;   in Loop: Header=BB6_7203 Depth=3
	s_or_b64 exec, exec, s[34:35]
.LBB6_8054:                             ;   in Loop: Header=BB6_7203 Depth=3
	s_or_b64 exec, exec, s[30:31]
.LBB6_8055:                             ;   in Loop: Header=BB6_7203 Depth=3
	s_or_b64 exec, exec, s[28:29]
	v_mul_f32_e32 v0, v2, v1
	v_and_b32_e32 v20, 0x7f800000, v0
	v_cmp_ne_u64_e32 vcc, s[62:63], v[20:21]
                                        ; implicit-def: $vgpr55
	s_and_saveexec_b64 s[28:29], vcc
	s_xor_b64 s[30:31], exec, s[28:29]
	s_cbranch_execz .LBB6_8069
; %bb.8056:                             ;   in Loop: Header=BB6_7203 Depth=3
	v_and_b32_e32 v20, 0x7fffffff, v0
	v_cmp_gt_u64_e32 vcc, s[78:79], v[20:21]
	v_and_b32_sdwa v28, v0, s80 dst_sel:DWORD dst_unused:UNUSED_PAD src0_sel:BYTE_3 src1_sel:DWORD
                                        ; implicit-def: $vgpr55
	s_and_saveexec_b64 s[28:29], vcc
	s_xor_b64 s[34:35], exec, s[28:29]
	s_cbranch_execz .LBB6_8066
; %bb.8057:                             ;   in Loop: Header=BB6_7203 Depth=3
	v_mov_b32_e32 v55, 0
	v_cmp_ne_u32_e32 vcc, 0, v0
	s_and_saveexec_b64 s[36:37], vcc
	s_cbranch_execz .LBB6_8065
; %bb.8058:                             ;   in Loop: Header=BB6_7203 Depth=3
	v_bfe_u32 v30, v0, 23, 8
	v_and_b32_e32 v1, 0x7fffff, v0
	v_cmp_gt_u32_e64 s[28:29], s47, v30
	v_sub_u32_e32 v0, 0x79, v30
	v_cmp_eq_u32_e32 vcc, 0, v30
	v_cndmask_b32_e64 v0, 0, v0, s[28:29]
	v_mov_b32_e32 v20, 0x78
	v_cndmask_b32_e32 v36, v0, v20, vcc
	v_or_b32_e32 v2, 0x800000, v1
	v_add_u32_e32 v0, 20, v36
	v_cndmask_b32_e32 v20, v2, v1, vcc
	v_lshlrev_b64 v[0:1], v0, -1
	v_add_u32_e32 v2, 19, v36
	v_lshlrev_b64 v[37:38], v2, 1
	v_bfi_b32 v1, v1, 0, 0
	v_bfi_b32 v0, v0, 0, v20
	v_cmp_eq_u64_e64 s[28:29], v[0:1], v[37:38]
	v_lshrrev_b64 v[0:1], v36, v[20:21]
	v_mov_b32_e32 v2, v1
	v_mov_b32_e32 v1, v0
	s_and_saveexec_b64 s[38:39], s[28:29]
; %bb.8059:                             ;   in Loop: Header=BB6_7203 Depth=3
	v_bfe_u32 v1, v0, 20, 1
	v_add_co_u32_e64 v1, s[28:29], v0, v1
	v_add_co_u32_e64 v1, s[28:29], -1, v1
; %bb.8060:                             ;   in Loop: Header=BB6_7203 Depth=3
	s_or_b64 exec, exec, s[38:39]
	v_add_u32_e32 v2, 0xffffff81, v30
	v_mov_b32_e32 v20, 0xffffff82
	v_cndmask_b32_e32 v2, v2, v20, vcc
	v_lshrrev_b32_e32 v20, 23, v0
	v_add3_u32 v36, v36, v2, v20
	v_add_u32_e32 v30, 6, v36
	v_and_b32_e32 v1, 0xfffff, v1
	v_add_u32_e32 v20, v1, v0
	v_cmp_ne_u32_e32 vcc, 0, v30
                                        ; implicit-def: $vgpr0_vgpr1
                                        ; implicit-def: $vgpr2
	s_and_saveexec_b64 s[28:29], vcc
	s_xor_b64 s[28:29], exec, s[28:29]
; %bb.8061:                             ;   in Loop: Header=BB6_7203 Depth=3
	v_cmp_lt_u64_e32 vcc, s[88:89], v[20:21]
	v_add_u32_e32 v0, 7, v36
	v_cndmask_b32_e32 v2, v30, v0, vcc
	v_cndmask_b32_e64 v0, 0, 1, vcc
	v_lshrrev_b64 v[0:1], v0, v[20:21]
; %bb.8062:                             ;   in Loop: Header=BB6_7203 Depth=3
	s_andn2_saveexec_b64 s[28:29], s[28:29]
; %bb.8063:                             ;   in Loop: Header=BB6_7203 Depth=3
	v_mov_b32_e32 v0, v20
	v_bfe_u32 v2, v20, 23, 1
	v_mov_b32_e32 v1, v21
; %bb.8064:                             ;   in Loop: Header=BB6_7203 Depth=3
	s_or_b64 exec, exec, s[28:29]
	v_lshrrev_b64 v[0:1], 20, v[0:1]
	v_cmp_gt_i32_e32 vcc, 16, v2
	v_cndmask_b32_e32 v1, 0, v1, vcc
	v_cndmask_b32_e32 v0, 7, v0, vcc
	v_cmp_eq_u64_e64 s[28:29], 0, v[0:1]
	v_min_i32_e32 v1, 15, v2
	v_lshlrev_b32_e32 v1, 3, v1
	v_cmp_eq_u32_e32 vcc, 0, v2
	v_and_b32_e32 v1, 0xf8, v1
	v_and_or_b32 v0, v0, 7, v1
	s_and_b64 s[28:29], vcc, s[28:29]
	v_cndmask_b32_e64 v0, v0, 0, s[28:29]
	v_or_b32_e32 v55, v0, v28
.LBB6_8065:                             ;   in Loop: Header=BB6_7203 Depth=3
	s_or_b64 exec, exec, s[36:37]
                                        ; implicit-def: $vgpr28
.LBB6_8066:                             ;   in Loop: Header=BB6_7203 Depth=3
	s_andn2_saveexec_b64 s[28:29], s[34:35]
; %bb.8067:                             ;   in Loop: Header=BB6_7203 Depth=3
	v_or_b32_e32 v55, 0x7e, v28
; %bb.8068:                             ;   in Loop: Header=BB6_7203 Depth=3
	s_or_b64 exec, exec, s[28:29]
                                        ; implicit-def: $vgpr0
.LBB6_8069:                             ;   in Loop: Header=BB6_7203 Depth=3
	s_andn2_saveexec_b64 s[28:29], s[30:31]
; %bb.8070:                             ;   in Loop: Header=BB6_7203 Depth=3
	v_or_b32_sdwa v55, v0, s81 dst_sel:DWORD dst_unused:UNUSED_PAD src0_sel:BYTE_3 src1_sel:DWORD
; %bb.8071:                             ;   in Loop: Header=BB6_7203 Depth=3
	s_or_b64 exec, exec, s[28:29]
	v_cmp_lt_u64_e32 vcc, s[56:57], v[34:35]
	v_mov_b32_e32 v1, 0
	v_mov_b32_e32 v2, 0
	s_and_saveexec_b64 s[28:29], vcc
	s_cbranch_execz .LBB6_8077
; %bb.8072:                             ;   in Loop: Header=BB6_7203 Depth=3
	v_lshrrev_b32_e32 v0, 24, v35
	v_cmp_ne_u32_e32 vcc, s80, v0
	v_bfrev_b32_e32 v2, 1
	s_and_saveexec_b64 s[30:31], vcc
	s_cbranch_execz .LBB6_8076
; %bb.8073:                             ;   in Loop: Header=BB6_7203 Depth=3
	v_bfe_u32 v20, v35, 24, 7
	v_cmp_ne_u32_e32 vcc, s81, v20
	v_mov_b32_e32 v2, 0x7f800001
	s_and_saveexec_b64 s[34:35], vcc
	s_cbranch_execz .LBB6_8075
; %bb.8074:                             ;   in Loop: Header=BB6_7203 Depth=3
	v_and_b32_e32 v2, 7, v0
	v_lshrrev_b32_e32 v22, 3, v20
	v_cmp_gt_u32_e32 vcc, 8, v20
	v_ffbh_u32_e32 v20, v2
	v_min_u32_e32 v20, 32, v20
	v_subrev_u32_e32 v23, 28, v20
	v_lshlrev_b64 v[34:35], v23, v[0:1]
	v_sub_u32_e32 v20, 29, v20
	v_and_b32_e32 v23, 7, v34
	v_cndmask_b32_e32 v20, v22, v20, vcc
	v_cndmask_b32_e32 v2, v2, v23, vcc
	v_lshlrev_b32_e32 v0, 24, v0
	v_bfrev_b32_e32 v22, 60
	v_lshlrev_b32_e32 v2, 20, v2
	v_and_b32_e32 v0, 0x80000000, v0
	v_lshl_add_u32 v20, v20, 23, v22
	v_or3_b32 v2, v0, v20, v2
.LBB6_8075:                             ;   in Loop: Header=BB6_7203 Depth=3
	s_or_b64 exec, exec, s[34:35]
.LBB6_8076:                             ;   in Loop: Header=BB6_7203 Depth=3
	s_or_b64 exec, exec, s[30:31]
.LBB6_8077:                             ;   in Loop: Header=BB6_7203 Depth=3
	s_or_b64 exec, exec, s[28:29]
	v_cmp_lt_u64_e32 vcc, s[56:57], v[26:27]
	s_and_saveexec_b64 s[28:29], vcc
	s_cbranch_execz .LBB6_8083
; %bb.8078:                             ;   in Loop: Header=BB6_7203 Depth=3
	v_lshrrev_b32_e32 v0, 24, v27
	v_cmp_ne_u32_e32 vcc, s80, v0
	v_bfrev_b32_e32 v1, 1
	s_and_saveexec_b64 s[30:31], vcc
	s_cbranch_execz .LBB6_8082
; %bb.8079:                             ;   in Loop: Header=BB6_7203 Depth=3
	v_bfe_u32 v20, v27, 24, 7
	v_cmp_ne_u32_e32 vcc, s81, v20
	v_mov_b32_e32 v1, 0x7f800001
	s_and_saveexec_b64 s[34:35], vcc
	s_cbranch_execz .LBB6_8081
; %bb.8080:                             ;   in Loop: Header=BB6_7203 Depth=3
	v_and_b32_e32 v1, 7, v0
	v_lshrrev_b32_e32 v22, 3, v20
	v_cmp_gt_u32_e32 vcc, 8, v20
	v_ffbh_u32_e32 v20, v1
	v_min_u32_e32 v20, 32, v20
	v_subrev_u32_e32 v23, 28, v20
	v_lshlrev_b64 v[26:27], v23, v[0:1]
	v_sub_u32_e32 v20, 29, v20
	v_and_b32_e32 v23, 7, v26
	v_cndmask_b32_e32 v20, v22, v20, vcc
	v_cndmask_b32_e32 v1, v1, v23, vcc
	v_lshlrev_b32_e32 v0, 24, v0
	v_bfrev_b32_e32 v22, 60
	v_lshlrev_b32_e32 v1, 20, v1
	v_and_b32_e32 v0, 0x80000000, v0
	v_lshl_add_u32 v20, v20, 23, v22
	v_or3_b32 v1, v0, v20, v1
.LBB6_8081:                             ;   in Loop: Header=BB6_7203 Depth=3
	s_or_b64 exec, exec, s[34:35]
.LBB6_8082:                             ;   in Loop: Header=BB6_7203 Depth=3
	s_or_b64 exec, exec, s[30:31]
.LBB6_8083:                             ;   in Loop: Header=BB6_7203 Depth=3
	s_or_b64 exec, exec, s[28:29]
	v_mul_f32_e32 v0, v2, v1
	v_and_b32_e32 v20, 0x7f800000, v0
	v_cmp_ne_u64_e32 vcc, s[62:63], v[20:21]
                                        ; implicit-def: $vgpr26
	s_and_saveexec_b64 s[28:29], vcc
	s_xor_b64 s[30:31], exec, s[28:29]
	s_cbranch_execz .LBB6_8097
; %bb.8084:                             ;   in Loop: Header=BB6_7203 Depth=3
	v_and_b32_e32 v20, 0x7fffffff, v0
	v_cmp_gt_u64_e32 vcc, s[78:79], v[20:21]
	v_and_b32_sdwa v27, v0, s80 dst_sel:DWORD dst_unused:UNUSED_PAD src0_sel:BYTE_3 src1_sel:DWORD
                                        ; implicit-def: $vgpr26
	s_and_saveexec_b64 s[28:29], vcc
	s_xor_b64 s[34:35], exec, s[28:29]
	s_cbranch_execz .LBB6_8094
; %bb.8085:                             ;   in Loop: Header=BB6_7203 Depth=3
	v_mov_b32_e32 v26, 0
	v_cmp_ne_u32_e32 vcc, 0, v0
	s_and_saveexec_b64 s[36:37], vcc
	s_cbranch_execz .LBB6_8093
; %bb.8086:                             ;   in Loop: Header=BB6_7203 Depth=3
	v_bfe_u32 v26, v0, 23, 8
	v_and_b32_e32 v1, 0x7fffff, v0
	v_cmp_gt_u32_e64 s[28:29], s47, v26
	v_sub_u32_e32 v0, 0x79, v26
	v_cmp_eq_u32_e32 vcc, 0, v26
	v_cndmask_b32_e64 v0, 0, v0, s[28:29]
	v_mov_b32_e32 v20, 0x78
	v_cndmask_b32_e32 v28, v0, v20, vcc
	v_or_b32_e32 v2, 0x800000, v1
	v_add_u32_e32 v0, 20, v28
	v_cndmask_b32_e32 v20, v2, v1, vcc
	v_lshlrev_b64 v[0:1], v0, -1
	v_add_u32_e32 v2, 19, v28
	v_lshlrev_b64 v[34:35], v2, 1
	v_bfi_b32 v1, v1, 0, 0
	v_bfi_b32 v0, v0, 0, v20
	v_cmp_eq_u64_e64 s[28:29], v[0:1], v[34:35]
	v_lshrrev_b64 v[0:1], v28, v[20:21]
	v_mov_b32_e32 v2, v1
	v_mov_b32_e32 v1, v0
	s_and_saveexec_b64 s[38:39], s[28:29]
; %bb.8087:                             ;   in Loop: Header=BB6_7203 Depth=3
	v_bfe_u32 v1, v0, 20, 1
	v_add_co_u32_e64 v1, s[28:29], v0, v1
	v_add_co_u32_e64 v1, s[28:29], -1, v1
; %bb.8088:                             ;   in Loop: Header=BB6_7203 Depth=3
	s_or_b64 exec, exec, s[38:39]
	v_add_u32_e32 v2, 0xffffff81, v26
	v_mov_b32_e32 v20, 0xffffff82
	v_cndmask_b32_e32 v2, v2, v20, vcc
	v_lshrrev_b32_e32 v20, 23, v0
	v_add3_u32 v28, v28, v2, v20
	v_add_u32_e32 v26, 6, v28
	v_and_b32_e32 v1, 0xfffff, v1
	v_add_u32_e32 v20, v1, v0
	v_cmp_ne_u32_e32 vcc, 0, v26
                                        ; implicit-def: $vgpr0_vgpr1
                                        ; implicit-def: $vgpr2
	s_and_saveexec_b64 s[28:29], vcc
	s_xor_b64 s[28:29], exec, s[28:29]
; %bb.8089:                             ;   in Loop: Header=BB6_7203 Depth=3
	v_cmp_lt_u64_e32 vcc, s[88:89], v[20:21]
	v_add_u32_e32 v0, 7, v28
	v_cndmask_b32_e32 v2, v26, v0, vcc
	v_cndmask_b32_e64 v0, 0, 1, vcc
	v_lshrrev_b64 v[0:1], v0, v[20:21]
; %bb.8090:                             ;   in Loop: Header=BB6_7203 Depth=3
	s_andn2_saveexec_b64 s[28:29], s[28:29]
; %bb.8091:                             ;   in Loop: Header=BB6_7203 Depth=3
	v_mov_b32_e32 v0, v20
	v_bfe_u32 v2, v20, 23, 1
	v_mov_b32_e32 v1, v21
; %bb.8092:                             ;   in Loop: Header=BB6_7203 Depth=3
	s_or_b64 exec, exec, s[28:29]
	v_lshrrev_b64 v[0:1], 20, v[0:1]
	v_cmp_gt_i32_e32 vcc, 16, v2
	v_cndmask_b32_e32 v1, 0, v1, vcc
	v_cndmask_b32_e32 v0, 7, v0, vcc
	v_cmp_eq_u64_e64 s[28:29], 0, v[0:1]
	v_min_i32_e32 v1, 15, v2
	v_lshlrev_b32_e32 v1, 3, v1
	v_cmp_eq_u32_e32 vcc, 0, v2
	v_and_b32_e32 v1, 0xf8, v1
	v_and_or_b32 v0, v0, 7, v1
	s_and_b64 s[28:29], vcc, s[28:29]
	v_cndmask_b32_e64 v0, v0, 0, s[28:29]
	v_or_b32_e32 v26, v0, v27
.LBB6_8093:                             ;   in Loop: Header=BB6_7203 Depth=3
	s_or_b64 exec, exec, s[36:37]
                                        ; implicit-def: $vgpr27
.LBB6_8094:                             ;   in Loop: Header=BB6_7203 Depth=3
	s_andn2_saveexec_b64 s[28:29], s[34:35]
; %bb.8095:                             ;   in Loop: Header=BB6_7203 Depth=3
	v_or_b32_e32 v26, 0x7e, v27
; %bb.8096:                             ;   in Loop: Header=BB6_7203 Depth=3
	s_or_b64 exec, exec, s[28:29]
                                        ; implicit-def: $vgpr0
.LBB6_8097:                             ;   in Loop: Header=BB6_7203 Depth=3
	s_andn2_saveexec_b64 s[28:29], s[30:31]
; %bb.8098:                             ;   in Loop: Header=BB6_7203 Depth=3
	v_or_b32_sdwa v26, v0, s81 dst_sel:DWORD dst_unused:UNUSED_PAD src0_sel:BYTE_3 src1_sel:DWORD
; %bb.8099:                             ;   in Loop: Header=BB6_7203 Depth=3
	s_or_b64 exec, exec, s[28:29]
	v_cmp_ne_u16_sdwa vcc, v58, v21 src0_sel:BYTE_0 src1_sel:DWORD
	v_mov_b32_e32 v0, 0
	v_mov_b32_e32 v1, 0
	s_and_saveexec_b64 s[28:29], vcc
	s_cbranch_execz .LBB6_8105
; %bb.8100:                             ;   in Loop: Header=BB6_7203 Depth=3
	v_cmp_ne_u16_sdwa vcc, v58, s80 src0_sel:BYTE_0 src1_sel:DWORD
	v_bfrev_b32_e32 v1, 1
	s_and_saveexec_b64 s[30:31], vcc
	s_cbranch_execz .LBB6_8104
; %bb.8101:                             ;   in Loop: Header=BB6_7203 Depth=3
	v_and_b32_e32 v2, 0x7f, v58
	v_cmp_ne_u32_e32 vcc, s81, v2
	v_mov_b32_e32 v1, 0x7f800001
	s_and_saveexec_b64 s[34:35], vcc
	s_cbranch_execz .LBB6_8103
; %bb.8102:                             ;   in Loop: Header=BB6_7203 Depth=3
	v_and_b32_e32 v1, 7, v58
	v_ffbh_u32_e32 v1, v1
	v_min_u32_e32 v1, 32, v1
	v_lshrrev_b32_e32 v20, 3, v2
	v_cmp_gt_u32_e32 vcc, 8, v2
	v_subrev_u32_e32 v2, 28, v1
	v_sub_u32_e32 v1, 29, v1
	v_cndmask_b32_e32 v20, v20, v1, vcc
	v_cndmask_b32_e32 v1, 0, v2, vcc
	v_lshlrev_b64 v[1:2], v1, v[58:59]
	v_lshlrev_b32_e32 v2, 24, v58
	v_lshlrev_b32_e32 v1, 20, v1
	v_bfrev_b32_e32 v22, 60
	v_and_b32_e32 v1, 0x700000, v1
	v_and_b32_e32 v2, 0x80000000, v2
	v_lshl_add_u32 v20, v20, 23, v22
	v_or3_b32 v1, v2, v20, v1
.LBB6_8103:                             ;   in Loop: Header=BB6_7203 Depth=3
	s_or_b64 exec, exec, s[34:35]
.LBB6_8104:                             ;   in Loop: Header=BB6_7203 Depth=3
	s_or_b64 exec, exec, s[30:31]
.LBB6_8105:                             ;   in Loop: Header=BB6_7203 Depth=3
	s_or_b64 exec, exec, s[28:29]
	s_waitcnt vmcnt(1)
	v_cmp_ne_u16_sdwa vcc, v16, v21 src0_sel:BYTE_0 src1_sel:DWORD
	s_and_saveexec_b64 s[28:29], vcc
	s_cbranch_execz .LBB6_8111
; %bb.8106:                             ;   in Loop: Header=BB6_7203 Depth=3
	v_cmp_ne_u16_sdwa vcc, v16, s80 src0_sel:BYTE_0 src1_sel:DWORD
	v_bfrev_b32_e32 v0, 1
	s_and_saveexec_b64 s[30:31], vcc
	s_cbranch_execz .LBB6_8110
; %bb.8107:                             ;   in Loop: Header=BB6_7203 Depth=3
	v_and_b32_e32 v2, 0x7f, v16
	v_cmp_ne_u32_e32 vcc, s81, v2
	v_mov_b32_e32 v0, 0x7f800001
	s_and_saveexec_b64 s[34:35], vcc
	s_cbranch_execz .LBB6_8109
; %bb.8108:                             ;   in Loop: Header=BB6_7203 Depth=3
	v_and_b32_e32 v0, 7, v16
	v_ffbh_u32_e32 v0, v0
	v_min_u32_e32 v0, 32, v0
	v_lshrrev_b32_e32 v20, 3, v2
	v_cmp_gt_u32_e32 vcc, 8, v2
	v_subrev_u32_e32 v2, 28, v0
	v_cndmask_b32_e32 v2, 0, v2, vcc
	v_lshlrev_b64 v[27:28], v2, v[16:17]
	v_sub_u32_e32 v0, 29, v0
	v_cndmask_b32_e32 v0, v20, v0, vcc
	v_lshlrev_b32_e32 v2, 20, v27
	v_lshlrev_b32_e32 v20, 24, v16
	v_bfrev_b32_e32 v22, 60
	v_and_b32_e32 v2, 0x700000, v2
	v_and_b32_e32 v20, 0x80000000, v20
	v_lshl_add_u32 v0, v0, 23, v22
	v_or3_b32 v0, v20, v0, v2
.LBB6_8109:                             ;   in Loop: Header=BB6_7203 Depth=3
	s_or_b64 exec, exec, s[34:35]
.LBB6_8110:                             ;   in Loop: Header=BB6_7203 Depth=3
	s_or_b64 exec, exec, s[30:31]
.LBB6_8111:                             ;   in Loop: Header=BB6_7203 Depth=3
	s_or_b64 exec, exec, s[28:29]
	v_mul_f32_e32 v0, v1, v0
	v_and_b32_e32 v20, 0x7f800000, v0
	v_cmp_ne_u64_e32 vcc, s[62:63], v[20:21]
                                        ; implicit-def: $vgpr27
	s_and_saveexec_b64 s[28:29], vcc
	s_xor_b64 s[30:31], exec, s[28:29]
	s_cbranch_execz .LBB6_8125
; %bb.8112:                             ;   in Loop: Header=BB6_7203 Depth=3
	v_and_b32_e32 v20, 0x7fffffff, v0
	v_cmp_gt_u64_e32 vcc, s[78:79], v[20:21]
	v_and_b32_sdwa v28, v0, s80 dst_sel:DWORD dst_unused:UNUSED_PAD src0_sel:BYTE_3 src1_sel:DWORD
                                        ; implicit-def: $vgpr27
	s_and_saveexec_b64 s[28:29], vcc
	s_xor_b64 s[34:35], exec, s[28:29]
	s_cbranch_execz .LBB6_8122
; %bb.8113:                             ;   in Loop: Header=BB6_7203 Depth=3
	v_mov_b32_e32 v27, 0
	v_cmp_ne_u32_e32 vcc, 0, v0
	s_and_saveexec_b64 s[36:37], vcc
	s_cbranch_execz .LBB6_8121
; %bb.8114:                             ;   in Loop: Header=BB6_7203 Depth=3
	v_bfe_u32 v27, v0, 23, 8
	v_and_b32_e32 v1, 0x7fffff, v0
	v_cmp_gt_u32_e64 s[28:29], s47, v27
	v_sub_u32_e32 v0, 0x79, v27
	v_cmp_eq_u32_e32 vcc, 0, v27
	v_cndmask_b32_e64 v0, 0, v0, s[28:29]
	v_mov_b32_e32 v20, 0x78
	v_cndmask_b32_e32 v30, v0, v20, vcc
	v_or_b32_e32 v2, 0x800000, v1
	v_add_u32_e32 v0, 20, v30
	v_cndmask_b32_e32 v20, v2, v1, vcc
	v_lshlrev_b64 v[0:1], v0, -1
	v_add_u32_e32 v2, 19, v30
	v_lshlrev_b64 v[34:35], v2, 1
	v_bfi_b32 v1, v1, 0, 0
	v_bfi_b32 v0, v0, 0, v20
	v_cmp_eq_u64_e64 s[28:29], v[0:1], v[34:35]
	v_lshrrev_b64 v[0:1], v30, v[20:21]
	v_mov_b32_e32 v2, v1
	v_mov_b32_e32 v1, v0
	s_and_saveexec_b64 s[38:39], s[28:29]
; %bb.8115:                             ;   in Loop: Header=BB6_7203 Depth=3
	v_bfe_u32 v1, v0, 20, 1
	v_add_co_u32_e64 v1, s[28:29], v0, v1
	v_add_co_u32_e64 v1, s[28:29], -1, v1
; %bb.8116:                             ;   in Loop: Header=BB6_7203 Depth=3
	s_or_b64 exec, exec, s[38:39]
	v_add_u32_e32 v2, 0xffffff81, v27
	v_mov_b32_e32 v20, 0xffffff82
	v_cndmask_b32_e32 v2, v2, v20, vcc
	v_lshrrev_b32_e32 v20, 23, v0
	v_add3_u32 v30, v30, v2, v20
	v_add_u32_e32 v27, 6, v30
	v_and_b32_e32 v1, 0xfffff, v1
	v_add_u32_e32 v20, v1, v0
	v_cmp_ne_u32_e32 vcc, 0, v27
                                        ; implicit-def: $vgpr0_vgpr1
                                        ; implicit-def: $vgpr2
	s_and_saveexec_b64 s[28:29], vcc
	s_xor_b64 s[28:29], exec, s[28:29]
; %bb.8117:                             ;   in Loop: Header=BB6_7203 Depth=3
	v_cmp_lt_u64_e32 vcc, s[88:89], v[20:21]
	v_add_u32_e32 v0, 7, v30
	v_cndmask_b32_e32 v2, v27, v0, vcc
	v_cndmask_b32_e64 v0, 0, 1, vcc
	v_lshrrev_b64 v[0:1], v0, v[20:21]
; %bb.8118:                             ;   in Loop: Header=BB6_7203 Depth=3
	s_andn2_saveexec_b64 s[28:29], s[28:29]
; %bb.8119:                             ;   in Loop: Header=BB6_7203 Depth=3
	v_mov_b32_e32 v0, v20
	v_bfe_u32 v2, v20, 23, 1
	v_mov_b32_e32 v1, v21
; %bb.8120:                             ;   in Loop: Header=BB6_7203 Depth=3
	s_or_b64 exec, exec, s[28:29]
	v_lshrrev_b64 v[0:1], 20, v[0:1]
	v_cmp_gt_i32_e32 vcc, 16, v2
	v_cndmask_b32_e32 v1, 0, v1, vcc
	v_cndmask_b32_e32 v0, 7, v0, vcc
	v_cmp_eq_u64_e64 s[28:29], 0, v[0:1]
	v_min_i32_e32 v1, 15, v2
	v_lshlrev_b32_e32 v1, 3, v1
	v_cmp_eq_u32_e32 vcc, 0, v2
	v_and_b32_e32 v1, 0xf8, v1
	v_and_or_b32 v0, v0, 7, v1
	s_and_b64 s[28:29], vcc, s[28:29]
	v_cndmask_b32_e64 v0, v0, 0, s[28:29]
	v_or_b32_e32 v27, v0, v28
.LBB6_8121:                             ;   in Loop: Header=BB6_7203 Depth=3
	s_or_b64 exec, exec, s[36:37]
                                        ; implicit-def: $vgpr28
.LBB6_8122:                             ;   in Loop: Header=BB6_7203 Depth=3
	s_andn2_saveexec_b64 s[28:29], s[34:35]
; %bb.8123:                             ;   in Loop: Header=BB6_7203 Depth=3
	v_or_b32_e32 v27, 0x7e, v28
; %bb.8124:                             ;   in Loop: Header=BB6_7203 Depth=3
	s_or_b64 exec, exec, s[28:29]
                                        ; implicit-def: $vgpr0
.LBB6_8125:                             ;   in Loop: Header=BB6_7203 Depth=3
	s_andn2_saveexec_b64 s[28:29], s[30:31]
; %bb.8126:                             ;   in Loop: Header=BB6_7203 Depth=3
	v_or_b32_sdwa v27, v0, s81 dst_sel:DWORD dst_unused:UNUSED_PAD src0_sel:BYTE_3 src1_sel:DWORD
; %bb.8127:                             ;   in Loop: Header=BB6_7203 Depth=3
	s_or_b64 exec, exec, s[28:29]
	v_lshrrev_b16_e32 v0, 8, v58
	v_cmp_ne_u16_e32 vcc, 0, v0
	v_mov_b32_e32 v1, 0
	v_mov_b32_e32 v2, 0
	s_and_saveexec_b64 s[28:29], vcc
	s_cbranch_execz .LBB6_8133
; %bb.8128:                             ;   in Loop: Header=BB6_7203 Depth=3
	v_cmp_ne_u16_e32 vcc, s80, v0
	v_bfrev_b32_e32 v2, 1
	s_and_saveexec_b64 s[30:31], vcc
	s_cbranch_execz .LBB6_8132
; %bb.8129:                             ;   in Loop: Header=BB6_7203 Depth=3
	v_and_b32_e32 v20, 0x7f, v0
	v_cmp_ne_u32_e32 vcc, s81, v20
	v_mov_b32_e32 v2, 0x7f800001
	s_and_saveexec_b64 s[34:35], vcc
	s_cbranch_execz .LBB6_8131
; %bb.8130:                             ;   in Loop: Header=BB6_7203 Depth=3
	v_and_b32_e32 v2, 7, v0
	v_lshrrev_b32_e32 v22, 3, v20
	v_cmp_gt_u32_e32 vcc, 8, v20
	v_ffbh_u32_e32 v20, v2
	v_min_u32_e32 v20, 32, v20
	v_subrev_u32_e32 v23, 28, v20
	v_lshlrev_b64 v[34:35], v23, v[0:1]
	v_sub_u32_e32 v0, 29, v20
	v_and_b32_e32 v20, 7, v34
	v_cndmask_b32_e32 v0, v22, v0, vcc
	v_cndmask_b32_e32 v2, v2, v20, vcc
	v_lshlrev_b32_e32 v20, 16, v58
	v_bfrev_b32_e32 v22, 60
	v_lshlrev_b32_e32 v2, 20, v2
	v_and_b32_e32 v20, 0x80000000, v20
	v_lshl_add_u32 v0, v0, 23, v22
	v_or3_b32 v2, v20, v0, v2
.LBB6_8131:                             ;   in Loop: Header=BB6_7203 Depth=3
	s_or_b64 exec, exec, s[34:35]
.LBB6_8132:                             ;   in Loop: Header=BB6_7203 Depth=3
	s_or_b64 exec, exec, s[30:31]
.LBB6_8133:                             ;   in Loop: Header=BB6_7203 Depth=3
	s_or_b64 exec, exec, s[28:29]
	v_lshrrev_b16_e32 v0, 8, v16
	v_cmp_ne_u16_e32 vcc, 0, v0
	s_and_saveexec_b64 s[28:29], vcc
	s_cbranch_execz .LBB6_8139
; %bb.8134:                             ;   in Loop: Header=BB6_7203 Depth=3
	v_cmp_ne_u16_e32 vcc, s80, v0
	v_bfrev_b32_e32 v1, 1
	s_and_saveexec_b64 s[30:31], vcc
	s_cbranch_execz .LBB6_8138
; %bb.8135:                             ;   in Loop: Header=BB6_7203 Depth=3
	v_and_b32_e32 v20, 0x7f, v0
	v_cmp_ne_u32_e32 vcc, s81, v20
	v_mov_b32_e32 v1, 0x7f800001
	s_and_saveexec_b64 s[34:35], vcc
	s_cbranch_execz .LBB6_8137
; %bb.8136:                             ;   in Loop: Header=BB6_7203 Depth=3
	v_and_b32_e32 v22, 7, v0
	v_ffbh_u32_e32 v1, v22
	v_lshrrev_b32_e32 v23, 3, v20
	v_cmp_gt_u32_e32 vcc, 8, v20
	v_min_u32_e32 v20, 32, v1
	v_subrev_u32_e32 v1, 28, v20
	v_lshlrev_b64 v[0:1], v1, v[0:1]
	v_sub_u32_e32 v1, 29, v20
	v_and_b32_e32 v0, 7, v0
	v_cndmask_b32_e32 v1, v23, v1, vcc
	v_cndmask_b32_e32 v0, v22, v0, vcc
	v_lshlrev_b32_e32 v20, 16, v16
	v_bfrev_b32_e32 v22, 60
	v_lshlrev_b32_e32 v0, 20, v0
	v_and_b32_e32 v20, 0x80000000, v20
	v_lshl_add_u32 v1, v1, 23, v22
	v_or3_b32 v1, v20, v1, v0
.LBB6_8137:                             ;   in Loop: Header=BB6_7203 Depth=3
	s_or_b64 exec, exec, s[34:35]
.LBB6_8138:                             ;   in Loop: Header=BB6_7203 Depth=3
	s_or_b64 exec, exec, s[30:31]
.LBB6_8139:                             ;   in Loop: Header=BB6_7203 Depth=3
	s_or_b64 exec, exec, s[28:29]
	v_mul_f32_e32 v0, v2, v1
	v_and_b32_e32 v20, 0x7f800000, v0
	v_cmp_ne_u64_e32 vcc, s[62:63], v[20:21]
                                        ; implicit-def: $vgpr34
	s_and_saveexec_b64 s[28:29], vcc
	s_xor_b64 s[30:31], exec, s[28:29]
	s_cbranch_execz .LBB6_8153
; %bb.8140:                             ;   in Loop: Header=BB6_7203 Depth=3
	v_and_b32_e32 v20, 0x7fffffff, v0
	v_cmp_gt_u64_e32 vcc, s[78:79], v[20:21]
	v_and_b32_sdwa v28, v0, s80 dst_sel:DWORD dst_unused:UNUSED_PAD src0_sel:BYTE_3 src1_sel:DWORD
                                        ; implicit-def: $vgpr34
	s_and_saveexec_b64 s[28:29], vcc
	s_xor_b64 s[34:35], exec, s[28:29]
	s_cbranch_execz .LBB6_8150
; %bb.8141:                             ;   in Loop: Header=BB6_7203 Depth=3
	v_mov_b32_e32 v34, 0
	v_cmp_ne_u32_e32 vcc, 0, v0
	s_and_saveexec_b64 s[36:37], vcc
	s_cbranch_execz .LBB6_8149
; %bb.8142:                             ;   in Loop: Header=BB6_7203 Depth=3
	v_bfe_u32 v30, v0, 23, 8
	v_and_b32_e32 v1, 0x7fffff, v0
	v_cmp_gt_u32_e64 s[28:29], s47, v30
	v_sub_u32_e32 v0, 0x79, v30
	v_cmp_eq_u32_e32 vcc, 0, v30
	v_cndmask_b32_e64 v0, 0, v0, s[28:29]
	v_mov_b32_e32 v20, 0x78
	v_cndmask_b32_e32 v34, v0, v20, vcc
	v_or_b32_e32 v2, 0x800000, v1
	v_add_u32_e32 v0, 20, v34
	v_cndmask_b32_e32 v20, v2, v1, vcc
	v_lshlrev_b64 v[0:1], v0, -1
	v_add_u32_e32 v2, 19, v34
	v_lshlrev_b64 v[35:36], v2, 1
	v_bfi_b32 v1, v1, 0, 0
	v_bfi_b32 v0, v0, 0, v20
	v_cmp_eq_u64_e64 s[28:29], v[0:1], v[35:36]
	v_lshrrev_b64 v[0:1], v34, v[20:21]
	v_mov_b32_e32 v2, v1
	v_mov_b32_e32 v1, v0
	s_and_saveexec_b64 s[38:39], s[28:29]
; %bb.8143:                             ;   in Loop: Header=BB6_7203 Depth=3
	v_bfe_u32 v1, v0, 20, 1
	v_add_co_u32_e64 v1, s[28:29], v0, v1
	v_add_co_u32_e64 v1, s[28:29], -1, v1
; %bb.8144:                             ;   in Loop: Header=BB6_7203 Depth=3
	s_or_b64 exec, exec, s[38:39]
	v_add_u32_e32 v2, 0xffffff81, v30
	v_mov_b32_e32 v20, 0xffffff82
	v_cndmask_b32_e32 v2, v2, v20, vcc
	v_lshrrev_b32_e32 v20, 23, v0
	v_add3_u32 v34, v34, v2, v20
	v_add_u32_e32 v30, 6, v34
	v_and_b32_e32 v1, 0xfffff, v1
	v_add_u32_e32 v20, v1, v0
	v_cmp_ne_u32_e32 vcc, 0, v30
                                        ; implicit-def: $vgpr0_vgpr1
                                        ; implicit-def: $vgpr2
	s_and_saveexec_b64 s[28:29], vcc
	s_xor_b64 s[28:29], exec, s[28:29]
; %bb.8145:                             ;   in Loop: Header=BB6_7203 Depth=3
	v_cmp_lt_u64_e32 vcc, s[88:89], v[20:21]
	v_add_u32_e32 v0, 7, v34
	v_cndmask_b32_e32 v2, v30, v0, vcc
	v_cndmask_b32_e64 v0, 0, 1, vcc
	v_lshrrev_b64 v[0:1], v0, v[20:21]
; %bb.8146:                             ;   in Loop: Header=BB6_7203 Depth=3
	s_andn2_saveexec_b64 s[28:29], s[28:29]
; %bb.8147:                             ;   in Loop: Header=BB6_7203 Depth=3
	v_mov_b32_e32 v0, v20
	v_bfe_u32 v2, v20, 23, 1
	v_mov_b32_e32 v1, v21
; %bb.8148:                             ;   in Loop: Header=BB6_7203 Depth=3
	s_or_b64 exec, exec, s[28:29]
	v_lshrrev_b64 v[0:1], 20, v[0:1]
	v_cmp_gt_i32_e32 vcc, 16, v2
	v_cndmask_b32_e32 v1, 0, v1, vcc
	v_cndmask_b32_e32 v0, 7, v0, vcc
	v_cmp_eq_u64_e64 s[28:29], 0, v[0:1]
	v_min_i32_e32 v1, 15, v2
	v_lshlrev_b32_e32 v1, 3, v1
	v_cmp_eq_u32_e32 vcc, 0, v2
	v_and_b32_e32 v1, 0xf8, v1
	v_and_or_b32 v0, v0, 7, v1
	s_and_b64 s[28:29], vcc, s[28:29]
	v_cndmask_b32_e64 v0, v0, 0, s[28:29]
	v_or_b32_e32 v34, v0, v28
.LBB6_8149:                             ;   in Loop: Header=BB6_7203 Depth=3
	s_or_b64 exec, exec, s[36:37]
                                        ; implicit-def: $vgpr28
.LBB6_8150:                             ;   in Loop: Header=BB6_7203 Depth=3
	s_andn2_saveexec_b64 s[28:29], s[34:35]
; %bb.8151:                             ;   in Loop: Header=BB6_7203 Depth=3
	v_or_b32_e32 v34, 0x7e, v28
; %bb.8152:                             ;   in Loop: Header=BB6_7203 Depth=3
	s_or_b64 exec, exec, s[28:29]
                                        ; implicit-def: $vgpr0
.LBB6_8153:                             ;   in Loop: Header=BB6_7203 Depth=3
	s_andn2_saveexec_b64 s[28:29], s[30:31]
; %bb.8154:                             ;   in Loop: Header=BB6_7203 Depth=3
	v_or_b32_sdwa v34, v0, s81 dst_sel:DWORD dst_unused:UNUSED_PAD src0_sel:BYTE_3 src1_sel:DWORD
; %bb.8155:                             ;   in Loop: Header=BB6_7203 Depth=3
	s_or_b64 exec, exec, s[28:29]
	v_lshrrev_b32_e32 v0, 16, v58
	v_cmp_ne_u16_sdwa vcc, v0, v21 src0_sel:BYTE_0 src1_sel:DWORD
	v_mov_b32_e32 v1, 0
	v_mov_b32_e32 v2, 0
	s_and_saveexec_b64 s[28:29], vcc
	s_cbranch_execz .LBB6_8161
; %bb.8156:                             ;   in Loop: Header=BB6_7203 Depth=3
	v_cmp_ne_u16_sdwa vcc, v0, s80 src0_sel:BYTE_0 src1_sel:DWORD
	v_bfrev_b32_e32 v2, 1
	s_and_saveexec_b64 s[30:31], vcc
	s_cbranch_execz .LBB6_8160
; %bb.8157:                             ;   in Loop: Header=BB6_7203 Depth=3
	v_bfe_u32 v20, v58, 16, 7
	v_cmp_ne_u32_e32 vcc, s81, v20
	v_mov_b32_e32 v2, 0x7f800001
	s_and_saveexec_b64 s[34:35], vcc
	s_cbranch_execz .LBB6_8159
; %bb.8158:                             ;   in Loop: Header=BB6_7203 Depth=3
	v_and_b32_e32 v2, 7, v0
	v_lshrrev_b32_e32 v22, 3, v20
	v_cmp_gt_u32_e32 vcc, 8, v20
	v_ffbh_u32_e32 v20, v2
	v_min_u32_e32 v20, 32, v20
	v_subrev_u32_e32 v23, 28, v20
	v_lshlrev_b64 v[35:36], v23, v[0:1]
	v_sub_u32_e32 v20, 29, v20
	v_and_b32_e32 v23, 7, v35
	v_cndmask_b32_e32 v20, v22, v20, vcc
	v_cndmask_b32_e32 v2, v2, v23, vcc
	v_lshlrev_b32_e32 v0, 24, v0
	v_bfrev_b32_e32 v22, 60
	v_lshlrev_b32_e32 v2, 20, v2
	v_and_b32_e32 v0, 0x80000000, v0
	v_lshl_add_u32 v20, v20, 23, v22
	v_or3_b32 v2, v0, v20, v2
.LBB6_8159:                             ;   in Loop: Header=BB6_7203 Depth=3
	s_or_b64 exec, exec, s[34:35]
.LBB6_8160:                             ;   in Loop: Header=BB6_7203 Depth=3
	s_or_b64 exec, exec, s[30:31]
.LBB6_8161:                             ;   in Loop: Header=BB6_7203 Depth=3
	s_or_b64 exec, exec, s[28:29]
	v_lshrrev_b32_e32 v0, 16, v16
	v_cmp_ne_u16_sdwa vcc, v0, v21 src0_sel:BYTE_0 src1_sel:DWORD
	s_and_saveexec_b64 s[28:29], vcc
	s_cbranch_execz .LBB6_8167
; %bb.8162:                             ;   in Loop: Header=BB6_7203 Depth=3
	v_cmp_ne_u16_sdwa vcc, v0, s80 src0_sel:BYTE_0 src1_sel:DWORD
	v_bfrev_b32_e32 v1, 1
	s_and_saveexec_b64 s[30:31], vcc
	s_cbranch_execz .LBB6_8166
; %bb.8163:                             ;   in Loop: Header=BB6_7203 Depth=3
	v_bfe_u32 v20, v16, 16, 7
	v_cmp_ne_u32_e32 vcc, s81, v20
	v_mov_b32_e32 v1, 0x7f800001
	s_and_saveexec_b64 s[34:35], vcc
	s_cbranch_execz .LBB6_8165
; %bb.8164:                             ;   in Loop: Header=BB6_7203 Depth=3
	v_and_b32_e32 v22, 7, v0
	v_ffbh_u32_e32 v1, v22
	v_lshrrev_b32_e32 v23, 3, v20
	v_cmp_gt_u32_e32 vcc, 8, v20
	v_min_u32_e32 v20, 32, v1
	v_subrev_u32_e32 v1, 28, v20
	v_lshlrev_b64 v[0:1], v1, v[0:1]
	v_sub_u32_e32 v1, 29, v20
	v_and_b32_e32 v0, 7, v0
	v_cndmask_b32_e32 v1, v23, v1, vcc
	v_cndmask_b32_e32 v0, v22, v0, vcc
	v_lshlrev_b32_e32 v20, 8, v16
	v_bfrev_b32_e32 v22, 60
	v_lshlrev_b32_e32 v0, 20, v0
	v_and_b32_e32 v20, 0x80000000, v20
	v_lshl_add_u32 v1, v1, 23, v22
	v_or3_b32 v1, v20, v1, v0
.LBB6_8165:                             ;   in Loop: Header=BB6_7203 Depth=3
	s_or_b64 exec, exec, s[34:35]
.LBB6_8166:                             ;   in Loop: Header=BB6_7203 Depth=3
	s_or_b64 exec, exec, s[30:31]
.LBB6_8167:                             ;   in Loop: Header=BB6_7203 Depth=3
	s_or_b64 exec, exec, s[28:29]
	v_mul_f32_e32 v0, v2, v1
	v_and_b32_e32 v20, 0x7f800000, v0
	v_cmp_ne_u64_e32 vcc, s[62:63], v[20:21]
                                        ; implicit-def: $vgpr35
	s_and_saveexec_b64 s[28:29], vcc
	s_xor_b64 s[30:31], exec, s[28:29]
	s_cbranch_execz .LBB6_8181
; %bb.8168:                             ;   in Loop: Header=BB6_7203 Depth=3
	v_and_b32_e32 v20, 0x7fffffff, v0
	v_cmp_gt_u64_e32 vcc, s[78:79], v[20:21]
	v_and_b32_sdwa v28, v0, s80 dst_sel:DWORD dst_unused:UNUSED_PAD src0_sel:BYTE_3 src1_sel:DWORD
                                        ; implicit-def: $vgpr35
	s_and_saveexec_b64 s[28:29], vcc
	s_xor_b64 s[34:35], exec, s[28:29]
	s_cbranch_execz .LBB6_8178
; %bb.8169:                             ;   in Loop: Header=BB6_7203 Depth=3
	v_mov_b32_e32 v35, 0
	v_cmp_ne_u32_e32 vcc, 0, v0
	s_and_saveexec_b64 s[36:37], vcc
	s_cbranch_execz .LBB6_8177
; %bb.8170:                             ;   in Loop: Header=BB6_7203 Depth=3
	v_bfe_u32 v30, v0, 23, 8
	v_and_b32_e32 v1, 0x7fffff, v0
	v_cmp_gt_u32_e64 s[28:29], s47, v30
	v_sub_u32_e32 v0, 0x79, v30
	v_cmp_eq_u32_e32 vcc, 0, v30
	v_cndmask_b32_e64 v0, 0, v0, s[28:29]
	v_mov_b32_e32 v20, 0x78
	v_cndmask_b32_e32 v35, v0, v20, vcc
	v_or_b32_e32 v2, 0x800000, v1
	v_add_u32_e32 v0, 20, v35
	v_cndmask_b32_e32 v20, v2, v1, vcc
	v_lshlrev_b64 v[0:1], v0, -1
	v_add_u32_e32 v2, 19, v35
	v_lshlrev_b64 v[36:37], v2, 1
	v_bfi_b32 v1, v1, 0, 0
	v_bfi_b32 v0, v0, 0, v20
	v_cmp_eq_u64_e64 s[28:29], v[0:1], v[36:37]
	v_lshrrev_b64 v[0:1], v35, v[20:21]
	v_mov_b32_e32 v2, v1
	v_mov_b32_e32 v1, v0
	s_and_saveexec_b64 s[38:39], s[28:29]
; %bb.8171:                             ;   in Loop: Header=BB6_7203 Depth=3
	v_bfe_u32 v1, v0, 20, 1
	v_add_co_u32_e64 v1, s[28:29], v0, v1
	v_add_co_u32_e64 v1, s[28:29], -1, v1
; %bb.8172:                             ;   in Loop: Header=BB6_7203 Depth=3
	s_or_b64 exec, exec, s[38:39]
	v_add_u32_e32 v2, 0xffffff81, v30
	v_mov_b32_e32 v20, 0xffffff82
	v_cndmask_b32_e32 v2, v2, v20, vcc
	v_lshrrev_b32_e32 v20, 23, v0
	v_add3_u32 v35, v35, v2, v20
	v_add_u32_e32 v30, 6, v35
	v_and_b32_e32 v1, 0xfffff, v1
	v_add_u32_e32 v20, v1, v0
	v_cmp_ne_u32_e32 vcc, 0, v30
                                        ; implicit-def: $vgpr0_vgpr1
                                        ; implicit-def: $vgpr2
	s_and_saveexec_b64 s[28:29], vcc
	s_xor_b64 s[28:29], exec, s[28:29]
; %bb.8173:                             ;   in Loop: Header=BB6_7203 Depth=3
	v_cmp_lt_u64_e32 vcc, s[88:89], v[20:21]
	v_add_u32_e32 v0, 7, v35
	v_cndmask_b32_e32 v2, v30, v0, vcc
	v_cndmask_b32_e64 v0, 0, 1, vcc
	v_lshrrev_b64 v[0:1], v0, v[20:21]
; %bb.8174:                             ;   in Loop: Header=BB6_7203 Depth=3
	s_andn2_saveexec_b64 s[28:29], s[28:29]
; %bb.8175:                             ;   in Loop: Header=BB6_7203 Depth=3
	v_mov_b32_e32 v0, v20
	v_bfe_u32 v2, v20, 23, 1
	v_mov_b32_e32 v1, v21
; %bb.8176:                             ;   in Loop: Header=BB6_7203 Depth=3
	s_or_b64 exec, exec, s[28:29]
	v_lshrrev_b64 v[0:1], 20, v[0:1]
	v_cmp_gt_i32_e32 vcc, 16, v2
	v_cndmask_b32_e32 v1, 0, v1, vcc
	v_cndmask_b32_e32 v0, 7, v0, vcc
	v_cmp_eq_u64_e64 s[28:29], 0, v[0:1]
	v_min_i32_e32 v1, 15, v2
	v_lshlrev_b32_e32 v1, 3, v1
	v_cmp_eq_u32_e32 vcc, 0, v2
	v_and_b32_e32 v1, 0xf8, v1
	v_and_or_b32 v0, v0, 7, v1
	s_and_b64 s[28:29], vcc, s[28:29]
	v_cndmask_b32_e64 v0, v0, 0, s[28:29]
	v_or_b32_e32 v35, v0, v28
.LBB6_8177:                             ;   in Loop: Header=BB6_7203 Depth=3
	s_or_b64 exec, exec, s[36:37]
                                        ; implicit-def: $vgpr28
.LBB6_8178:                             ;   in Loop: Header=BB6_7203 Depth=3
	s_andn2_saveexec_b64 s[28:29], s[34:35]
; %bb.8179:                             ;   in Loop: Header=BB6_7203 Depth=3
	v_or_b32_e32 v35, 0x7e, v28
; %bb.8180:                             ;   in Loop: Header=BB6_7203 Depth=3
	s_or_b64 exec, exec, s[28:29]
                                        ; implicit-def: $vgpr0
.LBB6_8181:                             ;   in Loop: Header=BB6_7203 Depth=3
	s_andn2_saveexec_b64 s[28:29], s[30:31]
; %bb.8182:                             ;   in Loop: Header=BB6_7203 Depth=3
	v_or_b32_sdwa v35, v0, s81 dst_sel:DWORD dst_unused:UNUSED_PAD src0_sel:BYTE_3 src1_sel:DWORD
; %bb.8183:                             ;   in Loop: Header=BB6_7203 Depth=3
	s_or_b64 exec, exec, s[28:29]
	v_cmp_lt_u32_e32 vcc, s57, v58
	v_mov_b32_e32 v1, 0
	v_mov_b32_e32 v2, 0
	s_and_saveexec_b64 s[28:29], vcc
	s_cbranch_execz .LBB6_8189
; %bb.8184:                             ;   in Loop: Header=BB6_7203 Depth=3
	v_lshrrev_b32_e32 v0, 24, v58
	v_cmp_ne_u32_e32 vcc, s80, v0
	v_bfrev_b32_e32 v2, 1
	s_and_saveexec_b64 s[30:31], vcc
	s_cbranch_execz .LBB6_8188
; %bb.8185:                             ;   in Loop: Header=BB6_7203 Depth=3
	v_bfe_u32 v20, v58, 24, 7
	v_cmp_ne_u32_e32 vcc, s81, v20
	v_mov_b32_e32 v2, 0x7f800001
	s_and_saveexec_b64 s[34:35], vcc
	s_cbranch_execz .LBB6_8187
; %bb.8186:                             ;   in Loop: Header=BB6_7203 Depth=3
	v_and_b32_e32 v2, 7, v0
	v_lshrrev_b32_e32 v22, 3, v20
	v_cmp_gt_u32_e32 vcc, 8, v20
	v_ffbh_u32_e32 v20, v2
	v_min_u32_e32 v20, 32, v20
	v_subrev_u32_e32 v23, 28, v20
	v_lshlrev_b64 v[36:37], v23, v[0:1]
	v_sub_u32_e32 v20, 29, v20
	v_and_b32_e32 v23, 7, v36
	v_cndmask_b32_e32 v20, v22, v20, vcc
	v_cndmask_b32_e32 v2, v2, v23, vcc
	v_lshlrev_b32_e32 v0, 24, v0
	v_bfrev_b32_e32 v22, 60
	v_lshlrev_b32_e32 v2, 20, v2
	v_and_b32_e32 v0, 0x80000000, v0
	v_lshl_add_u32 v20, v20, 23, v22
	v_or3_b32 v2, v0, v20, v2
.LBB6_8187:                             ;   in Loop: Header=BB6_7203 Depth=3
	s_or_b64 exec, exec, s[34:35]
.LBB6_8188:                             ;   in Loop: Header=BB6_7203 Depth=3
	s_or_b64 exec, exec, s[30:31]
.LBB6_8189:                             ;   in Loop: Header=BB6_7203 Depth=3
	s_or_b64 exec, exec, s[28:29]
	v_cmp_lt_u32_e32 vcc, s57, v16
	s_and_saveexec_b64 s[28:29], vcc
	s_cbranch_execz .LBB6_8195
; %bb.8190:                             ;   in Loop: Header=BB6_7203 Depth=3
	v_lshrrev_b32_e32 v0, 24, v16
	v_cmp_ne_u32_e32 vcc, s80, v0
	v_bfrev_b32_e32 v1, 1
	s_and_saveexec_b64 s[30:31], vcc
	s_cbranch_execz .LBB6_8194
; %bb.8191:                             ;   in Loop: Header=BB6_7203 Depth=3
	v_bfe_u32 v20, v16, 24, 7
	v_cmp_ne_u32_e32 vcc, s81, v20
	v_mov_b32_e32 v1, 0x7f800001
	s_and_saveexec_b64 s[34:35], vcc
	s_cbranch_execz .LBB6_8193
; %bb.8192:                             ;   in Loop: Header=BB6_7203 Depth=3
	v_and_b32_e32 v1, 7, v0
	v_lshrrev_b32_e32 v22, 3, v20
	v_cmp_gt_u32_e32 vcc, 8, v20
	v_ffbh_u32_e32 v20, v1
	v_min_u32_e32 v20, 32, v20
	v_subrev_u32_e32 v23, 28, v20
	v_lshlrev_b64 v[36:37], v23, v[0:1]
	v_sub_u32_e32 v20, 29, v20
	v_and_b32_e32 v23, 7, v36
	v_cndmask_b32_e32 v20, v22, v20, vcc
	v_cndmask_b32_e32 v1, v1, v23, vcc
	v_lshlrev_b32_e32 v0, 24, v0
	v_bfrev_b32_e32 v22, 60
	v_lshlrev_b32_e32 v1, 20, v1
	v_and_b32_e32 v0, 0x80000000, v0
	v_lshl_add_u32 v20, v20, 23, v22
	v_or3_b32 v1, v0, v20, v1
.LBB6_8193:                             ;   in Loop: Header=BB6_7203 Depth=3
	s_or_b64 exec, exec, s[34:35]
.LBB6_8194:                             ;   in Loop: Header=BB6_7203 Depth=3
	s_or_b64 exec, exec, s[30:31]
.LBB6_8195:                             ;   in Loop: Header=BB6_7203 Depth=3
	s_or_b64 exec, exec, s[28:29]
	v_mul_f32_e32 v0, v2, v1
	v_and_b32_e32 v20, 0x7f800000, v0
	v_cmp_ne_u64_e32 vcc, s[62:63], v[20:21]
                                        ; implicit-def: $vgpr48
	s_and_saveexec_b64 s[28:29], vcc
	s_xor_b64 s[30:31], exec, s[28:29]
	s_cbranch_execz .LBB6_8209
; %bb.8196:                             ;   in Loop: Header=BB6_7203 Depth=3
	v_and_b32_e32 v20, 0x7fffffff, v0
	v_cmp_gt_u64_e32 vcc, s[78:79], v[20:21]
	v_and_b32_sdwa v28, v0, s80 dst_sel:DWORD dst_unused:UNUSED_PAD src0_sel:BYTE_3 src1_sel:DWORD
                                        ; implicit-def: $vgpr48
	s_and_saveexec_b64 s[28:29], vcc
	s_xor_b64 s[34:35], exec, s[28:29]
	s_cbranch_execz .LBB6_8206
; %bb.8197:                             ;   in Loop: Header=BB6_7203 Depth=3
	v_mov_b32_e32 v48, 0
	v_cmp_ne_u32_e32 vcc, 0, v0
	s_and_saveexec_b64 s[36:37], vcc
	s_cbranch_execz .LBB6_8205
; %bb.8198:                             ;   in Loop: Header=BB6_7203 Depth=3
	v_bfe_u32 v30, v0, 23, 8
	v_and_b32_e32 v1, 0x7fffff, v0
	v_cmp_gt_u32_e64 s[28:29], s47, v30
	v_sub_u32_e32 v0, 0x79, v30
	v_cmp_eq_u32_e32 vcc, 0, v30
	v_cndmask_b32_e64 v0, 0, v0, s[28:29]
	v_mov_b32_e32 v20, 0x78
	v_cndmask_b32_e32 v36, v0, v20, vcc
	v_or_b32_e32 v2, 0x800000, v1
	v_add_u32_e32 v0, 20, v36
	v_cndmask_b32_e32 v20, v2, v1, vcc
	v_lshlrev_b64 v[0:1], v0, -1
	v_add_u32_e32 v2, 19, v36
	v_lshlrev_b64 v[37:38], v2, 1
	v_bfi_b32 v1, v1, 0, 0
	v_bfi_b32 v0, v0, 0, v20
	v_cmp_eq_u64_e64 s[28:29], v[0:1], v[37:38]
	v_lshrrev_b64 v[0:1], v36, v[20:21]
	v_mov_b32_e32 v2, v1
	v_mov_b32_e32 v1, v0
	s_and_saveexec_b64 s[38:39], s[28:29]
; %bb.8199:                             ;   in Loop: Header=BB6_7203 Depth=3
	v_bfe_u32 v1, v0, 20, 1
	v_add_co_u32_e64 v1, s[28:29], v0, v1
	v_add_co_u32_e64 v1, s[28:29], -1, v1
; %bb.8200:                             ;   in Loop: Header=BB6_7203 Depth=3
	s_or_b64 exec, exec, s[38:39]
	v_add_u32_e32 v2, 0xffffff81, v30
	v_mov_b32_e32 v20, 0xffffff82
	v_cndmask_b32_e32 v2, v2, v20, vcc
	v_lshrrev_b32_e32 v20, 23, v0
	v_add3_u32 v36, v36, v2, v20
	v_add_u32_e32 v30, 6, v36
	v_and_b32_e32 v1, 0xfffff, v1
	v_add_u32_e32 v20, v1, v0
	v_cmp_ne_u32_e32 vcc, 0, v30
                                        ; implicit-def: $vgpr0_vgpr1
                                        ; implicit-def: $vgpr2
	s_and_saveexec_b64 s[28:29], vcc
	s_xor_b64 s[28:29], exec, s[28:29]
; %bb.8201:                             ;   in Loop: Header=BB6_7203 Depth=3
	v_cmp_lt_u64_e32 vcc, s[88:89], v[20:21]
	v_add_u32_e32 v0, 7, v36
	v_cndmask_b32_e32 v2, v30, v0, vcc
	v_cndmask_b32_e64 v0, 0, 1, vcc
	v_lshrrev_b64 v[0:1], v0, v[20:21]
; %bb.8202:                             ;   in Loop: Header=BB6_7203 Depth=3
	s_andn2_saveexec_b64 s[28:29], s[28:29]
; %bb.8203:                             ;   in Loop: Header=BB6_7203 Depth=3
	v_mov_b32_e32 v0, v20
	v_bfe_u32 v2, v20, 23, 1
	v_mov_b32_e32 v1, v21
; %bb.8204:                             ;   in Loop: Header=BB6_7203 Depth=3
	s_or_b64 exec, exec, s[28:29]
	v_lshrrev_b64 v[0:1], 20, v[0:1]
	v_cmp_gt_i32_e32 vcc, 16, v2
	v_cndmask_b32_e32 v1, 0, v1, vcc
	v_cndmask_b32_e32 v0, 7, v0, vcc
	v_cmp_eq_u64_e64 s[28:29], 0, v[0:1]
	v_min_i32_e32 v1, 15, v2
	v_lshlrev_b32_e32 v1, 3, v1
	v_cmp_eq_u32_e32 vcc, 0, v2
	v_and_b32_e32 v1, 0xf8, v1
	v_and_or_b32 v0, v0, 7, v1
	s_and_b64 s[28:29], vcc, s[28:29]
	v_cndmask_b32_e64 v0, v0, 0, s[28:29]
	v_or_b32_e32 v48, v0, v28
.LBB6_8205:                             ;   in Loop: Header=BB6_7203 Depth=3
	s_or_b64 exec, exec, s[36:37]
                                        ; implicit-def: $vgpr28
.LBB6_8206:                             ;   in Loop: Header=BB6_7203 Depth=3
	s_andn2_saveexec_b64 s[28:29], s[34:35]
; %bb.8207:                             ;   in Loop: Header=BB6_7203 Depth=3
	v_or_b32_e32 v48, 0x7e, v28
; %bb.8208:                             ;   in Loop: Header=BB6_7203 Depth=3
	s_or_b64 exec, exec, s[28:29]
                                        ; implicit-def: $vgpr0
.LBB6_8209:                             ;   in Loop: Header=BB6_7203 Depth=3
	s_andn2_saveexec_b64 s[28:29], s[30:31]
; %bb.8210:                             ;   in Loop: Header=BB6_7203 Depth=3
	v_or_b32_sdwa v48, v0, s81 dst_sel:DWORD dst_unused:UNUSED_PAD src0_sel:BYTE_3 src1_sel:DWORD
; %bb.8211:                             ;   in Loop: Header=BB6_7203 Depth=3
	s_or_b64 exec, exec, s[28:29]
	v_mov_b32_e32 v20, v59
	v_cmp_ne_u16_sdwa vcc, v59, v21 src0_sel:BYTE_0 src1_sel:DWORD
	v_mov_b32_e32 v1, 0
	v_mov_b32_e32 v0, 0
	s_and_saveexec_b64 s[28:29], vcc
	s_cbranch_execz .LBB6_8217
; %bb.8212:                             ;   in Loop: Header=BB6_7203 Depth=3
	v_cmp_ne_u16_sdwa vcc, v59, s80 src0_sel:BYTE_0 src1_sel:DWORD
	v_bfrev_b32_e32 v0, 1
	s_and_saveexec_b64 s[30:31], vcc
	s_cbranch_execz .LBB6_8216
; %bb.8213:                             ;   in Loop: Header=BB6_7203 Depth=3
	v_and_b32_e32 v2, 0x7f, v59
	v_cmp_ne_u32_e32 vcc, s81, v2
	v_mov_b32_e32 v0, 0x7f800001
	s_and_saveexec_b64 s[34:35], vcc
	s_cbranch_execz .LBB6_8215
; %bb.8214:                             ;   in Loop: Header=BB6_7203 Depth=3
	v_and_b32_e32 v0, 7, v59
	v_ffbh_u32_e32 v0, v0
	v_min_u32_e32 v0, 32, v0
	v_lshrrev_b32_e32 v22, 3, v2
	v_cmp_gt_u32_e32 vcc, 8, v2
	v_subrev_u32_e32 v2, 28, v0
	v_cndmask_b32_e32 v2, 0, v2, vcc
	v_lshlrev_b64 v[36:37], v2, v[20:21]
	v_sub_u32_e32 v0, 29, v0
	v_cndmask_b32_e32 v0, v22, v0, vcc
	v_lshlrev_b32_e32 v2, 20, v36
	v_lshlrev_b32_e32 v22, 24, v20
	v_bfrev_b32_e32 v23, 60
	v_and_b32_e32 v2, 0x700000, v2
	v_and_b32_e32 v22, 0x80000000, v22
	v_lshl_add_u32 v0, v0, 23, v23
	v_or3_b32 v0, v22, v0, v2
.LBB6_8215:                             ;   in Loop: Header=BB6_7203 Depth=3
	s_or_b64 exec, exec, s[34:35]
.LBB6_8216:                             ;   in Loop: Header=BB6_7203 Depth=3
	s_or_b64 exec, exec, s[30:31]
.LBB6_8217:                             ;   in Loop: Header=BB6_7203 Depth=3
	s_or_b64 exec, exec, s[28:29]
	v_cmp_ne_u16_sdwa vcc, v17, v21 src0_sel:BYTE_0 src1_sel:DWORD
	s_and_saveexec_b64 s[28:29], vcc
	s_cbranch_execz .LBB6_8223
; %bb.8218:                             ;   in Loop: Header=BB6_7203 Depth=3
	v_cmp_ne_u16_sdwa vcc, v17, s80 src0_sel:BYTE_0 src1_sel:DWORD
	v_bfrev_b32_e32 v1, 1
	s_and_saveexec_b64 s[30:31], vcc
	s_cbranch_execz .LBB6_8222
; %bb.8219:                             ;   in Loop: Header=BB6_7203 Depth=3
	v_and_b32_e32 v2, 0x7f, v17
	v_cmp_ne_u32_e32 vcc, s81, v2
	v_mov_b32_e32 v1, 0x7f800001
	s_and_saveexec_b64 s[34:35], vcc
	s_cbranch_execz .LBB6_8221
; %bb.8220:                             ;   in Loop: Header=BB6_7203 Depth=3
	v_and_b32_e32 v1, 7, v17
	v_ffbh_u32_e32 v1, v1
	v_min_u32_e32 v1, 32, v1
	v_lshrrev_b32_e32 v22, 3, v2
	v_cmp_gt_u32_e32 vcc, 8, v2
	v_subrev_u32_e32 v2, 28, v1
	v_sub_u32_e32 v1, 29, v1
	v_mov_b32_e32 v36, v17
	v_mov_b32_e32 v37, v21
	v_cndmask_b32_e32 v22, v22, v1, vcc
	v_cndmask_b32_e32 v1, 0, v2, vcc
	v_lshlrev_b64 v[1:2], v1, v[36:37]
	v_lshlrev_b32_e32 v2, 24, v36
	v_lshlrev_b32_e32 v1, 20, v1
	v_bfrev_b32_e32 v23, 60
	v_and_b32_e32 v1, 0x700000, v1
	v_and_b32_e32 v2, 0x80000000, v2
	v_lshl_add_u32 v22, v22, 23, v23
	v_or3_b32 v1, v2, v22, v1
.LBB6_8221:                             ;   in Loop: Header=BB6_7203 Depth=3
	s_or_b64 exec, exec, s[34:35]
.LBB6_8222:                             ;   in Loop: Header=BB6_7203 Depth=3
	s_or_b64 exec, exec, s[30:31]
.LBB6_8223:                             ;   in Loop: Header=BB6_7203 Depth=3
	s_or_b64 exec, exec, s[28:29]
	v_mul_f32_e32 v0, v0, v1
	v_and_b32_e32 v1, 0x7f800000, v0
	v_mov_b32_e32 v2, v21
	v_cmp_ne_u64_e32 vcc, s[62:63], v[1:2]
                                        ; implicit-def: $vgpr49
	s_and_saveexec_b64 s[28:29], vcc
	s_xor_b64 s[30:31], exec, s[28:29]
	s_cbranch_execz .LBB6_8237
; %bb.8224:                             ;   in Loop: Header=BB6_7203 Depth=3
	v_and_b32_e32 v1, 0x7fffffff, v0
	v_mov_b32_e32 v2, v21
	v_cmp_gt_u64_e32 vcc, s[78:79], v[1:2]
	v_and_b32_sdwa v28, v0, s80 dst_sel:DWORD dst_unused:UNUSED_PAD src0_sel:BYTE_3 src1_sel:DWORD
                                        ; implicit-def: $vgpr49
	s_and_saveexec_b64 s[28:29], vcc
	s_xor_b64 s[34:35], exec, s[28:29]
	s_cbranch_execz .LBB6_8234
; %bb.8225:                             ;   in Loop: Header=BB6_7203 Depth=3
	v_mov_b32_e32 v49, 0
	v_cmp_ne_u32_e32 vcc, 0, v0
	s_and_saveexec_b64 s[36:37], vcc
	s_cbranch_execz .LBB6_8233
; %bb.8226:                             ;   in Loop: Header=BB6_7203 Depth=3
	v_bfe_u32 v30, v0, 23, 8
	v_and_b32_e32 v1, 0x7fffff, v0
	v_cmp_gt_u32_e64 s[28:29], s47, v30
	v_sub_u32_e32 v0, 0x79, v30
	v_cmp_eq_u32_e32 vcc, 0, v30
	v_cndmask_b32_e64 v0, 0, v0, s[28:29]
	v_mov_b32_e32 v22, 0x78
	v_or_b32_e32 v2, 0x800000, v1
	v_cndmask_b32_e32 v36, v0, v22, vcc
	v_cndmask_b32_e32 v0, v2, v1, vcc
	v_add_u32_e32 v2, 20, v36
	v_lshlrev_b64 v[37:38], v2, -1
	v_mov_b32_e32 v1, v21
	v_add_u32_e32 v2, 19, v36
	v_bfi_b32 v37, v37, 0, v0
	v_lshlrev_b64 v[49:50], v2, 1
	v_lshrrev_b64 v[0:1], v36, v[0:1]
	v_bfi_b32 v38, v38, 0, 0
	v_cmp_eq_u64_e64 s[28:29], v[37:38], v[49:50]
	v_mov_b32_e32 v2, v1
	v_mov_b32_e32 v1, v0
	s_and_saveexec_b64 s[38:39], s[28:29]
; %bb.8227:                             ;   in Loop: Header=BB6_7203 Depth=3
	v_bfe_u32 v1, v0, 20, 1
	v_add_co_u32_e64 v1, s[28:29], v0, v1
	v_add_co_u32_e64 v1, s[28:29], -1, v1
; %bb.8228:                             ;   in Loop: Header=BB6_7203 Depth=3
	s_or_b64 exec, exec, s[38:39]
	v_add_u32_e32 v2, 0xffffff81, v30
	v_mov_b32_e32 v22, 0xffffff82
	v_cndmask_b32_e32 v2, v2, v22, vcc
	v_lshrrev_b32_e32 v22, 23, v0
	v_add3_u32 v36, v36, v2, v22
	v_add_u32_e32 v30, 6, v36
	v_and_b32_e32 v1, 0xfffff, v1
	v_add_u32_e32 v0, v1, v0
	v_mov_b32_e32 v1, v21
	v_cmp_ne_u32_e32 vcc, 0, v30
                                        ; implicit-def: $vgpr2
	s_and_saveexec_b64 s[28:29], vcc
	s_xor_b64 s[28:29], exec, s[28:29]
; %bb.8229:                             ;   in Loop: Header=BB6_7203 Depth=3
	v_cmp_lt_u64_e32 vcc, s[88:89], v[0:1]
	v_add_u32_e32 v2, 7, v36
	v_cndmask_b32_e64 v22, 0, 1, vcc
	v_lshrrev_b64 v[0:1], v22, v[0:1]
	v_cndmask_b32_e32 v2, v30, v2, vcc
; %bb.8230:                             ;   in Loop: Header=BB6_7203 Depth=3
	s_andn2_saveexec_b64 s[28:29], s[28:29]
; %bb.8231:                             ;   in Loop: Header=BB6_7203 Depth=3
	v_bfe_u32 v2, v0, 23, 1
; %bb.8232:                             ;   in Loop: Header=BB6_7203 Depth=3
	s_or_b64 exec, exec, s[28:29]
	v_lshrrev_b64 v[0:1], 20, v[0:1]
	v_cmp_gt_i32_e32 vcc, 16, v2
	v_cndmask_b32_e32 v1, 0, v1, vcc
	v_cndmask_b32_e32 v0, 7, v0, vcc
	v_cmp_eq_u64_e64 s[28:29], 0, v[0:1]
	v_min_i32_e32 v1, 15, v2
	v_lshlrev_b32_e32 v1, 3, v1
	v_cmp_eq_u32_e32 vcc, 0, v2
	v_and_b32_e32 v1, 0xf8, v1
	v_and_or_b32 v0, v0, 7, v1
	s_and_b64 s[28:29], vcc, s[28:29]
	v_cndmask_b32_e64 v0, v0, 0, s[28:29]
	v_or_b32_e32 v49, v0, v28
.LBB6_8233:                             ;   in Loop: Header=BB6_7203 Depth=3
	s_or_b64 exec, exec, s[36:37]
                                        ; implicit-def: $vgpr28
.LBB6_8234:                             ;   in Loop: Header=BB6_7203 Depth=3
	s_andn2_saveexec_b64 s[28:29], s[34:35]
; %bb.8235:                             ;   in Loop: Header=BB6_7203 Depth=3
	v_or_b32_e32 v49, 0x7e, v28
; %bb.8236:                             ;   in Loop: Header=BB6_7203 Depth=3
	s_or_b64 exec, exec, s[28:29]
                                        ; implicit-def: $vgpr0
.LBB6_8237:                             ;   in Loop: Header=BB6_7203 Depth=3
	s_andn2_saveexec_b64 s[28:29], s[30:31]
; %bb.8238:                             ;   in Loop: Header=BB6_7203 Depth=3
	v_or_b32_sdwa v49, v0, s81 dst_sel:DWORD dst_unused:UNUSED_PAD src0_sel:BYTE_3 src1_sel:DWORD
; %bb.8239:                             ;   in Loop: Header=BB6_7203 Depth=3
	s_or_b64 exec, exec, s[28:29]
	v_lshrrev_b16_e32 v0, 8, v20
	v_cmp_ne_u16_e32 vcc, 0, v0
	v_mov_b32_e32 v1, 0
	v_mov_b32_e32 v2, 0
	s_and_saveexec_b64 s[28:29], vcc
	s_cbranch_execz .LBB6_8245
; %bb.8240:                             ;   in Loop: Header=BB6_7203 Depth=3
	v_cmp_ne_u16_e32 vcc, s80, v0
	v_bfrev_b32_e32 v2, 1
	s_and_saveexec_b64 s[30:31], vcc
	s_cbranch_execz .LBB6_8244
; %bb.8241:                             ;   in Loop: Header=BB6_7203 Depth=3
	v_and_b32_e32 v28, 0x7f, v0
	v_cmp_ne_u32_e32 vcc, s81, v28
	v_mov_b32_e32 v2, 0x7f800001
	s_and_saveexec_b64 s[34:35], vcc
	s_cbranch_execz .LBB6_8243
; %bb.8242:                             ;   in Loop: Header=BB6_7203 Depth=3
	v_and_b32_e32 v2, 7, v0
	v_ffbh_u32_e32 v23, v2
	v_min_u32_e32 v23, 32, v23
	v_lshrrev_b32_e32 v22, 3, v28
	v_cmp_gt_u32_e32 vcc, 8, v28
	v_subrev_u32_e32 v28, 28, v23
	v_lshlrev_b64 v[36:37], v28, v[0:1]
	v_sub_u32_e32 v0, 29, v23
	v_and_b32_e32 v23, 7, v36
	v_cndmask_b32_e32 v0, v22, v0, vcc
	v_cndmask_b32_e32 v2, v2, v23, vcc
	v_lshlrev_b32_e32 v20, 16, v20
	v_bfrev_b32_e32 v22, 60
	v_lshlrev_b32_e32 v2, 20, v2
	v_and_b32_e32 v20, 0x80000000, v20
	v_lshl_add_u32 v0, v0, 23, v22
	v_or3_b32 v2, v20, v0, v2
.LBB6_8243:                             ;   in Loop: Header=BB6_7203 Depth=3
	s_or_b64 exec, exec, s[34:35]
.LBB6_8244:                             ;   in Loop: Header=BB6_7203 Depth=3
	s_or_b64 exec, exec, s[30:31]
.LBB6_8245:                             ;   in Loop: Header=BB6_7203 Depth=3
	s_or_b64 exec, exec, s[28:29]
	v_lshrrev_b16_e32 v0, 8, v17
	v_cmp_ne_u16_e32 vcc, 0, v0
	s_and_saveexec_b64 s[28:29], vcc
	s_cbranch_execz .LBB6_8251
; %bb.8246:                             ;   in Loop: Header=BB6_7203 Depth=3
	v_cmp_ne_u16_e32 vcc, s80, v0
	v_bfrev_b32_e32 v1, 1
	s_and_saveexec_b64 s[30:31], vcc
	s_cbranch_execz .LBB6_8250
; %bb.8247:                             ;   in Loop: Header=BB6_7203 Depth=3
	v_and_b32_e32 v20, 0x7f, v0
	v_cmp_ne_u32_e32 vcc, s81, v20
	v_mov_b32_e32 v1, 0x7f800001
	s_and_saveexec_b64 s[34:35], vcc
	s_cbranch_execz .LBB6_8249
; %bb.8248:                             ;   in Loop: Header=BB6_7203 Depth=3
	v_and_b32_e32 v22, 7, v0
	v_ffbh_u32_e32 v1, v22
	v_lshrrev_b32_e32 v23, 3, v20
	v_cmp_gt_u32_e32 vcc, 8, v20
	v_min_u32_e32 v20, 32, v1
	v_subrev_u32_e32 v1, 28, v20
	v_lshlrev_b64 v[0:1], v1, v[0:1]
	v_sub_u32_e32 v1, 29, v20
	v_and_b32_e32 v0, 7, v0
	v_cndmask_b32_e32 v1, v23, v1, vcc
	v_cndmask_b32_e32 v0, v22, v0, vcc
	v_lshlrev_b32_e32 v20, 16, v17
	v_bfrev_b32_e32 v22, 60
	v_lshlrev_b32_e32 v0, 20, v0
	v_and_b32_e32 v20, 0x80000000, v20
	v_lshl_add_u32 v1, v1, 23, v22
	v_or3_b32 v1, v20, v1, v0
.LBB6_8249:                             ;   in Loop: Header=BB6_7203 Depth=3
	s_or_b64 exec, exec, s[34:35]
.LBB6_8250:                             ;   in Loop: Header=BB6_7203 Depth=3
	s_or_b64 exec, exec, s[30:31]
.LBB6_8251:                             ;   in Loop: Header=BB6_7203 Depth=3
	s_or_b64 exec, exec, s[28:29]
	v_mul_f32_e32 v0, v2, v1
	v_and_b32_e32 v20, 0x7f800000, v0
	v_cmp_ne_u64_e32 vcc, s[62:63], v[20:21]
                                        ; implicit-def: $vgpr40
	s_and_saveexec_b64 s[28:29], vcc
	s_xor_b64 s[30:31], exec, s[28:29]
	s_cbranch_execz .LBB6_8265
; %bb.8252:                             ;   in Loop: Header=BB6_7203 Depth=3
	v_and_b32_e32 v20, 0x7fffffff, v0
	v_cmp_gt_u64_e32 vcc, s[78:79], v[20:21]
	v_and_b32_sdwa v28, v0, s80 dst_sel:DWORD dst_unused:UNUSED_PAD src0_sel:BYTE_3 src1_sel:DWORD
                                        ; implicit-def: $vgpr40
	s_and_saveexec_b64 s[28:29], vcc
	s_xor_b64 s[34:35], exec, s[28:29]
	s_cbranch_execz .LBB6_8262
; %bb.8253:                             ;   in Loop: Header=BB6_7203 Depth=3
	v_mov_b32_e32 v40, 0
	v_cmp_ne_u32_e32 vcc, 0, v0
	s_and_saveexec_b64 s[36:37], vcc
	s_cbranch_execz .LBB6_8261
; %bb.8254:                             ;   in Loop: Header=BB6_7203 Depth=3
	v_bfe_u32 v30, v0, 23, 8
	v_and_b32_e32 v1, 0x7fffff, v0
	v_cmp_gt_u32_e64 s[28:29], s47, v30
	v_sub_u32_e32 v0, 0x79, v30
	v_cmp_eq_u32_e32 vcc, 0, v30
	v_cndmask_b32_e64 v0, 0, v0, s[28:29]
	v_mov_b32_e32 v20, 0x78
	v_cndmask_b32_e32 v36, v0, v20, vcc
	v_or_b32_e32 v2, 0x800000, v1
	v_add_u32_e32 v0, 20, v36
	v_cndmask_b32_e32 v20, v2, v1, vcc
	v_lshlrev_b64 v[0:1], v0, -1
	v_add_u32_e32 v2, 19, v36
	v_lshlrev_b64 v[37:38], v2, 1
	v_bfi_b32 v1, v1, 0, 0
	v_bfi_b32 v0, v0, 0, v20
	v_cmp_eq_u64_e64 s[28:29], v[0:1], v[37:38]
	v_lshrrev_b64 v[0:1], v36, v[20:21]
	v_mov_b32_e32 v2, v1
	v_mov_b32_e32 v1, v0
	s_and_saveexec_b64 s[38:39], s[28:29]
; %bb.8255:                             ;   in Loop: Header=BB6_7203 Depth=3
	v_bfe_u32 v1, v0, 20, 1
	v_add_co_u32_e64 v1, s[28:29], v0, v1
	v_add_co_u32_e64 v1, s[28:29], -1, v1
; %bb.8256:                             ;   in Loop: Header=BB6_7203 Depth=3
	s_or_b64 exec, exec, s[38:39]
	v_add_u32_e32 v2, 0xffffff81, v30
	v_mov_b32_e32 v20, 0xffffff82
	v_cndmask_b32_e32 v2, v2, v20, vcc
	v_lshrrev_b32_e32 v20, 23, v0
	v_add3_u32 v36, v36, v2, v20
	v_add_u32_e32 v30, 6, v36
	v_and_b32_e32 v1, 0xfffff, v1
	v_add_u32_e32 v20, v1, v0
	v_cmp_ne_u32_e32 vcc, 0, v30
                                        ; implicit-def: $vgpr0_vgpr1
                                        ; implicit-def: $vgpr2
	s_and_saveexec_b64 s[28:29], vcc
	s_xor_b64 s[28:29], exec, s[28:29]
; %bb.8257:                             ;   in Loop: Header=BB6_7203 Depth=3
	v_cmp_lt_u64_e32 vcc, s[88:89], v[20:21]
	v_add_u32_e32 v0, 7, v36
	v_cndmask_b32_e32 v2, v30, v0, vcc
	v_cndmask_b32_e64 v0, 0, 1, vcc
	v_lshrrev_b64 v[0:1], v0, v[20:21]
; %bb.8258:                             ;   in Loop: Header=BB6_7203 Depth=3
	s_andn2_saveexec_b64 s[28:29], s[28:29]
; %bb.8259:                             ;   in Loop: Header=BB6_7203 Depth=3
	v_mov_b32_e32 v0, v20
	v_bfe_u32 v2, v20, 23, 1
	v_mov_b32_e32 v1, v21
; %bb.8260:                             ;   in Loop: Header=BB6_7203 Depth=3
	s_or_b64 exec, exec, s[28:29]
	v_lshrrev_b64 v[0:1], 20, v[0:1]
	v_cmp_gt_i32_e32 vcc, 16, v2
	v_cndmask_b32_e32 v1, 0, v1, vcc
	v_cndmask_b32_e32 v0, 7, v0, vcc
	v_cmp_eq_u64_e64 s[28:29], 0, v[0:1]
	v_min_i32_e32 v1, 15, v2
	v_lshlrev_b32_e32 v1, 3, v1
	v_cmp_eq_u32_e32 vcc, 0, v2
	v_and_b32_e32 v1, 0xf8, v1
	v_and_or_b32 v0, v0, 7, v1
	s_and_b64 s[28:29], vcc, s[28:29]
	v_cndmask_b32_e64 v0, v0, 0, s[28:29]
	v_or_b32_e32 v40, v0, v28
.LBB6_8261:                             ;   in Loop: Header=BB6_7203 Depth=3
	s_or_b64 exec, exec, s[36:37]
                                        ; implicit-def: $vgpr28
.LBB6_8262:                             ;   in Loop: Header=BB6_7203 Depth=3
	s_andn2_saveexec_b64 s[28:29], s[34:35]
; %bb.8263:                             ;   in Loop: Header=BB6_7203 Depth=3
	v_or_b32_e32 v40, 0x7e, v28
; %bb.8264:                             ;   in Loop: Header=BB6_7203 Depth=3
	s_or_b64 exec, exec, s[28:29]
                                        ; implicit-def: $vgpr0
.LBB6_8265:                             ;   in Loop: Header=BB6_7203 Depth=3
	s_andn2_saveexec_b64 s[28:29], s[30:31]
; %bb.8266:                             ;   in Loop: Header=BB6_7203 Depth=3
	v_or_b32_sdwa v40, v0, s81 dst_sel:DWORD dst_unused:UNUSED_PAD src0_sel:BYTE_3 src1_sel:DWORD
; %bb.8267:                             ;   in Loop: Header=BB6_7203 Depth=3
	s_or_b64 exec, exec, s[28:29]
	v_lshrrev_b32_e32 v0, 16, v59
	v_cmp_ne_u16_sdwa vcc, v0, v21 src0_sel:BYTE_0 src1_sel:DWORD
	v_mov_b32_e32 v1, 0
	v_mov_b32_e32 v2, 0
	s_and_saveexec_b64 s[28:29], vcc
	s_cbranch_execz .LBB6_8273
; %bb.8268:                             ;   in Loop: Header=BB6_7203 Depth=3
	v_cmp_ne_u16_sdwa vcc, v0, s80 src0_sel:BYTE_0 src1_sel:DWORD
	v_bfrev_b32_e32 v2, 1
	s_and_saveexec_b64 s[30:31], vcc
	s_cbranch_execz .LBB6_8272
; %bb.8269:                             ;   in Loop: Header=BB6_7203 Depth=3
	v_bfe_u32 v20, v59, 16, 7
	v_cmp_ne_u32_e32 vcc, s81, v20
	v_mov_b32_e32 v2, 0x7f800001
	s_and_saveexec_b64 s[34:35], vcc
	s_cbranch_execz .LBB6_8271
; %bb.8270:                             ;   in Loop: Header=BB6_7203 Depth=3
	v_and_b32_e32 v2, 7, v0
	v_lshrrev_b32_e32 v22, 3, v20
	v_cmp_gt_u32_e32 vcc, 8, v20
	v_ffbh_u32_e32 v20, v2
	v_min_u32_e32 v20, 32, v20
	v_subrev_u32_e32 v23, 28, v20
	v_lshlrev_b64 v[36:37], v23, v[0:1]
	v_sub_u32_e32 v20, 29, v20
	v_and_b32_e32 v23, 7, v36
	v_cndmask_b32_e32 v20, v22, v20, vcc
	v_cndmask_b32_e32 v2, v2, v23, vcc
	v_lshlrev_b32_e32 v0, 24, v0
	v_bfrev_b32_e32 v22, 60
	v_lshlrev_b32_e32 v2, 20, v2
	v_and_b32_e32 v0, 0x80000000, v0
	v_lshl_add_u32 v20, v20, 23, v22
	v_or3_b32 v2, v0, v20, v2
.LBB6_8271:                             ;   in Loop: Header=BB6_7203 Depth=3
	s_or_b64 exec, exec, s[34:35]
.LBB6_8272:                             ;   in Loop: Header=BB6_7203 Depth=3
	s_or_b64 exec, exec, s[30:31]
.LBB6_8273:                             ;   in Loop: Header=BB6_7203 Depth=3
	s_or_b64 exec, exec, s[28:29]
	v_lshrrev_b32_e32 v0, 16, v17
	v_cmp_ne_u16_sdwa vcc, v0, v21 src0_sel:BYTE_0 src1_sel:DWORD
	s_and_saveexec_b64 s[28:29], vcc
	s_cbranch_execz .LBB6_8279
; %bb.8274:                             ;   in Loop: Header=BB6_7203 Depth=3
	v_cmp_ne_u16_sdwa vcc, v0, s80 src0_sel:BYTE_0 src1_sel:DWORD
	v_bfrev_b32_e32 v1, 1
	s_and_saveexec_b64 s[30:31], vcc
	s_cbranch_execz .LBB6_8278
; %bb.8275:                             ;   in Loop: Header=BB6_7203 Depth=3
	v_bfe_u32 v20, v17, 16, 7
	v_cmp_ne_u32_e32 vcc, s81, v20
	v_mov_b32_e32 v1, 0x7f800001
	s_and_saveexec_b64 s[34:35], vcc
	s_cbranch_execz .LBB6_8277
; %bb.8276:                             ;   in Loop: Header=BB6_7203 Depth=3
	v_and_b32_e32 v22, 7, v0
	v_ffbh_u32_e32 v1, v22
	v_lshrrev_b32_e32 v23, 3, v20
	v_cmp_gt_u32_e32 vcc, 8, v20
	v_min_u32_e32 v20, 32, v1
	v_subrev_u32_e32 v1, 28, v20
	v_lshlrev_b64 v[0:1], v1, v[0:1]
	v_sub_u32_e32 v1, 29, v20
	v_and_b32_e32 v0, 7, v0
	v_cndmask_b32_e32 v1, v23, v1, vcc
	v_cndmask_b32_e32 v0, v22, v0, vcc
	v_lshlrev_b32_e32 v20, 8, v17
	v_bfrev_b32_e32 v22, 60
	v_lshlrev_b32_e32 v0, 20, v0
	v_and_b32_e32 v20, 0x80000000, v20
	v_lshl_add_u32 v1, v1, 23, v22
	v_or3_b32 v1, v20, v1, v0
.LBB6_8277:                             ;   in Loop: Header=BB6_7203 Depth=3
	s_or_b64 exec, exec, s[34:35]
.LBB6_8278:                             ;   in Loop: Header=BB6_7203 Depth=3
	s_or_b64 exec, exec, s[30:31]
.LBB6_8279:                             ;   in Loop: Header=BB6_7203 Depth=3
	s_or_b64 exec, exec, s[28:29]
	v_mul_f32_e32 v0, v2, v1
	v_and_b32_e32 v20, 0x7f800000, v0
	v_cmp_ne_u64_e32 vcc, s[62:63], v[20:21]
                                        ; implicit-def: $vgpr41
	s_and_saveexec_b64 s[28:29], vcc
	s_xor_b64 s[30:31], exec, s[28:29]
	s_cbranch_execz .LBB6_8293
; %bb.8280:                             ;   in Loop: Header=BB6_7203 Depth=3
	v_and_b32_e32 v20, 0x7fffffff, v0
	v_cmp_gt_u64_e32 vcc, s[78:79], v[20:21]
	v_and_b32_sdwa v28, v0, s80 dst_sel:DWORD dst_unused:UNUSED_PAD src0_sel:BYTE_3 src1_sel:DWORD
                                        ; implicit-def: $vgpr41
	s_and_saveexec_b64 s[28:29], vcc
	s_xor_b64 s[34:35], exec, s[28:29]
	s_cbranch_execz .LBB6_8290
; %bb.8281:                             ;   in Loop: Header=BB6_7203 Depth=3
	v_mov_b32_e32 v41, 0
	v_cmp_ne_u32_e32 vcc, 0, v0
	s_and_saveexec_b64 s[36:37], vcc
	s_cbranch_execz .LBB6_8289
; %bb.8282:                             ;   in Loop: Header=BB6_7203 Depth=3
	v_bfe_u32 v30, v0, 23, 8
	v_and_b32_e32 v1, 0x7fffff, v0
	v_cmp_gt_u32_e64 s[28:29], s47, v30
	v_sub_u32_e32 v0, 0x79, v30
	v_cmp_eq_u32_e32 vcc, 0, v30
	v_cndmask_b32_e64 v0, 0, v0, s[28:29]
	v_mov_b32_e32 v20, 0x78
	v_cndmask_b32_e32 v36, v0, v20, vcc
	v_or_b32_e32 v2, 0x800000, v1
	v_add_u32_e32 v0, 20, v36
	v_cndmask_b32_e32 v20, v2, v1, vcc
	v_lshlrev_b64 v[0:1], v0, -1
	v_add_u32_e32 v2, 19, v36
	v_lshlrev_b64 v[37:38], v2, 1
	v_bfi_b32 v1, v1, 0, 0
	v_bfi_b32 v0, v0, 0, v20
	v_cmp_eq_u64_e64 s[28:29], v[0:1], v[37:38]
	v_lshrrev_b64 v[0:1], v36, v[20:21]
	v_mov_b32_e32 v2, v1
	v_mov_b32_e32 v1, v0
	s_and_saveexec_b64 s[38:39], s[28:29]
; %bb.8283:                             ;   in Loop: Header=BB6_7203 Depth=3
	v_bfe_u32 v1, v0, 20, 1
	v_add_co_u32_e64 v1, s[28:29], v0, v1
	v_add_co_u32_e64 v1, s[28:29], -1, v1
; %bb.8284:                             ;   in Loop: Header=BB6_7203 Depth=3
	s_or_b64 exec, exec, s[38:39]
	v_add_u32_e32 v2, 0xffffff81, v30
	v_mov_b32_e32 v20, 0xffffff82
	v_cndmask_b32_e32 v2, v2, v20, vcc
	v_lshrrev_b32_e32 v20, 23, v0
	v_add3_u32 v36, v36, v2, v20
	v_add_u32_e32 v30, 6, v36
	v_and_b32_e32 v1, 0xfffff, v1
	v_add_u32_e32 v20, v1, v0
	v_cmp_ne_u32_e32 vcc, 0, v30
                                        ; implicit-def: $vgpr0_vgpr1
                                        ; implicit-def: $vgpr2
	s_and_saveexec_b64 s[28:29], vcc
	s_xor_b64 s[28:29], exec, s[28:29]
; %bb.8285:                             ;   in Loop: Header=BB6_7203 Depth=3
	v_cmp_lt_u64_e32 vcc, s[88:89], v[20:21]
	v_add_u32_e32 v0, 7, v36
	v_cndmask_b32_e32 v2, v30, v0, vcc
	v_cndmask_b32_e64 v0, 0, 1, vcc
	v_lshrrev_b64 v[0:1], v0, v[20:21]
; %bb.8286:                             ;   in Loop: Header=BB6_7203 Depth=3
	s_andn2_saveexec_b64 s[28:29], s[28:29]
; %bb.8287:                             ;   in Loop: Header=BB6_7203 Depth=3
	v_mov_b32_e32 v0, v20
	v_bfe_u32 v2, v20, 23, 1
	v_mov_b32_e32 v1, v21
; %bb.8288:                             ;   in Loop: Header=BB6_7203 Depth=3
	s_or_b64 exec, exec, s[28:29]
	v_lshrrev_b64 v[0:1], 20, v[0:1]
	v_cmp_gt_i32_e32 vcc, 16, v2
	v_cndmask_b32_e32 v1, 0, v1, vcc
	v_cndmask_b32_e32 v0, 7, v0, vcc
	v_cmp_eq_u64_e64 s[28:29], 0, v[0:1]
	v_min_i32_e32 v1, 15, v2
	v_lshlrev_b32_e32 v1, 3, v1
	v_cmp_eq_u32_e32 vcc, 0, v2
	v_and_b32_e32 v1, 0xf8, v1
	v_and_or_b32 v0, v0, 7, v1
	s_and_b64 s[28:29], vcc, s[28:29]
	v_cndmask_b32_e64 v0, v0, 0, s[28:29]
	v_or_b32_e32 v41, v0, v28
.LBB6_8289:                             ;   in Loop: Header=BB6_7203 Depth=3
	s_or_b64 exec, exec, s[36:37]
                                        ; implicit-def: $vgpr28
.LBB6_8290:                             ;   in Loop: Header=BB6_7203 Depth=3
	s_andn2_saveexec_b64 s[28:29], s[34:35]
; %bb.8291:                             ;   in Loop: Header=BB6_7203 Depth=3
	v_or_b32_e32 v41, 0x7e, v28
; %bb.8292:                             ;   in Loop: Header=BB6_7203 Depth=3
	s_or_b64 exec, exec, s[28:29]
                                        ; implicit-def: $vgpr0
.LBB6_8293:                             ;   in Loop: Header=BB6_7203 Depth=3
	s_andn2_saveexec_b64 s[28:29], s[30:31]
; %bb.8294:                             ;   in Loop: Header=BB6_7203 Depth=3
	v_or_b32_sdwa v41, v0, s81 dst_sel:DWORD dst_unused:UNUSED_PAD src0_sel:BYTE_3 src1_sel:DWORD
; %bb.8295:                             ;   in Loop: Header=BB6_7203 Depth=3
	s_or_b64 exec, exec, s[28:29]
	v_cmp_lt_u64_e32 vcc, s[56:57], v[58:59]
	v_mov_b32_e32 v1, 0
	v_mov_b32_e32 v2, 0
	s_and_saveexec_b64 s[28:29], vcc
	s_cbranch_execz .LBB6_8301
; %bb.8296:                             ;   in Loop: Header=BB6_7203 Depth=3
	v_lshrrev_b32_e32 v0, 24, v59
	v_cmp_ne_u32_e32 vcc, s80, v0
	v_bfrev_b32_e32 v2, 1
	s_and_saveexec_b64 s[30:31], vcc
	s_cbranch_execz .LBB6_8300
; %bb.8297:                             ;   in Loop: Header=BB6_7203 Depth=3
	v_bfe_u32 v20, v59, 24, 7
	v_cmp_ne_u32_e32 vcc, s81, v20
	v_mov_b32_e32 v2, 0x7f800001
	s_and_saveexec_b64 s[34:35], vcc
	s_cbranch_execz .LBB6_8299
; %bb.8298:                             ;   in Loop: Header=BB6_7203 Depth=3
	v_and_b32_e32 v2, 7, v0
	v_lshrrev_b32_e32 v22, 3, v20
	v_cmp_gt_u32_e32 vcc, 8, v20
	v_ffbh_u32_e32 v20, v2
	v_min_u32_e32 v20, 32, v20
	v_subrev_u32_e32 v23, 28, v20
	v_lshlrev_b64 v[36:37], v23, v[0:1]
	v_sub_u32_e32 v20, 29, v20
	v_and_b32_e32 v23, 7, v36
	v_cndmask_b32_e32 v20, v22, v20, vcc
	v_cndmask_b32_e32 v2, v2, v23, vcc
	v_lshlrev_b32_e32 v0, 24, v0
	v_bfrev_b32_e32 v22, 60
	v_lshlrev_b32_e32 v2, 20, v2
	v_and_b32_e32 v0, 0x80000000, v0
	v_lshl_add_u32 v20, v20, 23, v22
	v_or3_b32 v2, v0, v20, v2
.LBB6_8299:                             ;   in Loop: Header=BB6_7203 Depth=3
	s_or_b64 exec, exec, s[34:35]
.LBB6_8300:                             ;   in Loop: Header=BB6_7203 Depth=3
	s_or_b64 exec, exec, s[30:31]
.LBB6_8301:                             ;   in Loop: Header=BB6_7203 Depth=3
	s_or_b64 exec, exec, s[28:29]
	v_cmp_lt_u64_e32 vcc, s[56:57], v[16:17]
	s_and_saveexec_b64 s[28:29], vcc
	s_cbranch_execz .LBB6_8307
; %bb.8302:                             ;   in Loop: Header=BB6_7203 Depth=3
	v_lshrrev_b32_e32 v0, 24, v17
	v_cmp_ne_u32_e32 vcc, s80, v0
	v_bfrev_b32_e32 v1, 1
	s_and_saveexec_b64 s[30:31], vcc
	s_cbranch_execz .LBB6_8306
; %bb.8303:                             ;   in Loop: Header=BB6_7203 Depth=3
	v_bfe_u32 v16, v17, 24, 7
	v_cmp_ne_u32_e32 vcc, s81, v16
	v_mov_b32_e32 v1, 0x7f800001
	s_and_saveexec_b64 s[34:35], vcc
	s_cbranch_execz .LBB6_8305
; %bb.8304:                             ;   in Loop: Header=BB6_7203 Depth=3
	v_and_b32_e32 v1, 7, v0
	v_lshrrev_b32_e32 v20, 3, v16
	v_cmp_gt_u32_e32 vcc, 8, v16
	v_ffbh_u32_e32 v16, v1
	v_min_u32_e32 v22, 32, v16
	v_subrev_u32_e32 v16, 28, v22
	v_lshlrev_b64 v[16:17], v16, v[0:1]
	v_sub_u32_e32 v17, 29, v22
	v_and_b32_e32 v16, 7, v16
	v_cndmask_b32_e32 v17, v20, v17, vcc
	v_cndmask_b32_e32 v1, v1, v16, vcc
	v_lshlrev_b32_e32 v0, 24, v0
	v_bfrev_b32_e32 v16, 60
	v_lshlrev_b32_e32 v1, 20, v1
	v_and_b32_e32 v0, 0x80000000, v0
	v_lshl_add_u32 v16, v17, 23, v16
	v_or3_b32 v1, v0, v16, v1
.LBB6_8305:                             ;   in Loop: Header=BB6_7203 Depth=3
	s_or_b64 exec, exec, s[34:35]
.LBB6_8306:                             ;   in Loop: Header=BB6_7203 Depth=3
	s_or_b64 exec, exec, s[30:31]
.LBB6_8307:                             ;   in Loop: Header=BB6_7203 Depth=3
	s_or_b64 exec, exec, s[28:29]
	v_mul_f32_e32 v0, v2, v1
	v_and_b32_e32 v20, 0x7f800000, v0
	v_cmp_ne_u64_e32 vcc, s[62:63], v[20:21]
                                        ; implicit-def: $vgpr16
	s_and_saveexec_b64 s[28:29], vcc
	s_xor_b64 s[30:31], exec, s[28:29]
	s_cbranch_execz .LBB6_8321
; %bb.8308:                             ;   in Loop: Header=BB6_7203 Depth=3
	v_and_b32_e32 v20, 0x7fffffff, v0
	v_cmp_gt_u64_e32 vcc, s[78:79], v[20:21]
	v_and_b32_sdwa v17, v0, s80 dst_sel:DWORD dst_unused:UNUSED_PAD src0_sel:BYTE_3 src1_sel:DWORD
                                        ; implicit-def: $vgpr16
	s_and_saveexec_b64 s[28:29], vcc
	s_xor_b64 s[34:35], exec, s[28:29]
	s_cbranch_execz .LBB6_8318
; %bb.8309:                             ;   in Loop: Header=BB6_7203 Depth=3
	v_mov_b32_e32 v16, 0
	v_cmp_ne_u32_e32 vcc, 0, v0
	s_and_saveexec_b64 s[36:37], vcc
	s_cbranch_execz .LBB6_8317
; %bb.8310:                             ;   in Loop: Header=BB6_7203 Depth=3
	v_bfe_u32 v16, v0, 23, 8
	v_and_b32_e32 v1, 0x7fffff, v0
	v_cmp_gt_u32_e64 s[28:29], s47, v16
	v_sub_u32_e32 v0, 0x79, v16
	v_cmp_eq_u32_e32 vcc, 0, v16
	v_cndmask_b32_e64 v0, 0, v0, s[28:29]
	v_mov_b32_e32 v20, 0x78
	v_cndmask_b32_e32 v28, v0, v20, vcc
	v_or_b32_e32 v2, 0x800000, v1
	v_add_u32_e32 v0, 20, v28
	v_cndmask_b32_e32 v20, v2, v1, vcc
	v_lshlrev_b64 v[0:1], v0, -1
	v_add_u32_e32 v2, 19, v28
	v_lshlrev_b64 v[36:37], v2, 1
	v_bfi_b32 v1, v1, 0, 0
	v_bfi_b32 v0, v0, 0, v20
	v_cmp_eq_u64_e64 s[28:29], v[0:1], v[36:37]
	v_lshrrev_b64 v[0:1], v28, v[20:21]
	v_mov_b32_e32 v2, v1
	v_mov_b32_e32 v1, v0
	s_and_saveexec_b64 s[38:39], s[28:29]
; %bb.8311:                             ;   in Loop: Header=BB6_7203 Depth=3
	v_bfe_u32 v1, v0, 20, 1
	v_add_co_u32_e64 v1, s[28:29], v0, v1
	v_add_co_u32_e64 v1, s[28:29], -1, v1
; %bb.8312:                             ;   in Loop: Header=BB6_7203 Depth=3
	s_or_b64 exec, exec, s[38:39]
	v_add_u32_e32 v2, 0xffffff81, v16
	v_mov_b32_e32 v16, 0xffffff82
	v_cndmask_b32_e32 v2, v2, v16, vcc
	v_lshrrev_b32_e32 v16, 23, v0
	v_add3_u32 v28, v28, v2, v16
	v_add_u32_e32 v16, 6, v28
	v_and_b32_e32 v1, 0xfffff, v1
	v_add_u32_e32 v20, v1, v0
	v_cmp_ne_u32_e32 vcc, 0, v16
                                        ; implicit-def: $vgpr0_vgpr1
                                        ; implicit-def: $vgpr2
	s_and_saveexec_b64 s[28:29], vcc
	s_xor_b64 s[28:29], exec, s[28:29]
; %bb.8313:                             ;   in Loop: Header=BB6_7203 Depth=3
	v_cmp_lt_u64_e32 vcc, s[88:89], v[20:21]
	v_add_u32_e32 v0, 7, v28
	v_cndmask_b32_e32 v2, v16, v0, vcc
	v_cndmask_b32_e64 v0, 0, 1, vcc
	v_lshrrev_b64 v[0:1], v0, v[20:21]
; %bb.8314:                             ;   in Loop: Header=BB6_7203 Depth=3
	s_andn2_saveexec_b64 s[28:29], s[28:29]
; %bb.8315:                             ;   in Loop: Header=BB6_7203 Depth=3
	v_mov_b32_e32 v0, v20
	v_bfe_u32 v2, v20, 23, 1
	v_mov_b32_e32 v1, v21
; %bb.8316:                             ;   in Loop: Header=BB6_7203 Depth=3
	s_or_b64 exec, exec, s[28:29]
	v_lshrrev_b64 v[0:1], 20, v[0:1]
	v_cmp_gt_i32_e32 vcc, 16, v2
	v_cndmask_b32_e32 v1, 0, v1, vcc
	v_cndmask_b32_e32 v0, 7, v0, vcc
	v_cmp_eq_u64_e64 s[28:29], 0, v[0:1]
	v_min_i32_e32 v1, 15, v2
	v_lshlrev_b32_e32 v1, 3, v1
	v_cmp_eq_u32_e32 vcc, 0, v2
	v_and_b32_e32 v1, 0xf8, v1
	v_and_or_b32 v0, v0, 7, v1
	s_and_b64 s[28:29], vcc, s[28:29]
	v_cndmask_b32_e64 v0, v0, 0, s[28:29]
	v_or_b32_e32 v16, v0, v17
.LBB6_8317:                             ;   in Loop: Header=BB6_7203 Depth=3
	s_or_b64 exec, exec, s[36:37]
                                        ; implicit-def: $vgpr17
.LBB6_8318:                             ;   in Loop: Header=BB6_7203 Depth=3
	s_andn2_saveexec_b64 s[28:29], s[34:35]
; %bb.8319:                             ;   in Loop: Header=BB6_7203 Depth=3
	v_or_b32_e32 v16, 0x7e, v17
; %bb.8320:                             ;   in Loop: Header=BB6_7203 Depth=3
	s_or_b64 exec, exec, s[28:29]
                                        ; implicit-def: $vgpr0
.LBB6_8321:                             ;   in Loop: Header=BB6_7203 Depth=3
	s_andn2_saveexec_b64 s[28:29], s[30:31]
; %bb.8322:                             ;   in Loop: Header=BB6_7203 Depth=3
	v_or_b32_sdwa v16, v0, s81 dst_sel:DWORD dst_unused:UNUSED_PAD src0_sel:BYTE_3 src1_sel:DWORD
; %bb.8323:                             ;   in Loop: Header=BB6_7203 Depth=3
	s_or_b64 exec, exec, s[28:29]
	v_cmp_ne_u16_sdwa vcc, v60, v21 src0_sel:BYTE_0 src1_sel:DWORD
	v_mov_b32_e32 v0, 0
	v_mov_b32_e32 v1, 0
	s_and_saveexec_b64 s[28:29], vcc
	s_cbranch_execz .LBB6_8329
; %bb.8324:                             ;   in Loop: Header=BB6_7203 Depth=3
	v_cmp_ne_u16_sdwa vcc, v60, s80 src0_sel:BYTE_0 src1_sel:DWORD
	v_bfrev_b32_e32 v1, 1
	s_and_saveexec_b64 s[30:31], vcc
	s_cbranch_execz .LBB6_8328
; %bb.8325:                             ;   in Loop: Header=BB6_7203 Depth=3
	v_and_b32_e32 v2, 0x7f, v60
	v_cmp_ne_u32_e32 vcc, s81, v2
	v_mov_b32_e32 v1, 0x7f800001
	s_and_saveexec_b64 s[34:35], vcc
	s_cbranch_execz .LBB6_8327
; %bb.8326:                             ;   in Loop: Header=BB6_7203 Depth=3
	v_and_b32_e32 v1, 7, v60
	v_ffbh_u32_e32 v1, v1
	v_min_u32_e32 v1, 32, v1
	v_lshrrev_b32_e32 v17, 3, v2
	v_cmp_gt_u32_e32 vcc, 8, v2
	v_subrev_u32_e32 v2, 28, v1
	v_sub_u32_e32 v1, 29, v1
	v_cndmask_b32_e32 v17, v17, v1, vcc
	v_cndmask_b32_e32 v1, 0, v2, vcc
	v_lshlrev_b64 v[1:2], v1, v[60:61]
	v_lshlrev_b32_e32 v2, 24, v60
	v_lshlrev_b32_e32 v1, 20, v1
	v_bfrev_b32_e32 v20, 60
	v_and_b32_e32 v1, 0x700000, v1
	v_and_b32_e32 v2, 0x80000000, v2
	v_lshl_add_u32 v17, v17, 23, v20
	v_or3_b32 v1, v2, v17, v1
.LBB6_8327:                             ;   in Loop: Header=BB6_7203 Depth=3
	s_or_b64 exec, exec, s[34:35]
.LBB6_8328:                             ;   in Loop: Header=BB6_7203 Depth=3
	s_or_b64 exec, exec, s[30:31]
.LBB6_8329:                             ;   in Loop: Header=BB6_7203 Depth=3
	s_or_b64 exec, exec, s[28:29]
	v_cmp_ne_u16_sdwa vcc, v18, v21 src0_sel:BYTE_0 src1_sel:DWORD
	s_and_saveexec_b64 s[28:29], vcc
	s_cbranch_execz .LBB6_8335
; %bb.8330:                             ;   in Loop: Header=BB6_7203 Depth=3
	v_cmp_ne_u16_sdwa vcc, v18, s80 src0_sel:BYTE_0 src1_sel:DWORD
	v_bfrev_b32_e32 v0, 1
	s_and_saveexec_b64 s[30:31], vcc
	s_cbranch_execz .LBB6_8334
; %bb.8331:                             ;   in Loop: Header=BB6_7203 Depth=3
	v_and_b32_e32 v2, 0x7f, v18
	v_cmp_ne_u32_e32 vcc, s81, v2
	v_mov_b32_e32 v0, 0x7f800001
	s_and_saveexec_b64 s[34:35], vcc
	s_cbranch_execz .LBB6_8333
; %bb.8332:                             ;   in Loop: Header=BB6_7203 Depth=3
	v_and_b32_e32 v0, 7, v18
	v_ffbh_u32_e32 v0, v0
	v_min_u32_e32 v0, 32, v0
	v_lshrrev_b32_e32 v17, 3, v2
	v_cmp_gt_u32_e32 vcc, 8, v2
	v_subrev_u32_e32 v2, 28, v0
	v_cndmask_b32_e32 v2, 0, v2, vcc
	v_lshlrev_b64 v[36:37], v2, v[18:19]
	v_sub_u32_e32 v0, 29, v0
	v_cndmask_b32_e32 v0, v17, v0, vcc
	v_lshlrev_b32_e32 v2, 20, v36
	v_lshlrev_b32_e32 v17, 24, v18
	v_bfrev_b32_e32 v20, 60
	v_and_b32_e32 v2, 0x700000, v2
	v_and_b32_e32 v17, 0x80000000, v17
	v_lshl_add_u32 v0, v0, 23, v20
	v_or3_b32 v0, v17, v0, v2
.LBB6_8333:                             ;   in Loop: Header=BB6_7203 Depth=3
	s_or_b64 exec, exec, s[34:35]
.LBB6_8334:                             ;   in Loop: Header=BB6_7203 Depth=3
	s_or_b64 exec, exec, s[30:31]
.LBB6_8335:                             ;   in Loop: Header=BB6_7203 Depth=3
	s_or_b64 exec, exec, s[28:29]
	v_mul_f32_e32 v0, v1, v0
	v_and_b32_e32 v20, 0x7f800000, v0
	v_cmp_ne_u64_e32 vcc, s[62:63], v[20:21]
                                        ; implicit-def: $vgpr17
	s_and_saveexec_b64 s[28:29], vcc
	s_xor_b64 s[30:31], exec, s[28:29]
	s_cbranch_execz .LBB6_8349
; %bb.8336:                             ;   in Loop: Header=BB6_7203 Depth=3
	v_and_b32_e32 v20, 0x7fffffff, v0
	v_cmp_gt_u64_e32 vcc, s[78:79], v[20:21]
	v_and_b32_sdwa v28, v0, s80 dst_sel:DWORD dst_unused:UNUSED_PAD src0_sel:BYTE_3 src1_sel:DWORD
                                        ; implicit-def: $vgpr17
	s_and_saveexec_b64 s[28:29], vcc
	s_xor_b64 s[34:35], exec, s[28:29]
	s_cbranch_execz .LBB6_8346
; %bb.8337:                             ;   in Loop: Header=BB6_7203 Depth=3
	v_mov_b32_e32 v17, 0
	v_cmp_ne_u32_e32 vcc, 0, v0
	s_and_saveexec_b64 s[36:37], vcc
	s_cbranch_execz .LBB6_8345
; %bb.8338:                             ;   in Loop: Header=BB6_7203 Depth=3
	v_bfe_u32 v17, v0, 23, 8
	v_and_b32_e32 v1, 0x7fffff, v0
	v_cmp_gt_u32_e64 s[28:29], s47, v17
	v_sub_u32_e32 v0, 0x79, v17
	v_cmp_eq_u32_e32 vcc, 0, v17
	v_cndmask_b32_e64 v0, 0, v0, s[28:29]
	v_mov_b32_e32 v20, 0x78
	v_cndmask_b32_e32 v30, v0, v20, vcc
	v_or_b32_e32 v2, 0x800000, v1
	v_add_u32_e32 v0, 20, v30
	v_cndmask_b32_e32 v20, v2, v1, vcc
	v_lshlrev_b64 v[0:1], v0, -1
	v_add_u32_e32 v2, 19, v30
	v_lshlrev_b64 v[36:37], v2, 1
	v_bfi_b32 v1, v1, 0, 0
	v_bfi_b32 v0, v0, 0, v20
	v_cmp_eq_u64_e64 s[28:29], v[0:1], v[36:37]
	v_lshrrev_b64 v[0:1], v30, v[20:21]
	v_mov_b32_e32 v2, v1
	v_mov_b32_e32 v1, v0
	s_and_saveexec_b64 s[38:39], s[28:29]
; %bb.8339:                             ;   in Loop: Header=BB6_7203 Depth=3
	v_bfe_u32 v1, v0, 20, 1
	v_add_co_u32_e64 v1, s[28:29], v0, v1
	v_add_co_u32_e64 v1, s[28:29], -1, v1
; %bb.8340:                             ;   in Loop: Header=BB6_7203 Depth=3
	s_or_b64 exec, exec, s[38:39]
	v_add_u32_e32 v2, 0xffffff81, v17
	v_mov_b32_e32 v17, 0xffffff82
	v_cndmask_b32_e32 v2, v2, v17, vcc
	v_lshrrev_b32_e32 v17, 23, v0
	v_add3_u32 v30, v30, v2, v17
	v_add_u32_e32 v17, 6, v30
	v_and_b32_e32 v1, 0xfffff, v1
	v_add_u32_e32 v20, v1, v0
	v_cmp_ne_u32_e32 vcc, 0, v17
                                        ; implicit-def: $vgpr0_vgpr1
                                        ; implicit-def: $vgpr2
	s_and_saveexec_b64 s[28:29], vcc
	s_xor_b64 s[28:29], exec, s[28:29]
; %bb.8341:                             ;   in Loop: Header=BB6_7203 Depth=3
	v_cmp_lt_u64_e32 vcc, s[88:89], v[20:21]
	v_add_u32_e32 v0, 7, v30
	v_cndmask_b32_e32 v2, v17, v0, vcc
	v_cndmask_b32_e64 v0, 0, 1, vcc
	v_lshrrev_b64 v[0:1], v0, v[20:21]
; %bb.8342:                             ;   in Loop: Header=BB6_7203 Depth=3
	s_andn2_saveexec_b64 s[28:29], s[28:29]
; %bb.8343:                             ;   in Loop: Header=BB6_7203 Depth=3
	v_mov_b32_e32 v0, v20
	v_bfe_u32 v2, v20, 23, 1
	v_mov_b32_e32 v1, v21
; %bb.8344:                             ;   in Loop: Header=BB6_7203 Depth=3
	s_or_b64 exec, exec, s[28:29]
	v_lshrrev_b64 v[0:1], 20, v[0:1]
	v_cmp_gt_i32_e32 vcc, 16, v2
	v_cndmask_b32_e32 v1, 0, v1, vcc
	v_cndmask_b32_e32 v0, 7, v0, vcc
	v_cmp_eq_u64_e64 s[28:29], 0, v[0:1]
	v_min_i32_e32 v1, 15, v2
	v_lshlrev_b32_e32 v1, 3, v1
	v_cmp_eq_u32_e32 vcc, 0, v2
	v_and_b32_e32 v1, 0xf8, v1
	v_and_or_b32 v0, v0, 7, v1
	s_and_b64 s[28:29], vcc, s[28:29]
	v_cndmask_b32_e64 v0, v0, 0, s[28:29]
	v_or_b32_e32 v17, v0, v28
.LBB6_8345:                             ;   in Loop: Header=BB6_7203 Depth=3
	s_or_b64 exec, exec, s[36:37]
                                        ; implicit-def: $vgpr28
.LBB6_8346:                             ;   in Loop: Header=BB6_7203 Depth=3
	s_andn2_saveexec_b64 s[28:29], s[34:35]
; %bb.8347:                             ;   in Loop: Header=BB6_7203 Depth=3
	v_or_b32_e32 v17, 0x7e, v28
; %bb.8348:                             ;   in Loop: Header=BB6_7203 Depth=3
	s_or_b64 exec, exec, s[28:29]
                                        ; implicit-def: $vgpr0
.LBB6_8349:                             ;   in Loop: Header=BB6_7203 Depth=3
	s_andn2_saveexec_b64 s[28:29], s[30:31]
; %bb.8350:                             ;   in Loop: Header=BB6_7203 Depth=3
	v_or_b32_sdwa v17, v0, s81 dst_sel:DWORD dst_unused:UNUSED_PAD src0_sel:BYTE_3 src1_sel:DWORD
; %bb.8351:                             ;   in Loop: Header=BB6_7203 Depth=3
	s_or_b64 exec, exec, s[28:29]
	v_lshrrev_b16_e32 v0, 8, v60
	v_cmp_ne_u16_e32 vcc, 0, v0
	v_mov_b32_e32 v1, 0
	v_mov_b32_e32 v2, 0
	s_and_saveexec_b64 s[28:29], vcc
	s_cbranch_execz .LBB6_8357
; %bb.8352:                             ;   in Loop: Header=BB6_7203 Depth=3
	v_cmp_ne_u16_e32 vcc, s80, v0
	v_bfrev_b32_e32 v2, 1
	s_and_saveexec_b64 s[30:31], vcc
	s_cbranch_execz .LBB6_8356
; %bb.8353:                             ;   in Loop: Header=BB6_7203 Depth=3
	v_and_b32_e32 v20, 0x7f, v0
	v_cmp_ne_u32_e32 vcc, s81, v20
	v_mov_b32_e32 v2, 0x7f800001
	s_and_saveexec_b64 s[34:35], vcc
	s_cbranch_execz .LBB6_8355
; %bb.8354:                             ;   in Loop: Header=BB6_7203 Depth=3
	v_and_b32_e32 v2, 7, v0
	v_lshrrev_b32_e32 v22, 3, v20
	v_cmp_gt_u32_e32 vcc, 8, v20
	v_ffbh_u32_e32 v20, v2
	v_min_u32_e32 v20, 32, v20
	v_subrev_u32_e32 v23, 28, v20
	v_lshlrev_b64 v[36:37], v23, v[0:1]
	v_sub_u32_e32 v0, 29, v20
	v_and_b32_e32 v20, 7, v36
	v_cndmask_b32_e32 v0, v22, v0, vcc
	v_cndmask_b32_e32 v2, v2, v20, vcc
	v_lshlrev_b32_e32 v20, 16, v60
	v_bfrev_b32_e32 v22, 60
	v_lshlrev_b32_e32 v2, 20, v2
	v_and_b32_e32 v20, 0x80000000, v20
	v_lshl_add_u32 v0, v0, 23, v22
	v_or3_b32 v2, v20, v0, v2
.LBB6_8355:                             ;   in Loop: Header=BB6_7203 Depth=3
	s_or_b64 exec, exec, s[34:35]
.LBB6_8356:                             ;   in Loop: Header=BB6_7203 Depth=3
	s_or_b64 exec, exec, s[30:31]
.LBB6_8357:                             ;   in Loop: Header=BB6_7203 Depth=3
	s_or_b64 exec, exec, s[28:29]
	v_lshrrev_b16_e32 v0, 8, v18
	v_cmp_ne_u16_e32 vcc, 0, v0
	s_and_saveexec_b64 s[28:29], vcc
	s_cbranch_execz .LBB6_8363
; %bb.8358:                             ;   in Loop: Header=BB6_7203 Depth=3
	v_cmp_ne_u16_e32 vcc, s80, v0
	v_bfrev_b32_e32 v1, 1
	s_and_saveexec_b64 s[30:31], vcc
	s_cbranch_execz .LBB6_8362
; %bb.8359:                             ;   in Loop: Header=BB6_7203 Depth=3
	v_and_b32_e32 v20, 0x7f, v0
	v_cmp_ne_u32_e32 vcc, s81, v20
	v_mov_b32_e32 v1, 0x7f800001
	s_and_saveexec_b64 s[34:35], vcc
	s_cbranch_execz .LBB6_8361
; %bb.8360:                             ;   in Loop: Header=BB6_7203 Depth=3
	v_and_b32_e32 v22, 7, v0
	v_ffbh_u32_e32 v1, v22
	v_lshrrev_b32_e32 v23, 3, v20
	v_cmp_gt_u32_e32 vcc, 8, v20
	v_min_u32_e32 v20, 32, v1
	v_subrev_u32_e32 v1, 28, v20
	v_lshlrev_b64 v[0:1], v1, v[0:1]
	v_sub_u32_e32 v1, 29, v20
	v_and_b32_e32 v0, 7, v0
	v_cndmask_b32_e32 v1, v23, v1, vcc
	v_cndmask_b32_e32 v0, v22, v0, vcc
	v_lshlrev_b32_e32 v20, 16, v18
	v_bfrev_b32_e32 v22, 60
	v_lshlrev_b32_e32 v0, 20, v0
	v_and_b32_e32 v20, 0x80000000, v20
	v_lshl_add_u32 v1, v1, 23, v22
	v_or3_b32 v1, v20, v1, v0
.LBB6_8361:                             ;   in Loop: Header=BB6_7203 Depth=3
	s_or_b64 exec, exec, s[34:35]
.LBB6_8362:                             ;   in Loop: Header=BB6_7203 Depth=3
	s_or_b64 exec, exec, s[30:31]
.LBB6_8363:                             ;   in Loop: Header=BB6_7203 Depth=3
	s_or_b64 exec, exec, s[28:29]
	v_mul_f32_e32 v0, v2, v1
	v_and_b32_e32 v20, 0x7f800000, v0
	v_cmp_ne_u64_e32 vcc, s[62:63], v[20:21]
                                        ; implicit-def: $vgpr58
	s_and_saveexec_b64 s[28:29], vcc
	s_xor_b64 s[30:31], exec, s[28:29]
	s_cbranch_execz .LBB6_8377
; %bb.8364:                             ;   in Loop: Header=BB6_7203 Depth=3
	v_and_b32_e32 v20, 0x7fffffff, v0
	v_cmp_gt_u64_e32 vcc, s[78:79], v[20:21]
	v_and_b32_sdwa v28, v0, s80 dst_sel:DWORD dst_unused:UNUSED_PAD src0_sel:BYTE_3 src1_sel:DWORD
                                        ; implicit-def: $vgpr58
	s_and_saveexec_b64 s[28:29], vcc
	s_xor_b64 s[34:35], exec, s[28:29]
	s_cbranch_execz .LBB6_8374
; %bb.8365:                             ;   in Loop: Header=BB6_7203 Depth=3
	v_mov_b32_e32 v58, 0
	v_cmp_ne_u32_e32 vcc, 0, v0
	s_and_saveexec_b64 s[36:37], vcc
	s_cbranch_execz .LBB6_8373
; %bb.8366:                             ;   in Loop: Header=BB6_7203 Depth=3
	v_bfe_u32 v30, v0, 23, 8
	v_and_b32_e32 v1, 0x7fffff, v0
	v_cmp_gt_u32_e64 s[28:29], s47, v30
	v_sub_u32_e32 v0, 0x79, v30
	v_cmp_eq_u32_e32 vcc, 0, v30
	v_cndmask_b32_e64 v0, 0, v0, s[28:29]
	v_mov_b32_e32 v20, 0x78
	v_cndmask_b32_e32 v36, v0, v20, vcc
	v_or_b32_e32 v2, 0x800000, v1
	v_add_u32_e32 v0, 20, v36
	v_cndmask_b32_e32 v20, v2, v1, vcc
	v_lshlrev_b64 v[0:1], v0, -1
	v_add_u32_e32 v2, 19, v36
	v_lshlrev_b64 v[37:38], v2, 1
	v_bfi_b32 v1, v1, 0, 0
	v_bfi_b32 v0, v0, 0, v20
	v_cmp_eq_u64_e64 s[28:29], v[0:1], v[37:38]
	v_lshrrev_b64 v[0:1], v36, v[20:21]
	v_mov_b32_e32 v2, v1
	v_mov_b32_e32 v1, v0
	s_and_saveexec_b64 s[38:39], s[28:29]
; %bb.8367:                             ;   in Loop: Header=BB6_7203 Depth=3
	v_bfe_u32 v1, v0, 20, 1
	v_add_co_u32_e64 v1, s[28:29], v0, v1
	v_add_co_u32_e64 v1, s[28:29], -1, v1
; %bb.8368:                             ;   in Loop: Header=BB6_7203 Depth=3
	s_or_b64 exec, exec, s[38:39]
	v_add_u32_e32 v2, 0xffffff81, v30
	v_mov_b32_e32 v20, 0xffffff82
	v_cndmask_b32_e32 v2, v2, v20, vcc
	v_lshrrev_b32_e32 v20, 23, v0
	v_add3_u32 v36, v36, v2, v20
	v_add_u32_e32 v30, 6, v36
	v_and_b32_e32 v1, 0xfffff, v1
	v_add_u32_e32 v20, v1, v0
	v_cmp_ne_u32_e32 vcc, 0, v30
                                        ; implicit-def: $vgpr0_vgpr1
                                        ; implicit-def: $vgpr2
	s_and_saveexec_b64 s[28:29], vcc
	s_xor_b64 s[28:29], exec, s[28:29]
; %bb.8369:                             ;   in Loop: Header=BB6_7203 Depth=3
	v_cmp_lt_u64_e32 vcc, s[88:89], v[20:21]
	v_add_u32_e32 v0, 7, v36
	v_cndmask_b32_e32 v2, v30, v0, vcc
	v_cndmask_b32_e64 v0, 0, 1, vcc
	v_lshrrev_b64 v[0:1], v0, v[20:21]
; %bb.8370:                             ;   in Loop: Header=BB6_7203 Depth=3
	s_andn2_saveexec_b64 s[28:29], s[28:29]
; %bb.8371:                             ;   in Loop: Header=BB6_7203 Depth=3
	v_mov_b32_e32 v0, v20
	v_bfe_u32 v2, v20, 23, 1
	v_mov_b32_e32 v1, v21
; %bb.8372:                             ;   in Loop: Header=BB6_7203 Depth=3
	s_or_b64 exec, exec, s[28:29]
	v_lshrrev_b64 v[0:1], 20, v[0:1]
	v_cmp_gt_i32_e32 vcc, 16, v2
	v_cndmask_b32_e32 v1, 0, v1, vcc
	v_cndmask_b32_e32 v0, 7, v0, vcc
	v_cmp_eq_u64_e64 s[28:29], 0, v[0:1]
	v_min_i32_e32 v1, 15, v2
	v_lshlrev_b32_e32 v1, 3, v1
	v_cmp_eq_u32_e32 vcc, 0, v2
	v_and_b32_e32 v1, 0xf8, v1
	v_and_or_b32 v0, v0, 7, v1
	s_and_b64 s[28:29], vcc, s[28:29]
	v_cndmask_b32_e64 v0, v0, 0, s[28:29]
	v_or_b32_e32 v58, v0, v28
.LBB6_8373:                             ;   in Loop: Header=BB6_7203 Depth=3
	s_or_b64 exec, exec, s[36:37]
                                        ; implicit-def: $vgpr28
.LBB6_8374:                             ;   in Loop: Header=BB6_7203 Depth=3
	s_andn2_saveexec_b64 s[28:29], s[34:35]
; %bb.8375:                             ;   in Loop: Header=BB6_7203 Depth=3
	v_or_b32_e32 v58, 0x7e, v28
; %bb.8376:                             ;   in Loop: Header=BB6_7203 Depth=3
	s_or_b64 exec, exec, s[28:29]
                                        ; implicit-def: $vgpr0
.LBB6_8377:                             ;   in Loop: Header=BB6_7203 Depth=3
	s_andn2_saveexec_b64 s[28:29], s[30:31]
; %bb.8378:                             ;   in Loop: Header=BB6_7203 Depth=3
	v_or_b32_sdwa v58, v0, s81 dst_sel:DWORD dst_unused:UNUSED_PAD src0_sel:BYTE_3 src1_sel:DWORD
; %bb.8379:                             ;   in Loop: Header=BB6_7203 Depth=3
	s_or_b64 exec, exec, s[28:29]
	v_lshrrev_b32_e32 v0, 16, v60
	v_cmp_ne_u16_sdwa vcc, v0, v21 src0_sel:BYTE_0 src1_sel:DWORD
	v_mov_b32_e32 v1, 0
	v_mov_b32_e32 v2, 0
	s_and_saveexec_b64 s[28:29], vcc
	s_cbranch_execz .LBB6_8385
; %bb.8380:                             ;   in Loop: Header=BB6_7203 Depth=3
	v_cmp_ne_u16_sdwa vcc, v0, s80 src0_sel:BYTE_0 src1_sel:DWORD
	v_bfrev_b32_e32 v2, 1
	s_and_saveexec_b64 s[30:31], vcc
	s_cbranch_execz .LBB6_8384
; %bb.8381:                             ;   in Loop: Header=BB6_7203 Depth=3
	v_bfe_u32 v20, v60, 16, 7
	v_cmp_ne_u32_e32 vcc, s81, v20
	v_mov_b32_e32 v2, 0x7f800001
	s_and_saveexec_b64 s[34:35], vcc
	s_cbranch_execz .LBB6_8383
; %bb.8382:                             ;   in Loop: Header=BB6_7203 Depth=3
	v_and_b32_e32 v2, 7, v0
	v_lshrrev_b32_e32 v22, 3, v20
	v_cmp_gt_u32_e32 vcc, 8, v20
	v_ffbh_u32_e32 v20, v2
	v_min_u32_e32 v20, 32, v20
	v_subrev_u32_e32 v23, 28, v20
	v_lshlrev_b64 v[36:37], v23, v[0:1]
	v_sub_u32_e32 v20, 29, v20
	v_and_b32_e32 v23, 7, v36
	v_cndmask_b32_e32 v20, v22, v20, vcc
	v_cndmask_b32_e32 v2, v2, v23, vcc
	v_lshlrev_b32_e32 v0, 24, v0
	v_bfrev_b32_e32 v22, 60
	v_lshlrev_b32_e32 v2, 20, v2
	v_and_b32_e32 v0, 0x80000000, v0
	v_lshl_add_u32 v20, v20, 23, v22
	v_or3_b32 v2, v0, v20, v2
.LBB6_8383:                             ;   in Loop: Header=BB6_7203 Depth=3
	s_or_b64 exec, exec, s[34:35]
.LBB6_8384:                             ;   in Loop: Header=BB6_7203 Depth=3
	s_or_b64 exec, exec, s[30:31]
.LBB6_8385:                             ;   in Loop: Header=BB6_7203 Depth=3
	s_or_b64 exec, exec, s[28:29]
	v_lshrrev_b32_e32 v0, 16, v18
	v_cmp_ne_u16_sdwa vcc, v0, v21 src0_sel:BYTE_0 src1_sel:DWORD
	s_and_saveexec_b64 s[28:29], vcc
	s_cbranch_execz .LBB6_8391
; %bb.8386:                             ;   in Loop: Header=BB6_7203 Depth=3
	v_cmp_ne_u16_sdwa vcc, v0, s80 src0_sel:BYTE_0 src1_sel:DWORD
	v_bfrev_b32_e32 v1, 1
	s_and_saveexec_b64 s[30:31], vcc
	s_cbranch_execz .LBB6_8390
; %bb.8387:                             ;   in Loop: Header=BB6_7203 Depth=3
	v_bfe_u32 v20, v18, 16, 7
	v_cmp_ne_u32_e32 vcc, s81, v20
	v_mov_b32_e32 v1, 0x7f800001
	s_and_saveexec_b64 s[34:35], vcc
	s_cbranch_execz .LBB6_8389
; %bb.8388:                             ;   in Loop: Header=BB6_7203 Depth=3
	v_and_b32_e32 v22, 7, v0
	v_ffbh_u32_e32 v1, v22
	v_lshrrev_b32_e32 v23, 3, v20
	v_cmp_gt_u32_e32 vcc, 8, v20
	v_min_u32_e32 v20, 32, v1
	v_subrev_u32_e32 v1, 28, v20
	v_lshlrev_b64 v[0:1], v1, v[0:1]
	v_sub_u32_e32 v1, 29, v20
	v_and_b32_e32 v0, 7, v0
	v_cndmask_b32_e32 v1, v23, v1, vcc
	v_cndmask_b32_e32 v0, v22, v0, vcc
	v_lshlrev_b32_e32 v20, 8, v18
	v_bfrev_b32_e32 v22, 60
	v_lshlrev_b32_e32 v0, 20, v0
	v_and_b32_e32 v20, 0x80000000, v20
	v_lshl_add_u32 v1, v1, 23, v22
	v_or3_b32 v1, v20, v1, v0
.LBB6_8389:                             ;   in Loop: Header=BB6_7203 Depth=3
	s_or_b64 exec, exec, s[34:35]
.LBB6_8390:                             ;   in Loop: Header=BB6_7203 Depth=3
	s_or_b64 exec, exec, s[30:31]
.LBB6_8391:                             ;   in Loop: Header=BB6_7203 Depth=3
	s_or_b64 exec, exec, s[28:29]
	v_mul_f32_e32 v0, v2, v1
	v_and_b32_e32 v20, 0x7f800000, v0
	v_cmp_ne_u64_e32 vcc, s[62:63], v[20:21]
                                        ; implicit-def: $vgpr59
	s_and_saveexec_b64 s[28:29], vcc
	s_xor_b64 s[30:31], exec, s[28:29]
	s_cbranch_execz .LBB6_8405
; %bb.8392:                             ;   in Loop: Header=BB6_7203 Depth=3
	v_and_b32_e32 v20, 0x7fffffff, v0
	v_cmp_gt_u64_e32 vcc, s[78:79], v[20:21]
	v_and_b32_sdwa v28, v0, s80 dst_sel:DWORD dst_unused:UNUSED_PAD src0_sel:BYTE_3 src1_sel:DWORD
                                        ; implicit-def: $vgpr59
	s_and_saveexec_b64 s[28:29], vcc
	s_xor_b64 s[34:35], exec, s[28:29]
	s_cbranch_execz .LBB6_8402
; %bb.8393:                             ;   in Loop: Header=BB6_7203 Depth=3
	v_mov_b32_e32 v59, 0
	v_cmp_ne_u32_e32 vcc, 0, v0
	s_and_saveexec_b64 s[36:37], vcc
	s_cbranch_execz .LBB6_8401
; %bb.8394:                             ;   in Loop: Header=BB6_7203 Depth=3
	v_bfe_u32 v30, v0, 23, 8
	v_and_b32_e32 v1, 0x7fffff, v0
	v_cmp_gt_u32_e64 s[28:29], s47, v30
	v_sub_u32_e32 v0, 0x79, v30
	v_cmp_eq_u32_e32 vcc, 0, v30
	v_cndmask_b32_e64 v0, 0, v0, s[28:29]
	v_mov_b32_e32 v20, 0x78
	v_cndmask_b32_e32 v36, v0, v20, vcc
	v_or_b32_e32 v2, 0x800000, v1
	v_add_u32_e32 v0, 20, v36
	v_cndmask_b32_e32 v20, v2, v1, vcc
	v_lshlrev_b64 v[0:1], v0, -1
	v_add_u32_e32 v2, 19, v36
	v_lshlrev_b64 v[37:38], v2, 1
	v_bfi_b32 v1, v1, 0, 0
	v_bfi_b32 v0, v0, 0, v20
	v_cmp_eq_u64_e64 s[28:29], v[0:1], v[37:38]
	v_lshrrev_b64 v[0:1], v36, v[20:21]
	v_mov_b32_e32 v2, v1
	v_mov_b32_e32 v1, v0
	s_and_saveexec_b64 s[38:39], s[28:29]
; %bb.8395:                             ;   in Loop: Header=BB6_7203 Depth=3
	v_bfe_u32 v1, v0, 20, 1
	v_add_co_u32_e64 v1, s[28:29], v0, v1
	v_add_co_u32_e64 v1, s[28:29], -1, v1
; %bb.8396:                             ;   in Loop: Header=BB6_7203 Depth=3
	s_or_b64 exec, exec, s[38:39]
	v_add_u32_e32 v2, 0xffffff81, v30
	v_mov_b32_e32 v20, 0xffffff82
	v_cndmask_b32_e32 v2, v2, v20, vcc
	v_lshrrev_b32_e32 v20, 23, v0
	v_add3_u32 v36, v36, v2, v20
	v_add_u32_e32 v30, 6, v36
	v_and_b32_e32 v1, 0xfffff, v1
	v_add_u32_e32 v20, v1, v0
	v_cmp_ne_u32_e32 vcc, 0, v30
                                        ; implicit-def: $vgpr0_vgpr1
                                        ; implicit-def: $vgpr2
	s_and_saveexec_b64 s[28:29], vcc
	s_xor_b64 s[28:29], exec, s[28:29]
; %bb.8397:                             ;   in Loop: Header=BB6_7203 Depth=3
	v_cmp_lt_u64_e32 vcc, s[88:89], v[20:21]
	v_add_u32_e32 v0, 7, v36
	v_cndmask_b32_e32 v2, v30, v0, vcc
	v_cndmask_b32_e64 v0, 0, 1, vcc
	v_lshrrev_b64 v[0:1], v0, v[20:21]
; %bb.8398:                             ;   in Loop: Header=BB6_7203 Depth=3
	s_andn2_saveexec_b64 s[28:29], s[28:29]
; %bb.8399:                             ;   in Loop: Header=BB6_7203 Depth=3
	v_mov_b32_e32 v0, v20
	v_bfe_u32 v2, v20, 23, 1
	v_mov_b32_e32 v1, v21
; %bb.8400:                             ;   in Loop: Header=BB6_7203 Depth=3
	s_or_b64 exec, exec, s[28:29]
	v_lshrrev_b64 v[0:1], 20, v[0:1]
	v_cmp_gt_i32_e32 vcc, 16, v2
	v_cndmask_b32_e32 v1, 0, v1, vcc
	v_cndmask_b32_e32 v0, 7, v0, vcc
	v_cmp_eq_u64_e64 s[28:29], 0, v[0:1]
	v_min_i32_e32 v1, 15, v2
	v_lshlrev_b32_e32 v1, 3, v1
	v_cmp_eq_u32_e32 vcc, 0, v2
	v_and_b32_e32 v1, 0xf8, v1
	v_and_or_b32 v0, v0, 7, v1
	s_and_b64 s[28:29], vcc, s[28:29]
	v_cndmask_b32_e64 v0, v0, 0, s[28:29]
	v_or_b32_e32 v59, v0, v28
.LBB6_8401:                             ;   in Loop: Header=BB6_7203 Depth=3
	s_or_b64 exec, exec, s[36:37]
                                        ; implicit-def: $vgpr28
.LBB6_8402:                             ;   in Loop: Header=BB6_7203 Depth=3
	s_andn2_saveexec_b64 s[28:29], s[34:35]
; %bb.8403:                             ;   in Loop: Header=BB6_7203 Depth=3
	v_or_b32_e32 v59, 0x7e, v28
; %bb.8404:                             ;   in Loop: Header=BB6_7203 Depth=3
	s_or_b64 exec, exec, s[28:29]
                                        ; implicit-def: $vgpr0
.LBB6_8405:                             ;   in Loop: Header=BB6_7203 Depth=3
	s_andn2_saveexec_b64 s[28:29], s[30:31]
; %bb.8406:                             ;   in Loop: Header=BB6_7203 Depth=3
	v_or_b32_sdwa v59, v0, s81 dst_sel:DWORD dst_unused:UNUSED_PAD src0_sel:BYTE_3 src1_sel:DWORD
; %bb.8407:                             ;   in Loop: Header=BB6_7203 Depth=3
	s_or_b64 exec, exec, s[28:29]
	v_cmp_lt_u32_e32 vcc, s57, v60
	v_mov_b32_e32 v1, 0
	v_mov_b32_e32 v2, 0
	s_and_saveexec_b64 s[28:29], vcc
	s_cbranch_execz .LBB6_8413
; %bb.8408:                             ;   in Loop: Header=BB6_7203 Depth=3
	v_lshrrev_b32_e32 v0, 24, v60
	v_cmp_ne_u32_e32 vcc, s80, v0
	v_bfrev_b32_e32 v2, 1
	s_and_saveexec_b64 s[30:31], vcc
	s_cbranch_execz .LBB6_8412
; %bb.8409:                             ;   in Loop: Header=BB6_7203 Depth=3
	v_bfe_u32 v20, v60, 24, 7
	v_cmp_ne_u32_e32 vcc, s81, v20
	v_mov_b32_e32 v2, 0x7f800001
	s_and_saveexec_b64 s[34:35], vcc
	s_cbranch_execz .LBB6_8411
; %bb.8410:                             ;   in Loop: Header=BB6_7203 Depth=3
	v_and_b32_e32 v2, 7, v0
	v_lshrrev_b32_e32 v22, 3, v20
	v_cmp_gt_u32_e32 vcc, 8, v20
	v_ffbh_u32_e32 v20, v2
	v_min_u32_e32 v20, 32, v20
	v_subrev_u32_e32 v23, 28, v20
	v_lshlrev_b64 v[36:37], v23, v[0:1]
	v_sub_u32_e32 v20, 29, v20
	v_and_b32_e32 v23, 7, v36
	v_cndmask_b32_e32 v20, v22, v20, vcc
	v_cndmask_b32_e32 v2, v2, v23, vcc
	v_lshlrev_b32_e32 v0, 24, v0
	v_bfrev_b32_e32 v22, 60
	v_lshlrev_b32_e32 v2, 20, v2
	v_and_b32_e32 v0, 0x80000000, v0
	v_lshl_add_u32 v20, v20, 23, v22
	v_or3_b32 v2, v0, v20, v2
.LBB6_8411:                             ;   in Loop: Header=BB6_7203 Depth=3
	s_or_b64 exec, exec, s[34:35]
.LBB6_8412:                             ;   in Loop: Header=BB6_7203 Depth=3
	s_or_b64 exec, exec, s[30:31]
.LBB6_8413:                             ;   in Loop: Header=BB6_7203 Depth=3
	s_or_b64 exec, exec, s[28:29]
	v_cmp_lt_u32_e32 vcc, s57, v18
	s_and_saveexec_b64 s[28:29], vcc
	s_cbranch_execz .LBB6_8419
; %bb.8414:                             ;   in Loop: Header=BB6_7203 Depth=3
	v_lshrrev_b32_e32 v0, 24, v18
	v_cmp_ne_u32_e32 vcc, s80, v0
	v_bfrev_b32_e32 v1, 1
	s_and_saveexec_b64 s[30:31], vcc
	s_cbranch_execz .LBB6_8418
; %bb.8415:                             ;   in Loop: Header=BB6_7203 Depth=3
	v_bfe_u32 v20, v18, 24, 7
	v_cmp_ne_u32_e32 vcc, s81, v20
	v_mov_b32_e32 v1, 0x7f800001
	s_and_saveexec_b64 s[34:35], vcc
	s_cbranch_execz .LBB6_8417
; %bb.8416:                             ;   in Loop: Header=BB6_7203 Depth=3
	v_and_b32_e32 v1, 7, v0
	v_lshrrev_b32_e32 v22, 3, v20
	v_cmp_gt_u32_e32 vcc, 8, v20
	v_ffbh_u32_e32 v20, v1
	v_min_u32_e32 v20, 32, v20
	v_subrev_u32_e32 v23, 28, v20
	v_lshlrev_b64 v[36:37], v23, v[0:1]
	v_sub_u32_e32 v20, 29, v20
	v_and_b32_e32 v23, 7, v36
	v_cndmask_b32_e32 v20, v22, v20, vcc
	v_cndmask_b32_e32 v1, v1, v23, vcc
	v_lshlrev_b32_e32 v0, 24, v0
	v_bfrev_b32_e32 v22, 60
	v_lshlrev_b32_e32 v1, 20, v1
	v_and_b32_e32 v0, 0x80000000, v0
	v_lshl_add_u32 v20, v20, 23, v22
	v_or3_b32 v1, v0, v20, v1
.LBB6_8417:                             ;   in Loop: Header=BB6_7203 Depth=3
	s_or_b64 exec, exec, s[34:35]
.LBB6_8418:                             ;   in Loop: Header=BB6_7203 Depth=3
	s_or_b64 exec, exec, s[30:31]
.LBB6_8419:                             ;   in Loop: Header=BB6_7203 Depth=3
	s_or_b64 exec, exec, s[28:29]
	v_mul_f32_e32 v0, v2, v1
	v_and_b32_e32 v20, 0x7f800000, v0
	v_cmp_ne_u64_e32 vcc, s[62:63], v[20:21]
                                        ; implicit-def: $vgpr44
	s_and_saveexec_b64 s[28:29], vcc
	s_xor_b64 s[30:31], exec, s[28:29]
	s_cbranch_execz .LBB6_8433
; %bb.8420:                             ;   in Loop: Header=BB6_7203 Depth=3
	v_and_b32_e32 v20, 0x7fffffff, v0
	v_cmp_gt_u64_e32 vcc, s[78:79], v[20:21]
	v_and_b32_sdwa v28, v0, s80 dst_sel:DWORD dst_unused:UNUSED_PAD src0_sel:BYTE_3 src1_sel:DWORD
                                        ; implicit-def: $vgpr44
	s_and_saveexec_b64 s[28:29], vcc
	s_xor_b64 s[34:35], exec, s[28:29]
	s_cbranch_execz .LBB6_8430
; %bb.8421:                             ;   in Loop: Header=BB6_7203 Depth=3
	v_mov_b32_e32 v44, 0
	v_cmp_ne_u32_e32 vcc, 0, v0
	s_and_saveexec_b64 s[36:37], vcc
	s_cbranch_execz .LBB6_8429
; %bb.8422:                             ;   in Loop: Header=BB6_7203 Depth=3
	v_bfe_u32 v30, v0, 23, 8
	v_and_b32_e32 v1, 0x7fffff, v0
	v_cmp_gt_u32_e64 s[28:29], s47, v30
	v_sub_u32_e32 v0, 0x79, v30
	v_cmp_eq_u32_e32 vcc, 0, v30
	v_cndmask_b32_e64 v0, 0, v0, s[28:29]
	v_mov_b32_e32 v20, 0x78
	v_cndmask_b32_e32 v36, v0, v20, vcc
	v_or_b32_e32 v2, 0x800000, v1
	v_add_u32_e32 v0, 20, v36
	v_cndmask_b32_e32 v20, v2, v1, vcc
	v_lshlrev_b64 v[0:1], v0, -1
	v_add_u32_e32 v2, 19, v36
	v_lshlrev_b64 v[37:38], v2, 1
	v_bfi_b32 v1, v1, 0, 0
	v_bfi_b32 v0, v0, 0, v20
	v_cmp_eq_u64_e64 s[28:29], v[0:1], v[37:38]
	v_lshrrev_b64 v[0:1], v36, v[20:21]
	v_mov_b32_e32 v2, v1
	v_mov_b32_e32 v1, v0
	s_and_saveexec_b64 s[38:39], s[28:29]
; %bb.8423:                             ;   in Loop: Header=BB6_7203 Depth=3
	v_bfe_u32 v1, v0, 20, 1
	v_add_co_u32_e64 v1, s[28:29], v0, v1
	v_add_co_u32_e64 v1, s[28:29], -1, v1
; %bb.8424:                             ;   in Loop: Header=BB6_7203 Depth=3
	s_or_b64 exec, exec, s[38:39]
	v_add_u32_e32 v2, 0xffffff81, v30
	v_mov_b32_e32 v20, 0xffffff82
	v_cndmask_b32_e32 v2, v2, v20, vcc
	v_lshrrev_b32_e32 v20, 23, v0
	v_add3_u32 v36, v36, v2, v20
	v_add_u32_e32 v30, 6, v36
	v_and_b32_e32 v1, 0xfffff, v1
	v_add_u32_e32 v20, v1, v0
	v_cmp_ne_u32_e32 vcc, 0, v30
                                        ; implicit-def: $vgpr0_vgpr1
                                        ; implicit-def: $vgpr2
	s_and_saveexec_b64 s[28:29], vcc
	s_xor_b64 s[28:29], exec, s[28:29]
; %bb.8425:                             ;   in Loop: Header=BB6_7203 Depth=3
	v_cmp_lt_u64_e32 vcc, s[88:89], v[20:21]
	v_add_u32_e32 v0, 7, v36
	v_cndmask_b32_e32 v2, v30, v0, vcc
	v_cndmask_b32_e64 v0, 0, 1, vcc
	v_lshrrev_b64 v[0:1], v0, v[20:21]
; %bb.8426:                             ;   in Loop: Header=BB6_7203 Depth=3
	s_andn2_saveexec_b64 s[28:29], s[28:29]
; %bb.8427:                             ;   in Loop: Header=BB6_7203 Depth=3
	v_mov_b32_e32 v0, v20
	v_bfe_u32 v2, v20, 23, 1
	v_mov_b32_e32 v1, v21
; %bb.8428:                             ;   in Loop: Header=BB6_7203 Depth=3
	s_or_b64 exec, exec, s[28:29]
	v_lshrrev_b64 v[0:1], 20, v[0:1]
	v_cmp_gt_i32_e32 vcc, 16, v2
	v_cndmask_b32_e32 v1, 0, v1, vcc
	v_cndmask_b32_e32 v0, 7, v0, vcc
	v_cmp_eq_u64_e64 s[28:29], 0, v[0:1]
	v_min_i32_e32 v1, 15, v2
	v_lshlrev_b32_e32 v1, 3, v1
	v_cmp_eq_u32_e32 vcc, 0, v2
	v_and_b32_e32 v1, 0xf8, v1
	v_and_or_b32 v0, v0, 7, v1
	s_and_b64 s[28:29], vcc, s[28:29]
	v_cndmask_b32_e64 v0, v0, 0, s[28:29]
	v_or_b32_e32 v44, v0, v28
.LBB6_8429:                             ;   in Loop: Header=BB6_7203 Depth=3
	s_or_b64 exec, exec, s[36:37]
                                        ; implicit-def: $vgpr28
.LBB6_8430:                             ;   in Loop: Header=BB6_7203 Depth=3
	s_andn2_saveexec_b64 s[28:29], s[34:35]
; %bb.8431:                             ;   in Loop: Header=BB6_7203 Depth=3
	v_or_b32_e32 v44, 0x7e, v28
; %bb.8432:                             ;   in Loop: Header=BB6_7203 Depth=3
	s_or_b64 exec, exec, s[28:29]
                                        ; implicit-def: $vgpr0
.LBB6_8433:                             ;   in Loop: Header=BB6_7203 Depth=3
	s_andn2_saveexec_b64 s[28:29], s[30:31]
; %bb.8434:                             ;   in Loop: Header=BB6_7203 Depth=3
	v_or_b32_sdwa v44, v0, s81 dst_sel:DWORD dst_unused:UNUSED_PAD src0_sel:BYTE_3 src1_sel:DWORD
; %bb.8435:                             ;   in Loop: Header=BB6_7203 Depth=3
	s_or_b64 exec, exec, s[28:29]
	v_mov_b32_e32 v20, v61
	v_cmp_ne_u16_sdwa vcc, v61, v21 src0_sel:BYTE_0 src1_sel:DWORD
	v_mov_b32_e32 v1, 0
	v_mov_b32_e32 v0, 0
	s_and_saveexec_b64 s[28:29], vcc
	s_cbranch_execz .LBB6_8441
; %bb.8436:                             ;   in Loop: Header=BB6_7203 Depth=3
	v_cmp_ne_u16_sdwa vcc, v61, s80 src0_sel:BYTE_0 src1_sel:DWORD
	v_bfrev_b32_e32 v0, 1
	s_and_saveexec_b64 s[30:31], vcc
	s_cbranch_execz .LBB6_8440
; %bb.8437:                             ;   in Loop: Header=BB6_7203 Depth=3
	v_and_b32_e32 v2, 0x7f, v61
	v_cmp_ne_u32_e32 vcc, s81, v2
	v_mov_b32_e32 v0, 0x7f800001
	s_and_saveexec_b64 s[34:35], vcc
	s_cbranch_execz .LBB6_8439
; %bb.8438:                             ;   in Loop: Header=BB6_7203 Depth=3
	v_and_b32_e32 v0, 7, v61
	v_ffbh_u32_e32 v0, v0
	v_min_u32_e32 v0, 32, v0
	v_lshrrev_b32_e32 v22, 3, v2
	v_cmp_gt_u32_e32 vcc, 8, v2
	v_subrev_u32_e32 v2, 28, v0
	v_cndmask_b32_e32 v2, 0, v2, vcc
	v_lshlrev_b64 v[36:37], v2, v[20:21]
	v_sub_u32_e32 v0, 29, v0
	v_cndmask_b32_e32 v0, v22, v0, vcc
	v_lshlrev_b32_e32 v2, 20, v36
	v_lshlrev_b32_e32 v22, 24, v20
	v_bfrev_b32_e32 v23, 60
	v_and_b32_e32 v2, 0x700000, v2
	v_and_b32_e32 v22, 0x80000000, v22
	v_lshl_add_u32 v0, v0, 23, v23
	v_or3_b32 v0, v22, v0, v2
.LBB6_8439:                             ;   in Loop: Header=BB6_7203 Depth=3
	s_or_b64 exec, exec, s[34:35]
.LBB6_8440:                             ;   in Loop: Header=BB6_7203 Depth=3
	s_or_b64 exec, exec, s[30:31]
.LBB6_8441:                             ;   in Loop: Header=BB6_7203 Depth=3
	s_or_b64 exec, exec, s[28:29]
	v_cmp_ne_u16_sdwa vcc, v19, v21 src0_sel:BYTE_0 src1_sel:DWORD
	s_and_saveexec_b64 s[28:29], vcc
	s_cbranch_execz .LBB6_8447
; %bb.8442:                             ;   in Loop: Header=BB6_7203 Depth=3
	v_cmp_ne_u16_sdwa vcc, v19, s80 src0_sel:BYTE_0 src1_sel:DWORD
	v_bfrev_b32_e32 v1, 1
	s_and_saveexec_b64 s[30:31], vcc
	s_cbranch_execz .LBB6_8446
; %bb.8443:                             ;   in Loop: Header=BB6_7203 Depth=3
	v_and_b32_e32 v2, 0x7f, v19
	v_cmp_ne_u32_e32 vcc, s81, v2
	v_mov_b32_e32 v1, 0x7f800001
	s_and_saveexec_b64 s[34:35], vcc
	s_cbranch_execz .LBB6_8445
; %bb.8444:                             ;   in Loop: Header=BB6_7203 Depth=3
	v_and_b32_e32 v1, 7, v19
	v_ffbh_u32_e32 v1, v1
	v_min_u32_e32 v1, 32, v1
	v_lshrrev_b32_e32 v22, 3, v2
	v_cmp_gt_u32_e32 vcc, 8, v2
	v_subrev_u32_e32 v2, 28, v1
	v_sub_u32_e32 v1, 29, v1
	v_mov_b32_e32 v36, v19
	v_mov_b32_e32 v37, v21
	v_cndmask_b32_e32 v22, v22, v1, vcc
	v_cndmask_b32_e32 v1, 0, v2, vcc
	v_lshlrev_b64 v[1:2], v1, v[36:37]
	v_lshlrev_b32_e32 v2, 24, v36
	v_lshlrev_b32_e32 v1, 20, v1
	v_bfrev_b32_e32 v23, 60
	v_and_b32_e32 v1, 0x700000, v1
	v_and_b32_e32 v2, 0x80000000, v2
	v_lshl_add_u32 v22, v22, 23, v23
	v_or3_b32 v1, v2, v22, v1
.LBB6_8445:                             ;   in Loop: Header=BB6_7203 Depth=3
	s_or_b64 exec, exec, s[34:35]
.LBB6_8446:                             ;   in Loop: Header=BB6_7203 Depth=3
	s_or_b64 exec, exec, s[30:31]
.LBB6_8447:                             ;   in Loop: Header=BB6_7203 Depth=3
	s_or_b64 exec, exec, s[28:29]
	v_mul_f32_e32 v0, v0, v1
	v_and_b32_e32 v1, 0x7f800000, v0
	v_mov_b32_e32 v2, v21
	v_cmp_ne_u64_e32 vcc, s[62:63], v[1:2]
                                        ; implicit-def: $vgpr45
	s_and_saveexec_b64 s[28:29], vcc
	s_xor_b64 s[30:31], exec, s[28:29]
	s_cbranch_execz .LBB6_8461
; %bb.8448:                             ;   in Loop: Header=BB6_7203 Depth=3
	v_and_b32_e32 v1, 0x7fffffff, v0
	v_mov_b32_e32 v2, v21
	v_cmp_gt_u64_e32 vcc, s[78:79], v[1:2]
	v_and_b32_sdwa v28, v0, s80 dst_sel:DWORD dst_unused:UNUSED_PAD src0_sel:BYTE_3 src1_sel:DWORD
                                        ; implicit-def: $vgpr45
	s_and_saveexec_b64 s[28:29], vcc
	s_xor_b64 s[34:35], exec, s[28:29]
	s_cbranch_execz .LBB6_8458
; %bb.8449:                             ;   in Loop: Header=BB6_7203 Depth=3
	v_mov_b32_e32 v45, 0
	v_cmp_ne_u32_e32 vcc, 0, v0
	s_and_saveexec_b64 s[36:37], vcc
	s_cbranch_execz .LBB6_8457
; %bb.8450:                             ;   in Loop: Header=BB6_7203 Depth=3
	v_bfe_u32 v30, v0, 23, 8
	v_and_b32_e32 v1, 0x7fffff, v0
	v_cmp_gt_u32_e64 s[28:29], s47, v30
	v_sub_u32_e32 v0, 0x79, v30
	v_cmp_eq_u32_e32 vcc, 0, v30
	v_cndmask_b32_e64 v0, 0, v0, s[28:29]
	v_mov_b32_e32 v22, 0x78
	v_or_b32_e32 v2, 0x800000, v1
	v_cndmask_b32_e32 v36, v0, v22, vcc
	v_cndmask_b32_e32 v0, v2, v1, vcc
	v_add_u32_e32 v2, 20, v36
	v_lshlrev_b64 v[37:38], v2, -1
	v_mov_b32_e32 v1, v21
	v_add_u32_e32 v2, 19, v36
	v_bfi_b32 v37, v37, 0, v0
	v_lshlrev_b64 v[50:51], v2, 1
	v_lshrrev_b64 v[0:1], v36, v[0:1]
	v_bfi_b32 v38, v38, 0, 0
	v_cmp_eq_u64_e64 s[28:29], v[37:38], v[50:51]
	v_mov_b32_e32 v2, v1
	v_mov_b32_e32 v1, v0
	s_and_saveexec_b64 s[38:39], s[28:29]
; %bb.8451:                             ;   in Loop: Header=BB6_7203 Depth=3
	v_bfe_u32 v1, v0, 20, 1
	v_add_co_u32_e64 v1, s[28:29], v0, v1
	v_add_co_u32_e64 v1, s[28:29], -1, v1
; %bb.8452:                             ;   in Loop: Header=BB6_7203 Depth=3
	s_or_b64 exec, exec, s[38:39]
	v_add_u32_e32 v2, 0xffffff81, v30
	v_mov_b32_e32 v22, 0xffffff82
	v_cndmask_b32_e32 v2, v2, v22, vcc
	v_lshrrev_b32_e32 v22, 23, v0
	v_add3_u32 v36, v36, v2, v22
	v_add_u32_e32 v30, 6, v36
	v_and_b32_e32 v1, 0xfffff, v1
	v_add_u32_e32 v0, v1, v0
	v_mov_b32_e32 v1, v21
	v_cmp_ne_u32_e32 vcc, 0, v30
                                        ; implicit-def: $vgpr2
	s_and_saveexec_b64 s[28:29], vcc
	s_xor_b64 s[28:29], exec, s[28:29]
; %bb.8453:                             ;   in Loop: Header=BB6_7203 Depth=3
	v_cmp_lt_u64_e32 vcc, s[88:89], v[0:1]
	v_add_u32_e32 v2, 7, v36
	v_cndmask_b32_e64 v22, 0, 1, vcc
	v_lshrrev_b64 v[0:1], v22, v[0:1]
	v_cndmask_b32_e32 v2, v30, v2, vcc
; %bb.8454:                             ;   in Loop: Header=BB6_7203 Depth=3
	s_andn2_saveexec_b64 s[28:29], s[28:29]
; %bb.8455:                             ;   in Loop: Header=BB6_7203 Depth=3
	v_bfe_u32 v2, v0, 23, 1
; %bb.8456:                             ;   in Loop: Header=BB6_7203 Depth=3
	s_or_b64 exec, exec, s[28:29]
	v_lshrrev_b64 v[0:1], 20, v[0:1]
	v_cmp_gt_i32_e32 vcc, 16, v2
	v_cndmask_b32_e32 v1, 0, v1, vcc
	v_cndmask_b32_e32 v0, 7, v0, vcc
	v_cmp_eq_u64_e64 s[28:29], 0, v[0:1]
	v_min_i32_e32 v1, 15, v2
	v_lshlrev_b32_e32 v1, 3, v1
	v_cmp_eq_u32_e32 vcc, 0, v2
	v_and_b32_e32 v1, 0xf8, v1
	v_and_or_b32 v0, v0, 7, v1
	s_and_b64 s[28:29], vcc, s[28:29]
	v_cndmask_b32_e64 v0, v0, 0, s[28:29]
	v_or_b32_e32 v45, v0, v28
.LBB6_8457:                             ;   in Loop: Header=BB6_7203 Depth=3
	s_or_b64 exec, exec, s[36:37]
                                        ; implicit-def: $vgpr28
.LBB6_8458:                             ;   in Loop: Header=BB6_7203 Depth=3
	s_andn2_saveexec_b64 s[28:29], s[34:35]
; %bb.8459:                             ;   in Loop: Header=BB6_7203 Depth=3
	v_or_b32_e32 v45, 0x7e, v28
; %bb.8460:                             ;   in Loop: Header=BB6_7203 Depth=3
	s_or_b64 exec, exec, s[28:29]
                                        ; implicit-def: $vgpr0
.LBB6_8461:                             ;   in Loop: Header=BB6_7203 Depth=3
	s_andn2_saveexec_b64 s[28:29], s[30:31]
; %bb.8462:                             ;   in Loop: Header=BB6_7203 Depth=3
	v_or_b32_sdwa v45, v0, s81 dst_sel:DWORD dst_unused:UNUSED_PAD src0_sel:BYTE_3 src1_sel:DWORD
; %bb.8463:                             ;   in Loop: Header=BB6_7203 Depth=3
	s_or_b64 exec, exec, s[28:29]
	v_lshrrev_b16_e32 v0, 8, v20
	v_cmp_ne_u16_e32 vcc, 0, v0
	v_mov_b32_e32 v1, 0
	v_mov_b32_e32 v2, 0
	s_and_saveexec_b64 s[28:29], vcc
	s_cbranch_execz .LBB6_8469
; %bb.8464:                             ;   in Loop: Header=BB6_7203 Depth=3
	v_cmp_ne_u16_e32 vcc, s80, v0
	v_bfrev_b32_e32 v2, 1
	s_and_saveexec_b64 s[30:31], vcc
	s_cbranch_execz .LBB6_8468
; %bb.8465:                             ;   in Loop: Header=BB6_7203 Depth=3
	v_and_b32_e32 v28, 0x7f, v0
	v_cmp_ne_u32_e32 vcc, s81, v28
	v_mov_b32_e32 v2, 0x7f800001
	s_and_saveexec_b64 s[34:35], vcc
	s_cbranch_execz .LBB6_8467
; %bb.8466:                             ;   in Loop: Header=BB6_7203 Depth=3
	v_and_b32_e32 v2, 7, v0
	v_ffbh_u32_e32 v23, v2
	v_min_u32_e32 v23, 32, v23
	v_lshrrev_b32_e32 v22, 3, v28
	v_cmp_gt_u32_e32 vcc, 8, v28
	v_subrev_u32_e32 v28, 28, v23
	v_lshlrev_b64 v[36:37], v28, v[0:1]
	v_sub_u32_e32 v0, 29, v23
	v_and_b32_e32 v23, 7, v36
	v_cndmask_b32_e32 v0, v22, v0, vcc
	v_cndmask_b32_e32 v2, v2, v23, vcc
	v_lshlrev_b32_e32 v20, 16, v20
	v_bfrev_b32_e32 v22, 60
	v_lshlrev_b32_e32 v2, 20, v2
	v_and_b32_e32 v20, 0x80000000, v20
	v_lshl_add_u32 v0, v0, 23, v22
	v_or3_b32 v2, v20, v0, v2
.LBB6_8467:                             ;   in Loop: Header=BB6_7203 Depth=3
	s_or_b64 exec, exec, s[34:35]
.LBB6_8468:                             ;   in Loop: Header=BB6_7203 Depth=3
	s_or_b64 exec, exec, s[30:31]
.LBB6_8469:                             ;   in Loop: Header=BB6_7203 Depth=3
	s_or_b64 exec, exec, s[28:29]
	v_lshrrev_b16_e32 v0, 8, v19
	v_cmp_ne_u16_e32 vcc, 0, v0
	s_and_saveexec_b64 s[28:29], vcc
	s_cbranch_execz .LBB6_8475
; %bb.8470:                             ;   in Loop: Header=BB6_7203 Depth=3
	v_cmp_ne_u16_e32 vcc, s80, v0
	v_bfrev_b32_e32 v1, 1
	s_and_saveexec_b64 s[30:31], vcc
	s_cbranch_execz .LBB6_8474
; %bb.8471:                             ;   in Loop: Header=BB6_7203 Depth=3
	v_and_b32_e32 v20, 0x7f, v0
	v_cmp_ne_u32_e32 vcc, s81, v20
	v_mov_b32_e32 v1, 0x7f800001
	s_and_saveexec_b64 s[34:35], vcc
	s_cbranch_execz .LBB6_8473
; %bb.8472:                             ;   in Loop: Header=BB6_7203 Depth=3
	v_and_b32_e32 v22, 7, v0
	v_ffbh_u32_e32 v1, v22
	v_lshrrev_b32_e32 v23, 3, v20
	v_cmp_gt_u32_e32 vcc, 8, v20
	v_min_u32_e32 v20, 32, v1
	v_subrev_u32_e32 v1, 28, v20
	v_lshlrev_b64 v[0:1], v1, v[0:1]
	v_sub_u32_e32 v1, 29, v20
	v_and_b32_e32 v0, 7, v0
	v_cndmask_b32_e32 v1, v23, v1, vcc
	v_cndmask_b32_e32 v0, v22, v0, vcc
	v_lshlrev_b32_e32 v20, 16, v19
	v_bfrev_b32_e32 v22, 60
	v_lshlrev_b32_e32 v0, 20, v0
	v_and_b32_e32 v20, 0x80000000, v20
	v_lshl_add_u32 v1, v1, 23, v22
	v_or3_b32 v1, v20, v1, v0
.LBB6_8473:                             ;   in Loop: Header=BB6_7203 Depth=3
	s_or_b64 exec, exec, s[34:35]
.LBB6_8474:                             ;   in Loop: Header=BB6_7203 Depth=3
	s_or_b64 exec, exec, s[30:31]
.LBB6_8475:                             ;   in Loop: Header=BB6_7203 Depth=3
	s_or_b64 exec, exec, s[28:29]
	v_mul_f32_e32 v0, v2, v1
	v_and_b32_e32 v20, 0x7f800000, v0
	v_cmp_ne_u64_e32 vcc, s[62:63], v[20:21]
                                        ; implicit-def: $vgpr30
	s_and_saveexec_b64 s[28:29], vcc
	s_xor_b64 s[30:31], exec, s[28:29]
	s_cbranch_execz .LBB6_8489
; %bb.8476:                             ;   in Loop: Header=BB6_7203 Depth=3
	v_and_b32_e32 v20, 0x7fffffff, v0
	v_cmp_gt_u64_e32 vcc, s[78:79], v[20:21]
	v_and_b32_sdwa v28, v0, s80 dst_sel:DWORD dst_unused:UNUSED_PAD src0_sel:BYTE_3 src1_sel:DWORD
                                        ; implicit-def: $vgpr30
	s_and_saveexec_b64 s[28:29], vcc
	s_xor_b64 s[34:35], exec, s[28:29]
	s_cbranch_execz .LBB6_8486
; %bb.8477:                             ;   in Loop: Header=BB6_7203 Depth=3
	v_mov_b32_e32 v30, 0
	v_cmp_ne_u32_e32 vcc, 0, v0
	s_and_saveexec_b64 s[36:37], vcc
	s_cbranch_execz .LBB6_8485
; %bb.8478:                             ;   in Loop: Header=BB6_7203 Depth=3
	v_bfe_u32 v30, v0, 23, 8
	v_and_b32_e32 v1, 0x7fffff, v0
	v_cmp_gt_u32_e64 s[28:29], s47, v30
	v_sub_u32_e32 v0, 0x79, v30
	v_cmp_eq_u32_e32 vcc, 0, v30
	v_cndmask_b32_e64 v0, 0, v0, s[28:29]
	v_mov_b32_e32 v20, 0x78
	v_cndmask_b32_e32 v36, v0, v20, vcc
	v_or_b32_e32 v2, 0x800000, v1
	v_add_u32_e32 v0, 20, v36
	v_cndmask_b32_e32 v20, v2, v1, vcc
	v_lshlrev_b64 v[0:1], v0, -1
	v_add_u32_e32 v2, 19, v36
	v_lshlrev_b64 v[37:38], v2, 1
	v_bfi_b32 v1, v1, 0, 0
	v_bfi_b32 v0, v0, 0, v20
	v_cmp_eq_u64_e64 s[28:29], v[0:1], v[37:38]
	v_lshrrev_b64 v[0:1], v36, v[20:21]
	v_mov_b32_e32 v2, v1
	v_mov_b32_e32 v1, v0
	s_and_saveexec_b64 s[38:39], s[28:29]
; %bb.8479:                             ;   in Loop: Header=BB6_7203 Depth=3
	v_bfe_u32 v1, v0, 20, 1
	v_add_co_u32_e64 v1, s[28:29], v0, v1
	v_add_co_u32_e64 v1, s[28:29], -1, v1
; %bb.8480:                             ;   in Loop: Header=BB6_7203 Depth=3
	s_or_b64 exec, exec, s[38:39]
	v_add_u32_e32 v2, 0xffffff81, v30
	v_mov_b32_e32 v20, 0xffffff82
	v_cndmask_b32_e32 v2, v2, v20, vcc
	v_lshrrev_b32_e32 v20, 23, v0
	v_add3_u32 v36, v36, v2, v20
	v_add_u32_e32 v30, 6, v36
	v_and_b32_e32 v1, 0xfffff, v1
	v_add_u32_e32 v20, v1, v0
	v_cmp_ne_u32_e32 vcc, 0, v30
                                        ; implicit-def: $vgpr0_vgpr1
                                        ; implicit-def: $vgpr2
	s_and_saveexec_b64 s[28:29], vcc
	s_xor_b64 s[28:29], exec, s[28:29]
; %bb.8481:                             ;   in Loop: Header=BB6_7203 Depth=3
	v_cmp_lt_u64_e32 vcc, s[88:89], v[20:21]
	v_add_u32_e32 v0, 7, v36
	v_cndmask_b32_e32 v2, v30, v0, vcc
	v_cndmask_b32_e64 v0, 0, 1, vcc
	v_lshrrev_b64 v[0:1], v0, v[20:21]
; %bb.8482:                             ;   in Loop: Header=BB6_7203 Depth=3
	s_andn2_saveexec_b64 s[28:29], s[28:29]
; %bb.8483:                             ;   in Loop: Header=BB6_7203 Depth=3
	v_mov_b32_e32 v0, v20
	v_bfe_u32 v2, v20, 23, 1
	v_mov_b32_e32 v1, v21
; %bb.8484:                             ;   in Loop: Header=BB6_7203 Depth=3
	s_or_b64 exec, exec, s[28:29]
	v_lshrrev_b64 v[0:1], 20, v[0:1]
	v_cmp_gt_i32_e32 vcc, 16, v2
	v_cndmask_b32_e32 v1, 0, v1, vcc
	v_cndmask_b32_e32 v0, 7, v0, vcc
	v_cmp_eq_u64_e64 s[28:29], 0, v[0:1]
	v_min_i32_e32 v1, 15, v2
	v_lshlrev_b32_e32 v1, 3, v1
	v_cmp_eq_u32_e32 vcc, 0, v2
	v_and_b32_e32 v1, 0xf8, v1
	v_and_or_b32 v0, v0, 7, v1
	s_and_b64 s[28:29], vcc, s[28:29]
	v_cndmask_b32_e64 v0, v0, 0, s[28:29]
	v_or_b32_e32 v30, v0, v28
.LBB6_8485:                             ;   in Loop: Header=BB6_7203 Depth=3
	s_or_b64 exec, exec, s[36:37]
                                        ; implicit-def: $vgpr28
.LBB6_8486:                             ;   in Loop: Header=BB6_7203 Depth=3
	s_andn2_saveexec_b64 s[28:29], s[34:35]
; %bb.8487:                             ;   in Loop: Header=BB6_7203 Depth=3
	v_or_b32_e32 v30, 0x7e, v28
; %bb.8488:                             ;   in Loop: Header=BB6_7203 Depth=3
	s_or_b64 exec, exec, s[28:29]
                                        ; implicit-def: $vgpr0
.LBB6_8489:                             ;   in Loop: Header=BB6_7203 Depth=3
	s_andn2_saveexec_b64 s[28:29], s[30:31]
; %bb.8490:                             ;   in Loop: Header=BB6_7203 Depth=3
	v_or_b32_sdwa v30, v0, s81 dst_sel:DWORD dst_unused:UNUSED_PAD src0_sel:BYTE_3 src1_sel:DWORD
; %bb.8491:                             ;   in Loop: Header=BB6_7203 Depth=3
	s_or_b64 exec, exec, s[28:29]
	v_lshrrev_b32_e32 v0, 16, v61
	v_cmp_ne_u16_sdwa vcc, v0, v21 src0_sel:BYTE_0 src1_sel:DWORD
	v_mov_b32_e32 v1, 0
	v_mov_b32_e32 v2, 0
	s_and_saveexec_b64 s[28:29], vcc
	s_cbranch_execz .LBB6_8497
; %bb.8492:                             ;   in Loop: Header=BB6_7203 Depth=3
	v_cmp_ne_u16_sdwa vcc, v0, s80 src0_sel:BYTE_0 src1_sel:DWORD
	v_bfrev_b32_e32 v2, 1
	s_and_saveexec_b64 s[30:31], vcc
	s_cbranch_execz .LBB6_8496
; %bb.8493:                             ;   in Loop: Header=BB6_7203 Depth=3
	v_bfe_u32 v20, v61, 16, 7
	v_cmp_ne_u32_e32 vcc, s81, v20
	v_mov_b32_e32 v2, 0x7f800001
	s_and_saveexec_b64 s[34:35], vcc
	s_cbranch_execz .LBB6_8495
; %bb.8494:                             ;   in Loop: Header=BB6_7203 Depth=3
	v_and_b32_e32 v2, 7, v0
	v_lshrrev_b32_e32 v22, 3, v20
	v_cmp_gt_u32_e32 vcc, 8, v20
	v_ffbh_u32_e32 v20, v2
	v_min_u32_e32 v20, 32, v20
	v_subrev_u32_e32 v23, 28, v20
	v_lshlrev_b64 v[36:37], v23, v[0:1]
	v_sub_u32_e32 v20, 29, v20
	v_and_b32_e32 v23, 7, v36
	v_cndmask_b32_e32 v20, v22, v20, vcc
	v_cndmask_b32_e32 v2, v2, v23, vcc
	v_lshlrev_b32_e32 v0, 24, v0
	v_bfrev_b32_e32 v22, 60
	v_lshlrev_b32_e32 v2, 20, v2
	v_and_b32_e32 v0, 0x80000000, v0
	v_lshl_add_u32 v20, v20, 23, v22
	v_or3_b32 v2, v0, v20, v2
.LBB6_8495:                             ;   in Loop: Header=BB6_7203 Depth=3
	s_or_b64 exec, exec, s[34:35]
.LBB6_8496:                             ;   in Loop: Header=BB6_7203 Depth=3
	s_or_b64 exec, exec, s[30:31]
.LBB6_8497:                             ;   in Loop: Header=BB6_7203 Depth=3
	s_or_b64 exec, exec, s[28:29]
	v_lshrrev_b32_e32 v0, 16, v19
	v_cmp_ne_u16_sdwa vcc, v0, v21 src0_sel:BYTE_0 src1_sel:DWORD
	s_and_saveexec_b64 s[28:29], vcc
	s_cbranch_execz .LBB6_8503
; %bb.8498:                             ;   in Loop: Header=BB6_7203 Depth=3
	v_cmp_ne_u16_sdwa vcc, v0, s80 src0_sel:BYTE_0 src1_sel:DWORD
	v_bfrev_b32_e32 v1, 1
	s_and_saveexec_b64 s[30:31], vcc
	s_cbranch_execz .LBB6_8502
; %bb.8499:                             ;   in Loop: Header=BB6_7203 Depth=3
	v_bfe_u32 v20, v19, 16, 7
	v_cmp_ne_u32_e32 vcc, s81, v20
	v_mov_b32_e32 v1, 0x7f800001
	s_and_saveexec_b64 s[34:35], vcc
	s_cbranch_execz .LBB6_8501
; %bb.8500:                             ;   in Loop: Header=BB6_7203 Depth=3
	v_and_b32_e32 v22, 7, v0
	v_ffbh_u32_e32 v1, v22
	v_lshrrev_b32_e32 v23, 3, v20
	v_cmp_gt_u32_e32 vcc, 8, v20
	v_min_u32_e32 v20, 32, v1
	v_subrev_u32_e32 v1, 28, v20
	v_lshlrev_b64 v[0:1], v1, v[0:1]
	v_sub_u32_e32 v1, 29, v20
	v_and_b32_e32 v0, 7, v0
	v_cndmask_b32_e32 v1, v23, v1, vcc
	v_cndmask_b32_e32 v0, v22, v0, vcc
	v_lshlrev_b32_e32 v20, 8, v19
	v_bfrev_b32_e32 v22, 60
	v_lshlrev_b32_e32 v0, 20, v0
	v_and_b32_e32 v20, 0x80000000, v20
	v_lshl_add_u32 v1, v1, 23, v22
	v_or3_b32 v1, v20, v1, v0
.LBB6_8501:                             ;   in Loop: Header=BB6_7203 Depth=3
	s_or_b64 exec, exec, s[34:35]
.LBB6_8502:                             ;   in Loop: Header=BB6_7203 Depth=3
	s_or_b64 exec, exec, s[30:31]
.LBB6_8503:                             ;   in Loop: Header=BB6_7203 Depth=3
	s_or_b64 exec, exec, s[28:29]
	v_mul_f32_e32 v0, v2, v1
	v_and_b32_e32 v20, 0x7f800000, v0
	v_cmp_ne_u64_e32 vcc, s[62:63], v[20:21]
                                        ; implicit-def: $vgpr42
	s_and_saveexec_b64 s[28:29], vcc
	s_xor_b64 s[30:31], exec, s[28:29]
	s_cbranch_execz .LBB6_8517
; %bb.8504:                             ;   in Loop: Header=BB6_7203 Depth=3
	v_and_b32_e32 v20, 0x7fffffff, v0
	v_cmp_gt_u64_e32 vcc, s[78:79], v[20:21]
	v_and_b32_sdwa v28, v0, s80 dst_sel:DWORD dst_unused:UNUSED_PAD src0_sel:BYTE_3 src1_sel:DWORD
                                        ; implicit-def: $vgpr42
	s_and_saveexec_b64 s[28:29], vcc
	s_xor_b64 s[34:35], exec, s[28:29]
	s_cbranch_execz .LBB6_8514
; %bb.8505:                             ;   in Loop: Header=BB6_7203 Depth=3
	v_mov_b32_e32 v42, 0
	v_cmp_ne_u32_e32 vcc, 0, v0
	s_and_saveexec_b64 s[36:37], vcc
	s_cbranch_execz .LBB6_8513
; %bb.8506:                             ;   in Loop: Header=BB6_7203 Depth=3
	v_bfe_u32 v36, v0, 23, 8
	v_and_b32_e32 v1, 0x7fffff, v0
	v_cmp_gt_u32_e64 s[28:29], s47, v36
	v_sub_u32_e32 v0, 0x79, v36
	v_cmp_eq_u32_e32 vcc, 0, v36
	v_cndmask_b32_e64 v0, 0, v0, s[28:29]
	v_mov_b32_e32 v20, 0x78
	v_cndmask_b32_e32 v37, v0, v20, vcc
	v_or_b32_e32 v2, 0x800000, v1
	v_add_u32_e32 v0, 20, v37
	v_cndmask_b32_e32 v20, v2, v1, vcc
	v_lshlrev_b64 v[0:1], v0, -1
	v_add_u32_e32 v2, 19, v37
	v_lshlrev_b64 v[38:39], v2, 1
	v_bfi_b32 v1, v1, 0, 0
	v_bfi_b32 v0, v0, 0, v20
	v_cmp_eq_u64_e64 s[28:29], v[0:1], v[38:39]
	v_lshrrev_b64 v[0:1], v37, v[20:21]
	v_mov_b32_e32 v2, v1
	v_mov_b32_e32 v1, v0
	s_and_saveexec_b64 s[38:39], s[28:29]
; %bb.8507:                             ;   in Loop: Header=BB6_7203 Depth=3
	v_bfe_u32 v1, v0, 20, 1
	v_add_co_u32_e64 v1, s[28:29], v0, v1
	v_add_co_u32_e64 v1, s[28:29], -1, v1
; %bb.8508:                             ;   in Loop: Header=BB6_7203 Depth=3
	s_or_b64 exec, exec, s[38:39]
	v_add_u32_e32 v2, 0xffffff81, v36
	v_mov_b32_e32 v20, 0xffffff82
	v_cndmask_b32_e32 v2, v2, v20, vcc
	v_lshrrev_b32_e32 v20, 23, v0
	v_add3_u32 v37, v37, v2, v20
	v_add_u32_e32 v36, 6, v37
	v_and_b32_e32 v1, 0xfffff, v1
	v_add_u32_e32 v20, v1, v0
	v_cmp_ne_u32_e32 vcc, 0, v36
                                        ; implicit-def: $vgpr0_vgpr1
                                        ; implicit-def: $vgpr2
	s_and_saveexec_b64 s[28:29], vcc
	s_xor_b64 s[28:29], exec, s[28:29]
; %bb.8509:                             ;   in Loop: Header=BB6_7203 Depth=3
	v_cmp_lt_u64_e32 vcc, s[88:89], v[20:21]
	v_add_u32_e32 v0, 7, v37
	v_cndmask_b32_e32 v2, v36, v0, vcc
	v_cndmask_b32_e64 v0, 0, 1, vcc
	v_lshrrev_b64 v[0:1], v0, v[20:21]
; %bb.8510:                             ;   in Loop: Header=BB6_7203 Depth=3
	s_andn2_saveexec_b64 s[28:29], s[28:29]
; %bb.8511:                             ;   in Loop: Header=BB6_7203 Depth=3
	v_mov_b32_e32 v0, v20
	v_bfe_u32 v2, v20, 23, 1
	v_mov_b32_e32 v1, v21
; %bb.8512:                             ;   in Loop: Header=BB6_7203 Depth=3
	s_or_b64 exec, exec, s[28:29]
	v_lshrrev_b64 v[0:1], 20, v[0:1]
	v_cmp_gt_i32_e32 vcc, 16, v2
	v_cndmask_b32_e32 v1, 0, v1, vcc
	v_cndmask_b32_e32 v0, 7, v0, vcc
	v_cmp_eq_u64_e64 s[28:29], 0, v[0:1]
	v_min_i32_e32 v1, 15, v2
	v_lshlrev_b32_e32 v1, 3, v1
	v_cmp_eq_u32_e32 vcc, 0, v2
	v_and_b32_e32 v1, 0xf8, v1
	v_and_or_b32 v0, v0, 7, v1
	s_and_b64 s[28:29], vcc, s[28:29]
	v_cndmask_b32_e64 v0, v0, 0, s[28:29]
	v_or_b32_e32 v42, v0, v28
.LBB6_8513:                             ;   in Loop: Header=BB6_7203 Depth=3
	s_or_b64 exec, exec, s[36:37]
                                        ; implicit-def: $vgpr28
.LBB6_8514:                             ;   in Loop: Header=BB6_7203 Depth=3
	s_andn2_saveexec_b64 s[28:29], s[34:35]
; %bb.8515:                             ;   in Loop: Header=BB6_7203 Depth=3
	v_or_b32_e32 v42, 0x7e, v28
; %bb.8516:                             ;   in Loop: Header=BB6_7203 Depth=3
	s_or_b64 exec, exec, s[28:29]
                                        ; implicit-def: $vgpr0
.LBB6_8517:                             ;   in Loop: Header=BB6_7203 Depth=3
	s_andn2_saveexec_b64 s[28:29], s[30:31]
; %bb.8518:                             ;   in Loop: Header=BB6_7203 Depth=3
	v_or_b32_sdwa v42, v0, s81 dst_sel:DWORD dst_unused:UNUSED_PAD src0_sel:BYTE_3 src1_sel:DWORD
; %bb.8519:                             ;   in Loop: Header=BB6_7203 Depth=3
	s_or_b64 exec, exec, s[28:29]
	v_cmp_lt_u64_e32 vcc, s[56:57], v[60:61]
	v_mov_b32_e32 v1, 0
	v_mov_b32_e32 v2, 0
	s_and_saveexec_b64 s[28:29], vcc
	s_cbranch_execz .LBB6_8525
; %bb.8520:                             ;   in Loop: Header=BB6_7203 Depth=3
	v_lshrrev_b32_e32 v0, 24, v61
	v_cmp_ne_u32_e32 vcc, s80, v0
	v_bfrev_b32_e32 v2, 1
	s_and_saveexec_b64 s[30:31], vcc
	s_cbranch_execz .LBB6_8524
; %bb.8521:                             ;   in Loop: Header=BB6_7203 Depth=3
	v_bfe_u32 v20, v61, 24, 7
	v_cmp_ne_u32_e32 vcc, s81, v20
	v_mov_b32_e32 v2, 0x7f800001
	s_and_saveexec_b64 s[34:35], vcc
	s_cbranch_execz .LBB6_8523
; %bb.8522:                             ;   in Loop: Header=BB6_7203 Depth=3
	v_and_b32_e32 v2, 7, v0
	v_lshrrev_b32_e32 v22, 3, v20
	v_cmp_gt_u32_e32 vcc, 8, v20
	v_ffbh_u32_e32 v20, v2
	v_min_u32_e32 v20, 32, v20
	v_subrev_u32_e32 v23, 28, v20
	v_lshlrev_b64 v[36:37], v23, v[0:1]
	v_sub_u32_e32 v20, 29, v20
	v_and_b32_e32 v23, 7, v36
	v_cndmask_b32_e32 v20, v22, v20, vcc
	v_cndmask_b32_e32 v2, v2, v23, vcc
	v_lshlrev_b32_e32 v0, 24, v0
	v_bfrev_b32_e32 v22, 60
	v_lshlrev_b32_e32 v2, 20, v2
	v_and_b32_e32 v0, 0x80000000, v0
	v_lshl_add_u32 v20, v20, 23, v22
	v_or3_b32 v2, v0, v20, v2
.LBB6_8523:                             ;   in Loop: Header=BB6_7203 Depth=3
	s_or_b64 exec, exec, s[34:35]
.LBB6_8524:                             ;   in Loop: Header=BB6_7203 Depth=3
	s_or_b64 exec, exec, s[30:31]
.LBB6_8525:                             ;   in Loop: Header=BB6_7203 Depth=3
	s_or_b64 exec, exec, s[28:29]
	v_cmp_lt_u64_e32 vcc, s[56:57], v[18:19]
	s_and_saveexec_b64 s[28:29], vcc
	s_cbranch_execz .LBB6_8531
; %bb.8526:                             ;   in Loop: Header=BB6_7203 Depth=3
	v_lshrrev_b32_e32 v0, 24, v19
	v_cmp_ne_u32_e32 vcc, s80, v0
	v_bfrev_b32_e32 v1, 1
	s_and_saveexec_b64 s[30:31], vcc
	s_cbranch_execz .LBB6_8530
; %bb.8527:                             ;   in Loop: Header=BB6_7203 Depth=3
	v_bfe_u32 v18, v19, 24, 7
	v_cmp_ne_u32_e32 vcc, s81, v18
	v_mov_b32_e32 v1, 0x7f800001
	s_and_saveexec_b64 s[34:35], vcc
	s_cbranch_execz .LBB6_8529
; %bb.8528:                             ;   in Loop: Header=BB6_7203 Depth=3
	v_and_b32_e32 v1, 7, v0
	v_lshrrev_b32_e32 v20, 3, v18
	v_cmp_gt_u32_e32 vcc, 8, v18
	v_ffbh_u32_e32 v18, v1
	v_min_u32_e32 v22, 32, v18
	v_subrev_u32_e32 v18, 28, v22
	v_lshlrev_b64 v[18:19], v18, v[0:1]
	v_sub_u32_e32 v19, 29, v22
	v_and_b32_e32 v18, 7, v18
	v_cndmask_b32_e32 v19, v20, v19, vcc
	v_cndmask_b32_e32 v1, v1, v18, vcc
	v_lshlrev_b32_e32 v0, 24, v0
	v_bfrev_b32_e32 v18, 60
	v_lshlrev_b32_e32 v1, 20, v1
	v_and_b32_e32 v0, 0x80000000, v0
	v_lshl_add_u32 v18, v19, 23, v18
	v_or3_b32 v1, v0, v18, v1
.LBB6_8529:                             ;   in Loop: Header=BB6_7203 Depth=3
	s_or_b64 exec, exec, s[34:35]
.LBB6_8530:                             ;   in Loop: Header=BB6_7203 Depth=3
	s_or_b64 exec, exec, s[30:31]
.LBB6_8531:                             ;   in Loop: Header=BB6_7203 Depth=3
	s_or_b64 exec, exec, s[28:29]
	v_mul_f32_e32 v0, v2, v1
	v_and_b32_e32 v20, 0x7f800000, v0
	v_cmp_ne_u64_e32 vcc, s[62:63], v[20:21]
                                        ; implicit-def: $vgpr18
	s_and_saveexec_b64 s[28:29], vcc
	s_xor_b64 s[30:31], exec, s[28:29]
	s_cbranch_execz .LBB6_8545
; %bb.8532:                             ;   in Loop: Header=BB6_7203 Depth=3
	v_and_b32_e32 v20, 0x7fffffff, v0
	v_cmp_gt_u64_e32 vcc, s[78:79], v[20:21]
	v_and_b32_sdwa v19, v0, s80 dst_sel:DWORD dst_unused:UNUSED_PAD src0_sel:BYTE_3 src1_sel:DWORD
                                        ; implicit-def: $vgpr18
	s_and_saveexec_b64 s[28:29], vcc
	s_xor_b64 s[34:35], exec, s[28:29]
	s_cbranch_execz .LBB6_8542
; %bb.8533:                             ;   in Loop: Header=BB6_7203 Depth=3
	v_mov_b32_e32 v18, 0
	v_cmp_ne_u32_e32 vcc, 0, v0
	s_and_saveexec_b64 s[36:37], vcc
	s_cbranch_execz .LBB6_8541
; %bb.8534:                             ;   in Loop: Header=BB6_7203 Depth=3
	v_bfe_u32 v18, v0, 23, 8
	v_and_b32_e32 v1, 0x7fffff, v0
	v_cmp_gt_u32_e64 s[28:29], s47, v18
	v_sub_u32_e32 v0, 0x79, v18
	v_cmp_eq_u32_e32 vcc, 0, v18
	v_cndmask_b32_e64 v0, 0, v0, s[28:29]
	v_mov_b32_e32 v20, 0x78
	v_cndmask_b32_e32 v28, v0, v20, vcc
	v_or_b32_e32 v2, 0x800000, v1
	v_add_u32_e32 v0, 20, v28
	v_cndmask_b32_e32 v20, v2, v1, vcc
	v_lshlrev_b64 v[0:1], v0, -1
	v_add_u32_e32 v2, 19, v28
	v_lshlrev_b64 v[36:37], v2, 1
	v_bfi_b32 v1, v1, 0, 0
	v_bfi_b32 v0, v0, 0, v20
	v_cmp_eq_u64_e64 s[28:29], v[0:1], v[36:37]
	v_lshrrev_b64 v[0:1], v28, v[20:21]
	v_mov_b32_e32 v2, v1
	v_mov_b32_e32 v1, v0
	s_and_saveexec_b64 s[38:39], s[28:29]
; %bb.8535:                             ;   in Loop: Header=BB6_7203 Depth=3
	v_bfe_u32 v1, v0, 20, 1
	v_add_co_u32_e64 v1, s[28:29], v0, v1
	v_add_co_u32_e64 v1, s[28:29], -1, v1
; %bb.8536:                             ;   in Loop: Header=BB6_7203 Depth=3
	s_or_b64 exec, exec, s[38:39]
	v_add_u32_e32 v2, 0xffffff81, v18
	v_mov_b32_e32 v18, 0xffffff82
	v_cndmask_b32_e32 v2, v2, v18, vcc
	v_lshrrev_b32_e32 v18, 23, v0
	v_add3_u32 v28, v28, v2, v18
	v_add_u32_e32 v18, 6, v28
	v_and_b32_e32 v1, 0xfffff, v1
	v_add_u32_e32 v20, v1, v0
	v_cmp_ne_u32_e32 vcc, 0, v18
                                        ; implicit-def: $vgpr0_vgpr1
                                        ; implicit-def: $vgpr2
	s_and_saveexec_b64 s[28:29], vcc
	s_xor_b64 s[28:29], exec, s[28:29]
; %bb.8537:                             ;   in Loop: Header=BB6_7203 Depth=3
	v_cmp_lt_u64_e32 vcc, s[88:89], v[20:21]
	v_add_u32_e32 v0, 7, v28
	v_cndmask_b32_e32 v2, v18, v0, vcc
	v_cndmask_b32_e64 v0, 0, 1, vcc
	v_lshrrev_b64 v[0:1], v0, v[20:21]
; %bb.8538:                             ;   in Loop: Header=BB6_7203 Depth=3
	s_andn2_saveexec_b64 s[28:29], s[28:29]
; %bb.8539:                             ;   in Loop: Header=BB6_7203 Depth=3
	v_mov_b32_e32 v0, v20
	v_bfe_u32 v2, v20, 23, 1
	v_mov_b32_e32 v1, v21
; %bb.8540:                             ;   in Loop: Header=BB6_7203 Depth=3
	s_or_b64 exec, exec, s[28:29]
	v_lshrrev_b64 v[0:1], 20, v[0:1]
	v_cmp_gt_i32_e32 vcc, 16, v2
	v_cndmask_b32_e32 v1, 0, v1, vcc
	v_cndmask_b32_e32 v0, 7, v0, vcc
	v_cmp_eq_u64_e64 s[28:29], 0, v[0:1]
	v_min_i32_e32 v1, 15, v2
	v_lshlrev_b32_e32 v1, 3, v1
	v_cmp_eq_u32_e32 vcc, 0, v2
	v_and_b32_e32 v1, 0xf8, v1
	v_and_or_b32 v0, v0, 7, v1
	s_and_b64 s[28:29], vcc, s[28:29]
	v_cndmask_b32_e64 v0, v0, 0, s[28:29]
	v_or_b32_e32 v18, v0, v19
.LBB6_8541:                             ;   in Loop: Header=BB6_7203 Depth=3
	s_or_b64 exec, exec, s[36:37]
                                        ; implicit-def: $vgpr19
.LBB6_8542:                             ;   in Loop: Header=BB6_7203 Depth=3
	s_andn2_saveexec_b64 s[28:29], s[34:35]
; %bb.8543:                             ;   in Loop: Header=BB6_7203 Depth=3
	v_or_b32_e32 v18, 0x7e, v19
; %bb.8544:                             ;   in Loop: Header=BB6_7203 Depth=3
	s_or_b64 exec, exec, s[28:29]
                                        ; implicit-def: $vgpr0
.LBB6_8545:                             ;   in Loop: Header=BB6_7203 Depth=3
	s_andn2_saveexec_b64 s[28:29], s[30:31]
; %bb.8546:                             ;   in Loop: Header=BB6_7203 Depth=3
	v_or_b32_sdwa v18, v0, s81 dst_sel:DWORD dst_unused:UNUSED_PAD src0_sel:BYTE_3 src1_sel:DWORD
; %bb.8547:                             ;   in Loop: Header=BB6_7203 Depth=3
	s_or_b64 exec, exec, s[28:29]
	v_cmp_ne_u16_sdwa vcc, v12, v21 src0_sel:BYTE_0 src1_sel:DWORD
	v_mov_b32_e32 v0, 0
	v_mov_b32_e32 v1, 0
	s_and_saveexec_b64 s[28:29], vcc
	s_cbranch_execz .LBB6_8553
; %bb.8548:                             ;   in Loop: Header=BB6_7203 Depth=3
	v_cmp_ne_u16_sdwa vcc, v12, s80 src0_sel:BYTE_0 src1_sel:DWORD
	v_bfrev_b32_e32 v1, 1
	s_and_saveexec_b64 s[30:31], vcc
	s_cbranch_execz .LBB6_8552
; %bb.8549:                             ;   in Loop: Header=BB6_7203 Depth=3
	v_and_b32_e32 v2, 0x7f, v12
	v_cmp_ne_u32_e32 vcc, s81, v2
	v_mov_b32_e32 v1, 0x7f800001
	s_and_saveexec_b64 s[34:35], vcc
	s_cbranch_execz .LBB6_8551
; %bb.8550:                             ;   in Loop: Header=BB6_7203 Depth=3
	v_and_b32_e32 v1, 7, v12
	v_ffbh_u32_e32 v1, v1
	v_min_u32_e32 v1, 32, v1
	v_lshrrev_b32_e32 v19, 3, v2
	v_cmp_gt_u32_e32 vcc, 8, v2
	v_subrev_u32_e32 v2, 28, v1
	v_sub_u32_e32 v1, 29, v1
	v_cndmask_b32_e32 v19, v19, v1, vcc
	v_cndmask_b32_e32 v1, 0, v2, vcc
	v_lshlrev_b64 v[1:2], v1, v[12:13]
	v_lshlrev_b32_e32 v2, 24, v12
	v_lshlrev_b32_e32 v1, 20, v1
	v_bfrev_b32_e32 v20, 60
	v_and_b32_e32 v1, 0x700000, v1
	v_and_b32_e32 v2, 0x80000000, v2
	v_lshl_add_u32 v19, v19, 23, v20
	v_or3_b32 v1, v2, v19, v1
.LBB6_8551:                             ;   in Loop: Header=BB6_7203 Depth=3
	s_or_b64 exec, exec, s[34:35]
.LBB6_8552:                             ;   in Loop: Header=BB6_7203 Depth=3
	s_or_b64 exec, exec, s[30:31]
.LBB6_8553:                             ;   in Loop: Header=BB6_7203 Depth=3
	s_or_b64 exec, exec, s[28:29]
	s_waitcnt vmcnt(0)
	v_cmp_ne_u16_sdwa vcc, v8, v21 src0_sel:BYTE_0 src1_sel:DWORD
	s_and_saveexec_b64 s[28:29], vcc
	s_cbranch_execz .LBB6_8559
; %bb.8554:                             ;   in Loop: Header=BB6_7203 Depth=3
	v_cmp_ne_u16_sdwa vcc, v8, s80 src0_sel:BYTE_0 src1_sel:DWORD
	v_bfrev_b32_e32 v0, 1
	s_and_saveexec_b64 s[30:31], vcc
	s_cbranch_execz .LBB6_8558
; %bb.8555:                             ;   in Loop: Header=BB6_7203 Depth=3
	v_and_b32_e32 v2, 0x7f, v8
	v_cmp_ne_u32_e32 vcc, s81, v2
	v_mov_b32_e32 v0, 0x7f800001
	s_and_saveexec_b64 s[34:35], vcc
	s_cbranch_execz .LBB6_8557
; %bb.8556:                             ;   in Loop: Header=BB6_7203 Depth=3
	v_and_b32_e32 v0, 7, v8
	v_ffbh_u32_e32 v0, v0
	v_min_u32_e32 v0, 32, v0
	v_lshrrev_b32_e32 v19, 3, v2
	v_cmp_gt_u32_e32 vcc, 8, v2
	v_subrev_u32_e32 v2, 28, v0
	v_sub_u32_e32 v0, 29, v0
	v_cndmask_b32_e32 v2, 0, v2, vcc
	v_cndmask_b32_e32 v0, v19, v0, vcc
	v_lshlrev_b64 v[19:20], v2, v[8:9]
	v_bfrev_b32_e32 v20, 60
	v_lshlrev_b32_e32 v2, 20, v19
	v_lshlrev_b32_e32 v19, 24, v8
	v_and_b32_e32 v2, 0x700000, v2
	v_and_b32_e32 v19, 0x80000000, v19
	v_lshl_add_u32 v0, v0, 23, v20
	v_or3_b32 v0, v19, v0, v2
.LBB6_8557:                             ;   in Loop: Header=BB6_7203 Depth=3
	s_or_b64 exec, exec, s[34:35]
.LBB6_8558:                             ;   in Loop: Header=BB6_7203 Depth=3
	s_or_b64 exec, exec, s[30:31]
.LBB6_8559:                             ;   in Loop: Header=BB6_7203 Depth=3
	s_or_b64 exec, exec, s[28:29]
	v_mul_f32_e32 v0, v1, v0
	v_and_b32_e32 v20, 0x7f800000, v0
	v_cmp_ne_u64_e32 vcc, s[62:63], v[20:21]
                                        ; implicit-def: $vgpr19
	s_and_saveexec_b64 s[28:29], vcc
	s_xor_b64 s[30:31], exec, s[28:29]
	s_cbranch_execz .LBB6_8573
; %bb.8560:                             ;   in Loop: Header=BB6_7203 Depth=3
	v_and_b32_e32 v20, 0x7fffffff, v0
	v_cmp_gt_u64_e32 vcc, s[78:79], v[20:21]
	v_and_b32_sdwa v28, v0, s80 dst_sel:DWORD dst_unused:UNUSED_PAD src0_sel:BYTE_3 src1_sel:DWORD
                                        ; implicit-def: $vgpr19
	s_and_saveexec_b64 s[28:29], vcc
	s_xor_b64 s[34:35], exec, s[28:29]
	s_cbranch_execz .LBB6_8570
; %bb.8561:                             ;   in Loop: Header=BB6_7203 Depth=3
	v_mov_b32_e32 v19, 0
	v_cmp_ne_u32_e32 vcc, 0, v0
	s_and_saveexec_b64 s[36:37], vcc
	s_cbranch_execz .LBB6_8569
; %bb.8562:                             ;   in Loop: Header=BB6_7203 Depth=3
	v_bfe_u32 v19, v0, 23, 8
	v_and_b32_e32 v1, 0x7fffff, v0
	v_cmp_gt_u32_e64 s[28:29], s47, v19
	v_sub_u32_e32 v0, 0x79, v19
	v_cmp_eq_u32_e32 vcc, 0, v19
	v_cndmask_b32_e64 v0, 0, v0, s[28:29]
	v_mov_b32_e32 v20, 0x78
	v_cndmask_b32_e32 v36, v0, v20, vcc
	v_or_b32_e32 v2, 0x800000, v1
	v_add_u32_e32 v0, 20, v36
	v_cndmask_b32_e32 v20, v2, v1, vcc
	v_lshlrev_b64 v[0:1], v0, -1
	v_add_u32_e32 v2, 19, v36
	v_lshlrev_b64 v[37:38], v2, 1
	v_bfi_b32 v1, v1, 0, 0
	v_bfi_b32 v0, v0, 0, v20
	v_cmp_eq_u64_e64 s[28:29], v[0:1], v[37:38]
	v_lshrrev_b64 v[0:1], v36, v[20:21]
	v_mov_b32_e32 v2, v1
	v_mov_b32_e32 v1, v0
	s_and_saveexec_b64 s[38:39], s[28:29]
; %bb.8563:                             ;   in Loop: Header=BB6_7203 Depth=3
	v_bfe_u32 v1, v0, 20, 1
	v_add_co_u32_e64 v1, s[28:29], v0, v1
	v_add_co_u32_e64 v1, s[28:29], -1, v1
; %bb.8564:                             ;   in Loop: Header=BB6_7203 Depth=3
	s_or_b64 exec, exec, s[38:39]
	v_add_u32_e32 v2, 0xffffff81, v19
	v_mov_b32_e32 v19, 0xffffff82
	v_cndmask_b32_e32 v2, v2, v19, vcc
	v_lshrrev_b32_e32 v19, 23, v0
	v_add3_u32 v36, v36, v2, v19
	v_add_u32_e32 v19, 6, v36
	v_and_b32_e32 v1, 0xfffff, v1
	v_add_u32_e32 v20, v1, v0
	v_cmp_ne_u32_e32 vcc, 0, v19
                                        ; implicit-def: $vgpr0_vgpr1
                                        ; implicit-def: $vgpr2
	s_and_saveexec_b64 s[28:29], vcc
	s_xor_b64 s[28:29], exec, s[28:29]
; %bb.8565:                             ;   in Loop: Header=BB6_7203 Depth=3
	v_cmp_lt_u64_e32 vcc, s[88:89], v[20:21]
	v_add_u32_e32 v0, 7, v36
	v_cndmask_b32_e32 v2, v19, v0, vcc
	v_cndmask_b32_e64 v0, 0, 1, vcc
	v_lshrrev_b64 v[0:1], v0, v[20:21]
; %bb.8566:                             ;   in Loop: Header=BB6_7203 Depth=3
	s_andn2_saveexec_b64 s[28:29], s[28:29]
; %bb.8567:                             ;   in Loop: Header=BB6_7203 Depth=3
	v_mov_b32_e32 v0, v20
	v_bfe_u32 v2, v20, 23, 1
	v_mov_b32_e32 v1, v21
; %bb.8568:                             ;   in Loop: Header=BB6_7203 Depth=3
	s_or_b64 exec, exec, s[28:29]
	v_lshrrev_b64 v[0:1], 20, v[0:1]
	v_cmp_gt_i32_e32 vcc, 16, v2
	v_cndmask_b32_e32 v1, 0, v1, vcc
	v_cndmask_b32_e32 v0, 7, v0, vcc
	v_cmp_eq_u64_e64 s[28:29], 0, v[0:1]
	v_min_i32_e32 v1, 15, v2
	v_lshlrev_b32_e32 v1, 3, v1
	v_cmp_eq_u32_e32 vcc, 0, v2
	v_and_b32_e32 v1, 0xf8, v1
	v_and_or_b32 v0, v0, 7, v1
	s_and_b64 s[28:29], vcc, s[28:29]
	v_cndmask_b32_e64 v0, v0, 0, s[28:29]
	v_or_b32_e32 v19, v0, v28
.LBB6_8569:                             ;   in Loop: Header=BB6_7203 Depth=3
	s_or_b64 exec, exec, s[36:37]
                                        ; implicit-def: $vgpr28
.LBB6_8570:                             ;   in Loop: Header=BB6_7203 Depth=3
	s_andn2_saveexec_b64 s[28:29], s[34:35]
; %bb.8571:                             ;   in Loop: Header=BB6_7203 Depth=3
	v_or_b32_e32 v19, 0x7e, v28
; %bb.8572:                             ;   in Loop: Header=BB6_7203 Depth=3
	s_or_b64 exec, exec, s[28:29]
                                        ; implicit-def: $vgpr0
.LBB6_8573:                             ;   in Loop: Header=BB6_7203 Depth=3
	s_andn2_saveexec_b64 s[28:29], s[30:31]
; %bb.8574:                             ;   in Loop: Header=BB6_7203 Depth=3
	v_or_b32_sdwa v19, v0, s81 dst_sel:DWORD dst_unused:UNUSED_PAD src0_sel:BYTE_3 src1_sel:DWORD
; %bb.8575:                             ;   in Loop: Header=BB6_7203 Depth=3
	s_or_b64 exec, exec, s[28:29]
	v_lshrrev_b16_e32 v0, 8, v12
	v_cmp_ne_u16_e32 vcc, 0, v0
	v_mov_b32_e32 v1, 0
	v_mov_b32_e32 v2, 0
	s_and_saveexec_b64 s[28:29], vcc
	s_cbranch_execz .LBB6_8581
; %bb.8576:                             ;   in Loop: Header=BB6_7203 Depth=3
	v_cmp_ne_u16_e32 vcc, s80, v0
	v_bfrev_b32_e32 v2, 1
	s_and_saveexec_b64 s[30:31], vcc
	s_cbranch_execz .LBB6_8580
; %bb.8577:                             ;   in Loop: Header=BB6_7203 Depth=3
	v_and_b32_e32 v20, 0x7f, v0
	v_cmp_ne_u32_e32 vcc, s81, v20
	v_mov_b32_e32 v2, 0x7f800001
	s_and_saveexec_b64 s[34:35], vcc
	s_cbranch_execz .LBB6_8579
; %bb.8578:                             ;   in Loop: Header=BB6_7203 Depth=3
	v_and_b32_e32 v2, 7, v0
	v_lshrrev_b32_e32 v22, 3, v20
	v_cmp_gt_u32_e32 vcc, 8, v20
	v_ffbh_u32_e32 v20, v2
	v_min_u32_e32 v20, 32, v20
	v_subrev_u32_e32 v23, 28, v20
	v_lshlrev_b64 v[36:37], v23, v[0:1]
	v_sub_u32_e32 v0, 29, v20
	v_and_b32_e32 v20, 7, v36
	v_cndmask_b32_e32 v0, v22, v0, vcc
	v_cndmask_b32_e32 v2, v2, v20, vcc
	v_lshlrev_b32_e32 v20, 16, v12
	v_bfrev_b32_e32 v22, 60
	v_lshlrev_b32_e32 v2, 20, v2
	v_and_b32_e32 v20, 0x80000000, v20
	v_lshl_add_u32 v0, v0, 23, v22
	v_or3_b32 v2, v20, v0, v2
.LBB6_8579:                             ;   in Loop: Header=BB6_7203 Depth=3
	s_or_b64 exec, exec, s[34:35]
.LBB6_8580:                             ;   in Loop: Header=BB6_7203 Depth=3
	s_or_b64 exec, exec, s[30:31]
.LBB6_8581:                             ;   in Loop: Header=BB6_7203 Depth=3
	s_or_b64 exec, exec, s[28:29]
	v_lshrrev_b16_e32 v0, 8, v8
	v_cmp_ne_u16_e32 vcc, 0, v0
	s_and_saveexec_b64 s[28:29], vcc
	s_cbranch_execz .LBB6_8587
; %bb.8582:                             ;   in Loop: Header=BB6_7203 Depth=3
	v_cmp_ne_u16_e32 vcc, s80, v0
	v_bfrev_b32_e32 v1, 1
	s_and_saveexec_b64 s[30:31], vcc
	s_cbranch_execz .LBB6_8586
; %bb.8583:                             ;   in Loop: Header=BB6_7203 Depth=3
	v_and_b32_e32 v20, 0x7f, v0
	v_cmp_ne_u32_e32 vcc, s81, v20
	v_mov_b32_e32 v1, 0x7f800001
	s_and_saveexec_b64 s[34:35], vcc
	s_cbranch_execz .LBB6_8585
; %bb.8584:                             ;   in Loop: Header=BB6_7203 Depth=3
	v_and_b32_e32 v22, 7, v0
	v_ffbh_u32_e32 v1, v22
	v_lshrrev_b32_e32 v23, 3, v20
	v_cmp_gt_u32_e32 vcc, 8, v20
	v_min_u32_e32 v20, 32, v1
	v_subrev_u32_e32 v1, 28, v20
	v_lshlrev_b64 v[0:1], v1, v[0:1]
	v_sub_u32_e32 v1, 29, v20
	v_and_b32_e32 v0, 7, v0
	v_cndmask_b32_e32 v1, v23, v1, vcc
	v_cndmask_b32_e32 v0, v22, v0, vcc
	v_lshlrev_b32_e32 v20, 16, v8
	v_bfrev_b32_e32 v22, 60
	v_lshlrev_b32_e32 v0, 20, v0
	v_and_b32_e32 v20, 0x80000000, v20
	v_lshl_add_u32 v1, v1, 23, v22
	v_or3_b32 v1, v20, v1, v0
.LBB6_8585:                             ;   in Loop: Header=BB6_7203 Depth=3
	s_or_b64 exec, exec, s[34:35]
.LBB6_8586:                             ;   in Loop: Header=BB6_7203 Depth=3
	s_or_b64 exec, exec, s[30:31]
.LBB6_8587:                             ;   in Loop: Header=BB6_7203 Depth=3
	s_or_b64 exec, exec, s[28:29]
	v_mul_f32_e32 v0, v2, v1
	v_and_b32_e32 v20, 0x7f800000, v0
	v_cmp_ne_u64_e32 vcc, s[62:63], v[20:21]
                                        ; implicit-def: $vgpr46
	s_and_saveexec_b64 s[28:29], vcc
	s_xor_b64 s[30:31], exec, s[28:29]
	s_cbranch_execz .LBB6_8601
; %bb.8588:                             ;   in Loop: Header=BB6_7203 Depth=3
	v_and_b32_e32 v20, 0x7fffffff, v0
	v_cmp_gt_u64_e32 vcc, s[78:79], v[20:21]
	v_and_b32_sdwa v28, v0, s80 dst_sel:DWORD dst_unused:UNUSED_PAD src0_sel:BYTE_3 src1_sel:DWORD
                                        ; implicit-def: $vgpr46
	s_and_saveexec_b64 s[28:29], vcc
	s_xor_b64 s[34:35], exec, s[28:29]
	s_cbranch_execz .LBB6_8598
; %bb.8589:                             ;   in Loop: Header=BB6_7203 Depth=3
	v_mov_b32_e32 v46, 0
	v_cmp_ne_u32_e32 vcc, 0, v0
	s_and_saveexec_b64 s[36:37], vcc
	s_cbranch_execz .LBB6_8597
; %bb.8590:                             ;   in Loop: Header=BB6_7203 Depth=3
	v_bfe_u32 v36, v0, 23, 8
	v_and_b32_e32 v1, 0x7fffff, v0
	v_cmp_gt_u32_e64 s[28:29], s47, v36
	v_sub_u32_e32 v0, 0x79, v36
	v_cmp_eq_u32_e32 vcc, 0, v36
	v_cndmask_b32_e64 v0, 0, v0, s[28:29]
	v_mov_b32_e32 v20, 0x78
	v_cndmask_b32_e32 v37, v0, v20, vcc
	v_or_b32_e32 v2, 0x800000, v1
	v_add_u32_e32 v0, 20, v37
	v_cndmask_b32_e32 v20, v2, v1, vcc
	v_lshlrev_b64 v[0:1], v0, -1
	v_add_u32_e32 v2, 19, v37
	v_lshlrev_b64 v[38:39], v2, 1
	v_bfi_b32 v1, v1, 0, 0
	v_bfi_b32 v0, v0, 0, v20
	v_cmp_eq_u64_e64 s[28:29], v[0:1], v[38:39]
	v_lshrrev_b64 v[0:1], v37, v[20:21]
	v_mov_b32_e32 v2, v1
	v_mov_b32_e32 v1, v0
	s_and_saveexec_b64 s[38:39], s[28:29]
; %bb.8591:                             ;   in Loop: Header=BB6_7203 Depth=3
	v_bfe_u32 v1, v0, 20, 1
	v_add_co_u32_e64 v1, s[28:29], v0, v1
	v_add_co_u32_e64 v1, s[28:29], -1, v1
; %bb.8592:                             ;   in Loop: Header=BB6_7203 Depth=3
	s_or_b64 exec, exec, s[38:39]
	v_add_u32_e32 v2, 0xffffff81, v36
	v_mov_b32_e32 v20, 0xffffff82
	v_cndmask_b32_e32 v2, v2, v20, vcc
	v_lshrrev_b32_e32 v20, 23, v0
	v_add3_u32 v37, v37, v2, v20
	v_add_u32_e32 v36, 6, v37
	v_and_b32_e32 v1, 0xfffff, v1
	v_add_u32_e32 v20, v1, v0
	v_cmp_ne_u32_e32 vcc, 0, v36
                                        ; implicit-def: $vgpr0_vgpr1
                                        ; implicit-def: $vgpr2
	s_and_saveexec_b64 s[28:29], vcc
	s_xor_b64 s[28:29], exec, s[28:29]
; %bb.8593:                             ;   in Loop: Header=BB6_7203 Depth=3
	v_cmp_lt_u64_e32 vcc, s[88:89], v[20:21]
	v_add_u32_e32 v0, 7, v37
	v_cndmask_b32_e32 v2, v36, v0, vcc
	v_cndmask_b32_e64 v0, 0, 1, vcc
	v_lshrrev_b64 v[0:1], v0, v[20:21]
; %bb.8594:                             ;   in Loop: Header=BB6_7203 Depth=3
	s_andn2_saveexec_b64 s[28:29], s[28:29]
; %bb.8595:                             ;   in Loop: Header=BB6_7203 Depth=3
	v_mov_b32_e32 v0, v20
	v_bfe_u32 v2, v20, 23, 1
	v_mov_b32_e32 v1, v21
; %bb.8596:                             ;   in Loop: Header=BB6_7203 Depth=3
	s_or_b64 exec, exec, s[28:29]
	v_lshrrev_b64 v[0:1], 20, v[0:1]
	v_cmp_gt_i32_e32 vcc, 16, v2
	v_cndmask_b32_e32 v1, 0, v1, vcc
	v_cndmask_b32_e32 v0, 7, v0, vcc
	v_cmp_eq_u64_e64 s[28:29], 0, v[0:1]
	v_min_i32_e32 v1, 15, v2
	v_lshlrev_b32_e32 v1, 3, v1
	v_cmp_eq_u32_e32 vcc, 0, v2
	v_and_b32_e32 v1, 0xf8, v1
	v_and_or_b32 v0, v0, 7, v1
	s_and_b64 s[28:29], vcc, s[28:29]
	v_cndmask_b32_e64 v0, v0, 0, s[28:29]
	v_or_b32_e32 v46, v0, v28
.LBB6_8597:                             ;   in Loop: Header=BB6_7203 Depth=3
	s_or_b64 exec, exec, s[36:37]
                                        ; implicit-def: $vgpr28
.LBB6_8598:                             ;   in Loop: Header=BB6_7203 Depth=3
	s_andn2_saveexec_b64 s[28:29], s[34:35]
; %bb.8599:                             ;   in Loop: Header=BB6_7203 Depth=3
	v_or_b32_e32 v46, 0x7e, v28
; %bb.8600:                             ;   in Loop: Header=BB6_7203 Depth=3
	s_or_b64 exec, exec, s[28:29]
                                        ; implicit-def: $vgpr0
.LBB6_8601:                             ;   in Loop: Header=BB6_7203 Depth=3
	s_andn2_saveexec_b64 s[28:29], s[30:31]
; %bb.8602:                             ;   in Loop: Header=BB6_7203 Depth=3
	v_or_b32_sdwa v46, v0, s81 dst_sel:DWORD dst_unused:UNUSED_PAD src0_sel:BYTE_3 src1_sel:DWORD
; %bb.8603:                             ;   in Loop: Header=BB6_7203 Depth=3
	s_or_b64 exec, exec, s[28:29]
	v_lshrrev_b32_e32 v0, 16, v12
	v_cmp_ne_u16_sdwa vcc, v0, v21 src0_sel:BYTE_0 src1_sel:DWORD
	v_mov_b32_e32 v1, 0
	v_mov_b32_e32 v2, 0
	s_and_saveexec_b64 s[28:29], vcc
	s_cbranch_execz .LBB6_8609
; %bb.8604:                             ;   in Loop: Header=BB6_7203 Depth=3
	v_cmp_ne_u16_sdwa vcc, v0, s80 src0_sel:BYTE_0 src1_sel:DWORD
	v_bfrev_b32_e32 v2, 1
	s_and_saveexec_b64 s[30:31], vcc
	s_cbranch_execz .LBB6_8608
; %bb.8605:                             ;   in Loop: Header=BB6_7203 Depth=3
	v_bfe_u32 v20, v12, 16, 7
	v_cmp_ne_u32_e32 vcc, s81, v20
	v_mov_b32_e32 v2, 0x7f800001
	s_and_saveexec_b64 s[34:35], vcc
	s_cbranch_execz .LBB6_8607
; %bb.8606:                             ;   in Loop: Header=BB6_7203 Depth=3
	v_and_b32_e32 v2, 7, v0
	v_lshrrev_b32_e32 v22, 3, v20
	v_cmp_gt_u32_e32 vcc, 8, v20
	v_ffbh_u32_e32 v20, v2
	v_min_u32_e32 v20, 32, v20
	v_subrev_u32_e32 v23, 28, v20
	v_lshlrev_b64 v[36:37], v23, v[0:1]
	v_sub_u32_e32 v20, 29, v20
	v_and_b32_e32 v23, 7, v36
	v_cndmask_b32_e32 v20, v22, v20, vcc
	v_cndmask_b32_e32 v2, v2, v23, vcc
	v_lshlrev_b32_e32 v0, 24, v0
	v_bfrev_b32_e32 v22, 60
	v_lshlrev_b32_e32 v2, 20, v2
	v_and_b32_e32 v0, 0x80000000, v0
	v_lshl_add_u32 v20, v20, 23, v22
	v_or3_b32 v2, v0, v20, v2
.LBB6_8607:                             ;   in Loop: Header=BB6_7203 Depth=3
	s_or_b64 exec, exec, s[34:35]
.LBB6_8608:                             ;   in Loop: Header=BB6_7203 Depth=3
	s_or_b64 exec, exec, s[30:31]
.LBB6_8609:                             ;   in Loop: Header=BB6_7203 Depth=3
	s_or_b64 exec, exec, s[28:29]
	v_lshrrev_b32_e32 v0, 16, v8
	v_cmp_ne_u16_sdwa vcc, v0, v21 src0_sel:BYTE_0 src1_sel:DWORD
	s_and_saveexec_b64 s[28:29], vcc
	s_cbranch_execz .LBB6_8615
; %bb.8610:                             ;   in Loop: Header=BB6_7203 Depth=3
	v_cmp_ne_u16_sdwa vcc, v0, s80 src0_sel:BYTE_0 src1_sel:DWORD
	v_bfrev_b32_e32 v1, 1
	s_and_saveexec_b64 s[30:31], vcc
	s_cbranch_execz .LBB6_8614
; %bb.8611:                             ;   in Loop: Header=BB6_7203 Depth=3
	v_bfe_u32 v20, v8, 16, 7
	v_cmp_ne_u32_e32 vcc, s81, v20
	v_mov_b32_e32 v1, 0x7f800001
	s_and_saveexec_b64 s[34:35], vcc
	s_cbranch_execz .LBB6_8613
; %bb.8612:                             ;   in Loop: Header=BB6_7203 Depth=3
	v_and_b32_e32 v22, 7, v0
	v_ffbh_u32_e32 v1, v22
	v_lshrrev_b32_e32 v23, 3, v20
	v_cmp_gt_u32_e32 vcc, 8, v20
	v_min_u32_e32 v20, 32, v1
	v_subrev_u32_e32 v1, 28, v20
	v_lshlrev_b64 v[0:1], v1, v[0:1]
	v_sub_u32_e32 v1, 29, v20
	v_and_b32_e32 v0, 7, v0
	v_cndmask_b32_e32 v1, v23, v1, vcc
	v_cndmask_b32_e32 v0, v22, v0, vcc
	v_lshlrev_b32_e32 v20, 8, v8
	v_bfrev_b32_e32 v22, 60
	v_lshlrev_b32_e32 v0, 20, v0
	v_and_b32_e32 v20, 0x80000000, v20
	v_lshl_add_u32 v1, v1, 23, v22
	v_or3_b32 v1, v20, v1, v0
.LBB6_8613:                             ;   in Loop: Header=BB6_7203 Depth=3
	s_or_b64 exec, exec, s[34:35]
.LBB6_8614:                             ;   in Loop: Header=BB6_7203 Depth=3
	s_or_b64 exec, exec, s[30:31]
.LBB6_8615:                             ;   in Loop: Header=BB6_7203 Depth=3
	s_or_b64 exec, exec, s[28:29]
	v_mul_f32_e32 v0, v2, v1
	v_and_b32_e32 v20, 0x7f800000, v0
	v_cmp_ne_u64_e32 vcc, s[62:63], v[20:21]
                                        ; implicit-def: $vgpr47
	s_and_saveexec_b64 s[28:29], vcc
	s_xor_b64 s[30:31], exec, s[28:29]
	s_cbranch_execz .LBB6_8629
; %bb.8616:                             ;   in Loop: Header=BB6_7203 Depth=3
	v_and_b32_e32 v20, 0x7fffffff, v0
	v_cmp_gt_u64_e32 vcc, s[78:79], v[20:21]
	v_and_b32_sdwa v28, v0, s80 dst_sel:DWORD dst_unused:UNUSED_PAD src0_sel:BYTE_3 src1_sel:DWORD
                                        ; implicit-def: $vgpr47
	s_and_saveexec_b64 s[28:29], vcc
	s_xor_b64 s[34:35], exec, s[28:29]
	s_cbranch_execz .LBB6_8626
; %bb.8617:                             ;   in Loop: Header=BB6_7203 Depth=3
	v_mov_b32_e32 v47, 0
	v_cmp_ne_u32_e32 vcc, 0, v0
	s_and_saveexec_b64 s[36:37], vcc
	s_cbranch_execz .LBB6_8625
; %bb.8618:                             ;   in Loop: Header=BB6_7203 Depth=3
	v_bfe_u32 v36, v0, 23, 8
	v_and_b32_e32 v1, 0x7fffff, v0
	v_cmp_gt_u32_e64 s[28:29], s47, v36
	v_sub_u32_e32 v0, 0x79, v36
	v_cmp_eq_u32_e32 vcc, 0, v36
	v_cndmask_b32_e64 v0, 0, v0, s[28:29]
	v_mov_b32_e32 v20, 0x78
	v_cndmask_b32_e32 v37, v0, v20, vcc
	v_or_b32_e32 v2, 0x800000, v1
	v_add_u32_e32 v0, 20, v37
	v_cndmask_b32_e32 v20, v2, v1, vcc
	v_lshlrev_b64 v[0:1], v0, -1
	v_add_u32_e32 v2, 19, v37
	v_lshlrev_b64 v[38:39], v2, 1
	v_bfi_b32 v1, v1, 0, 0
	v_bfi_b32 v0, v0, 0, v20
	v_cmp_eq_u64_e64 s[28:29], v[0:1], v[38:39]
	v_lshrrev_b64 v[0:1], v37, v[20:21]
	v_mov_b32_e32 v2, v1
	v_mov_b32_e32 v1, v0
	s_and_saveexec_b64 s[38:39], s[28:29]
; %bb.8619:                             ;   in Loop: Header=BB6_7203 Depth=3
	v_bfe_u32 v1, v0, 20, 1
	v_add_co_u32_e64 v1, s[28:29], v0, v1
	v_add_co_u32_e64 v1, s[28:29], -1, v1
; %bb.8620:                             ;   in Loop: Header=BB6_7203 Depth=3
	s_or_b64 exec, exec, s[38:39]
	v_add_u32_e32 v2, 0xffffff81, v36
	v_mov_b32_e32 v20, 0xffffff82
	v_cndmask_b32_e32 v2, v2, v20, vcc
	v_lshrrev_b32_e32 v20, 23, v0
	v_add3_u32 v37, v37, v2, v20
	v_add_u32_e32 v36, 6, v37
	v_and_b32_e32 v1, 0xfffff, v1
	v_add_u32_e32 v20, v1, v0
	v_cmp_ne_u32_e32 vcc, 0, v36
                                        ; implicit-def: $vgpr0_vgpr1
                                        ; implicit-def: $vgpr2
	s_and_saveexec_b64 s[28:29], vcc
	s_xor_b64 s[28:29], exec, s[28:29]
; %bb.8621:                             ;   in Loop: Header=BB6_7203 Depth=3
	v_cmp_lt_u64_e32 vcc, s[88:89], v[20:21]
	v_add_u32_e32 v0, 7, v37
	v_cndmask_b32_e32 v2, v36, v0, vcc
	v_cndmask_b32_e64 v0, 0, 1, vcc
	v_lshrrev_b64 v[0:1], v0, v[20:21]
; %bb.8622:                             ;   in Loop: Header=BB6_7203 Depth=3
	s_andn2_saveexec_b64 s[28:29], s[28:29]
; %bb.8623:                             ;   in Loop: Header=BB6_7203 Depth=3
	v_mov_b32_e32 v0, v20
	v_bfe_u32 v2, v20, 23, 1
	v_mov_b32_e32 v1, v21
; %bb.8624:                             ;   in Loop: Header=BB6_7203 Depth=3
	s_or_b64 exec, exec, s[28:29]
	v_lshrrev_b64 v[0:1], 20, v[0:1]
	v_cmp_gt_i32_e32 vcc, 16, v2
	v_cndmask_b32_e32 v1, 0, v1, vcc
	v_cndmask_b32_e32 v0, 7, v0, vcc
	v_cmp_eq_u64_e64 s[28:29], 0, v[0:1]
	v_min_i32_e32 v1, 15, v2
	v_lshlrev_b32_e32 v1, 3, v1
	v_cmp_eq_u32_e32 vcc, 0, v2
	v_and_b32_e32 v1, 0xf8, v1
	v_and_or_b32 v0, v0, 7, v1
	s_and_b64 s[28:29], vcc, s[28:29]
	v_cndmask_b32_e64 v0, v0, 0, s[28:29]
	v_or_b32_e32 v47, v0, v28
.LBB6_8625:                             ;   in Loop: Header=BB6_7203 Depth=3
	s_or_b64 exec, exec, s[36:37]
                                        ; implicit-def: $vgpr28
.LBB6_8626:                             ;   in Loop: Header=BB6_7203 Depth=3
	s_andn2_saveexec_b64 s[28:29], s[34:35]
; %bb.8627:                             ;   in Loop: Header=BB6_7203 Depth=3
	v_or_b32_e32 v47, 0x7e, v28
; %bb.8628:                             ;   in Loop: Header=BB6_7203 Depth=3
	s_or_b64 exec, exec, s[28:29]
                                        ; implicit-def: $vgpr0
.LBB6_8629:                             ;   in Loop: Header=BB6_7203 Depth=3
	s_andn2_saveexec_b64 s[28:29], s[30:31]
; %bb.8630:                             ;   in Loop: Header=BB6_7203 Depth=3
	v_or_b32_sdwa v47, v0, s81 dst_sel:DWORD dst_unused:UNUSED_PAD src0_sel:BYTE_3 src1_sel:DWORD
; %bb.8631:                             ;   in Loop: Header=BB6_7203 Depth=3
	s_or_b64 exec, exec, s[28:29]
	v_cmp_lt_u32_e32 vcc, s57, v12
	v_mov_b32_e32 v1, 0
	v_mov_b32_e32 v2, 0
	s_and_saveexec_b64 s[28:29], vcc
	s_cbranch_execz .LBB6_8637
; %bb.8632:                             ;   in Loop: Header=BB6_7203 Depth=3
	v_lshrrev_b32_e32 v0, 24, v12
	v_cmp_ne_u32_e32 vcc, s80, v0
	v_bfrev_b32_e32 v2, 1
	s_and_saveexec_b64 s[30:31], vcc
	s_cbranch_execz .LBB6_8636
; %bb.8633:                             ;   in Loop: Header=BB6_7203 Depth=3
	v_bfe_u32 v20, v12, 24, 7
	v_cmp_ne_u32_e32 vcc, s81, v20
	v_mov_b32_e32 v2, 0x7f800001
	s_and_saveexec_b64 s[34:35], vcc
	s_cbranch_execz .LBB6_8635
; %bb.8634:                             ;   in Loop: Header=BB6_7203 Depth=3
	v_and_b32_e32 v2, 7, v0
	v_lshrrev_b32_e32 v22, 3, v20
	v_cmp_gt_u32_e32 vcc, 8, v20
	v_ffbh_u32_e32 v20, v2
	v_min_u32_e32 v20, 32, v20
	v_subrev_u32_e32 v23, 28, v20
	v_lshlrev_b64 v[36:37], v23, v[0:1]
	v_sub_u32_e32 v20, 29, v20
	v_and_b32_e32 v23, 7, v36
	v_cndmask_b32_e32 v20, v22, v20, vcc
	v_cndmask_b32_e32 v2, v2, v23, vcc
	v_lshlrev_b32_e32 v0, 24, v0
	v_bfrev_b32_e32 v22, 60
	v_lshlrev_b32_e32 v2, 20, v2
	v_and_b32_e32 v0, 0x80000000, v0
	v_lshl_add_u32 v20, v20, 23, v22
	v_or3_b32 v2, v0, v20, v2
.LBB6_8635:                             ;   in Loop: Header=BB6_7203 Depth=3
	s_or_b64 exec, exec, s[34:35]
.LBB6_8636:                             ;   in Loop: Header=BB6_7203 Depth=3
	s_or_b64 exec, exec, s[30:31]
.LBB6_8637:                             ;   in Loop: Header=BB6_7203 Depth=3
	s_or_b64 exec, exec, s[28:29]
	v_cmp_lt_u32_e32 vcc, s57, v8
	s_and_saveexec_b64 s[28:29], vcc
	s_cbranch_execz .LBB6_8643
; %bb.8638:                             ;   in Loop: Header=BB6_7203 Depth=3
	v_lshrrev_b32_e32 v0, 24, v8
	v_cmp_ne_u32_e32 vcc, s80, v0
	v_bfrev_b32_e32 v1, 1
	s_and_saveexec_b64 s[30:31], vcc
	s_cbranch_execz .LBB6_8642
; %bb.8639:                             ;   in Loop: Header=BB6_7203 Depth=3
	v_bfe_u32 v20, v8, 24, 7
	v_cmp_ne_u32_e32 vcc, s81, v20
	v_mov_b32_e32 v1, 0x7f800001
	s_and_saveexec_b64 s[34:35], vcc
	s_cbranch_execz .LBB6_8641
; %bb.8640:                             ;   in Loop: Header=BB6_7203 Depth=3
	v_and_b32_e32 v1, 7, v0
	v_lshrrev_b32_e32 v22, 3, v20
	v_cmp_gt_u32_e32 vcc, 8, v20
	v_ffbh_u32_e32 v20, v1
	v_min_u32_e32 v20, 32, v20
	v_subrev_u32_e32 v23, 28, v20
	v_lshlrev_b64 v[36:37], v23, v[0:1]
	v_sub_u32_e32 v20, 29, v20
	v_and_b32_e32 v23, 7, v36
	v_cndmask_b32_e32 v20, v22, v20, vcc
	v_cndmask_b32_e32 v1, v1, v23, vcc
	v_lshlrev_b32_e32 v0, 24, v0
	v_bfrev_b32_e32 v22, 60
	v_lshlrev_b32_e32 v1, 20, v1
	v_and_b32_e32 v0, 0x80000000, v0
	v_lshl_add_u32 v20, v20, 23, v22
	v_or3_b32 v1, v0, v20, v1
.LBB6_8641:                             ;   in Loop: Header=BB6_7203 Depth=3
	s_or_b64 exec, exec, s[34:35]
.LBB6_8642:                             ;   in Loop: Header=BB6_7203 Depth=3
	s_or_b64 exec, exec, s[30:31]
.LBB6_8643:                             ;   in Loop: Header=BB6_7203 Depth=3
	s_or_b64 exec, exec, s[28:29]
	v_mul_f32_e32 v0, v2, v1
	v_and_b32_e32 v20, 0x7f800000, v0
	v_cmp_ne_u64_e32 vcc, s[62:63], v[20:21]
                                        ; implicit-def: $vgpr60
	s_and_saveexec_b64 s[28:29], vcc
	s_xor_b64 s[30:31], exec, s[28:29]
	s_cbranch_execz .LBB6_8657
; %bb.8644:                             ;   in Loop: Header=BB6_7203 Depth=3
	v_and_b32_e32 v20, 0x7fffffff, v0
	v_cmp_gt_u64_e32 vcc, s[78:79], v[20:21]
	v_and_b32_sdwa v28, v0, s80 dst_sel:DWORD dst_unused:UNUSED_PAD src0_sel:BYTE_3 src1_sel:DWORD
                                        ; implicit-def: $vgpr60
	s_and_saveexec_b64 s[28:29], vcc
	s_xor_b64 s[34:35], exec, s[28:29]
	s_cbranch_execz .LBB6_8654
; %bb.8645:                             ;   in Loop: Header=BB6_7203 Depth=3
	v_mov_b32_e32 v60, 0
	v_cmp_ne_u32_e32 vcc, 0, v0
	s_and_saveexec_b64 s[36:37], vcc
	s_cbranch_execz .LBB6_8653
; %bb.8646:                             ;   in Loop: Header=BB6_7203 Depth=3
	v_bfe_u32 v36, v0, 23, 8
	v_and_b32_e32 v1, 0x7fffff, v0
	v_cmp_gt_u32_e64 s[28:29], s47, v36
	v_sub_u32_e32 v0, 0x79, v36
	v_cmp_eq_u32_e32 vcc, 0, v36
	v_cndmask_b32_e64 v0, 0, v0, s[28:29]
	v_mov_b32_e32 v20, 0x78
	v_cndmask_b32_e32 v37, v0, v20, vcc
	v_or_b32_e32 v2, 0x800000, v1
	v_add_u32_e32 v0, 20, v37
	v_cndmask_b32_e32 v20, v2, v1, vcc
	v_lshlrev_b64 v[0:1], v0, -1
	v_add_u32_e32 v2, 19, v37
	v_lshlrev_b64 v[38:39], v2, 1
	v_bfi_b32 v1, v1, 0, 0
	v_bfi_b32 v0, v0, 0, v20
	v_cmp_eq_u64_e64 s[28:29], v[0:1], v[38:39]
	v_lshrrev_b64 v[0:1], v37, v[20:21]
	v_mov_b32_e32 v2, v1
	v_mov_b32_e32 v1, v0
	s_and_saveexec_b64 s[38:39], s[28:29]
; %bb.8647:                             ;   in Loop: Header=BB6_7203 Depth=3
	v_bfe_u32 v1, v0, 20, 1
	v_add_co_u32_e64 v1, s[28:29], v0, v1
	v_add_co_u32_e64 v1, s[28:29], -1, v1
; %bb.8648:                             ;   in Loop: Header=BB6_7203 Depth=3
	s_or_b64 exec, exec, s[38:39]
	v_add_u32_e32 v2, 0xffffff81, v36
	v_mov_b32_e32 v20, 0xffffff82
	v_cndmask_b32_e32 v2, v2, v20, vcc
	v_lshrrev_b32_e32 v20, 23, v0
	v_add3_u32 v37, v37, v2, v20
	v_add_u32_e32 v36, 6, v37
	v_and_b32_e32 v1, 0xfffff, v1
	v_add_u32_e32 v20, v1, v0
	v_cmp_ne_u32_e32 vcc, 0, v36
                                        ; implicit-def: $vgpr0_vgpr1
                                        ; implicit-def: $vgpr2
	s_and_saveexec_b64 s[28:29], vcc
	s_xor_b64 s[28:29], exec, s[28:29]
; %bb.8649:                             ;   in Loop: Header=BB6_7203 Depth=3
	v_cmp_lt_u64_e32 vcc, s[88:89], v[20:21]
	v_add_u32_e32 v0, 7, v37
	v_cndmask_b32_e32 v2, v36, v0, vcc
	v_cndmask_b32_e64 v0, 0, 1, vcc
	v_lshrrev_b64 v[0:1], v0, v[20:21]
; %bb.8650:                             ;   in Loop: Header=BB6_7203 Depth=3
	s_andn2_saveexec_b64 s[28:29], s[28:29]
; %bb.8651:                             ;   in Loop: Header=BB6_7203 Depth=3
	v_mov_b32_e32 v0, v20
	v_bfe_u32 v2, v20, 23, 1
	v_mov_b32_e32 v1, v21
; %bb.8652:                             ;   in Loop: Header=BB6_7203 Depth=3
	s_or_b64 exec, exec, s[28:29]
	v_lshrrev_b64 v[0:1], 20, v[0:1]
	v_cmp_gt_i32_e32 vcc, 16, v2
	v_cndmask_b32_e32 v1, 0, v1, vcc
	v_cndmask_b32_e32 v0, 7, v0, vcc
	v_cmp_eq_u64_e64 s[28:29], 0, v[0:1]
	v_min_i32_e32 v1, 15, v2
	v_lshlrev_b32_e32 v1, 3, v1
	v_cmp_eq_u32_e32 vcc, 0, v2
	v_and_b32_e32 v1, 0xf8, v1
	v_and_or_b32 v0, v0, 7, v1
	s_and_b64 s[28:29], vcc, s[28:29]
	v_cndmask_b32_e64 v0, v0, 0, s[28:29]
	v_or_b32_e32 v60, v0, v28
.LBB6_8653:                             ;   in Loop: Header=BB6_7203 Depth=3
	s_or_b64 exec, exec, s[36:37]
                                        ; implicit-def: $vgpr28
.LBB6_8654:                             ;   in Loop: Header=BB6_7203 Depth=3
	s_andn2_saveexec_b64 s[28:29], s[34:35]
; %bb.8655:                             ;   in Loop: Header=BB6_7203 Depth=3
	v_or_b32_e32 v60, 0x7e, v28
; %bb.8656:                             ;   in Loop: Header=BB6_7203 Depth=3
	s_or_b64 exec, exec, s[28:29]
                                        ; implicit-def: $vgpr0
.LBB6_8657:                             ;   in Loop: Header=BB6_7203 Depth=3
	s_andn2_saveexec_b64 s[28:29], s[30:31]
; %bb.8658:                             ;   in Loop: Header=BB6_7203 Depth=3
	v_or_b32_sdwa v60, v0, s81 dst_sel:DWORD dst_unused:UNUSED_PAD src0_sel:BYTE_3 src1_sel:DWORD
; %bb.8659:                             ;   in Loop: Header=BB6_7203 Depth=3
	s_or_b64 exec, exec, s[28:29]
	v_mov_b32_e32 v20, v13
	v_cmp_ne_u16_sdwa vcc, v13, v21 src0_sel:BYTE_0 src1_sel:DWORD
	v_mov_b32_e32 v1, 0
	v_mov_b32_e32 v0, 0
	s_and_saveexec_b64 s[28:29], vcc
	s_cbranch_execz .LBB6_8665
; %bb.8660:                             ;   in Loop: Header=BB6_7203 Depth=3
	v_cmp_ne_u16_sdwa vcc, v13, s80 src0_sel:BYTE_0 src1_sel:DWORD
	v_bfrev_b32_e32 v0, 1
	s_and_saveexec_b64 s[30:31], vcc
	s_cbranch_execz .LBB6_8664
; %bb.8661:                             ;   in Loop: Header=BB6_7203 Depth=3
	v_and_b32_e32 v2, 0x7f, v13
	v_cmp_ne_u32_e32 vcc, s81, v2
	v_mov_b32_e32 v0, 0x7f800001
	s_and_saveexec_b64 s[34:35], vcc
	s_cbranch_execz .LBB6_8663
; %bb.8662:                             ;   in Loop: Header=BB6_7203 Depth=3
	v_and_b32_e32 v0, 7, v13
	v_ffbh_u32_e32 v0, v0
	v_min_u32_e32 v0, 32, v0
	v_lshrrev_b32_e32 v22, 3, v2
	v_cmp_gt_u32_e32 vcc, 8, v2
	v_subrev_u32_e32 v2, 28, v0
	v_cndmask_b32_e32 v2, 0, v2, vcc
	v_lshlrev_b64 v[36:37], v2, v[20:21]
	v_sub_u32_e32 v0, 29, v0
	v_cndmask_b32_e32 v0, v22, v0, vcc
	v_lshlrev_b32_e32 v2, 20, v36
	v_lshlrev_b32_e32 v22, 24, v20
	v_bfrev_b32_e32 v23, 60
	v_and_b32_e32 v2, 0x700000, v2
	v_and_b32_e32 v22, 0x80000000, v22
	v_lshl_add_u32 v0, v0, 23, v23
	v_or3_b32 v0, v22, v0, v2
.LBB6_8663:                             ;   in Loop: Header=BB6_7203 Depth=3
	s_or_b64 exec, exec, s[34:35]
.LBB6_8664:                             ;   in Loop: Header=BB6_7203 Depth=3
	s_or_b64 exec, exec, s[30:31]
.LBB6_8665:                             ;   in Loop: Header=BB6_7203 Depth=3
	s_or_b64 exec, exec, s[28:29]
	v_cmp_ne_u16_sdwa vcc, v9, v21 src0_sel:BYTE_0 src1_sel:DWORD
	s_and_saveexec_b64 s[28:29], vcc
	s_cbranch_execz .LBB6_8671
; %bb.8666:                             ;   in Loop: Header=BB6_7203 Depth=3
	v_cmp_ne_u16_sdwa vcc, v9, s80 src0_sel:BYTE_0 src1_sel:DWORD
	v_bfrev_b32_e32 v1, 1
	s_and_saveexec_b64 s[30:31], vcc
	s_cbranch_execz .LBB6_8670
; %bb.8667:                             ;   in Loop: Header=BB6_7203 Depth=3
	v_and_b32_e32 v2, 0x7f, v9
	v_cmp_ne_u32_e32 vcc, s81, v2
	v_mov_b32_e32 v1, 0x7f800001
	s_and_saveexec_b64 s[34:35], vcc
	s_cbranch_execz .LBB6_8669
; %bb.8668:                             ;   in Loop: Header=BB6_7203 Depth=3
	v_and_b32_e32 v1, 7, v9
	v_ffbh_u32_e32 v1, v1
	v_min_u32_e32 v1, 32, v1
	v_lshrrev_b32_e32 v22, 3, v2
	v_cmp_gt_u32_e32 vcc, 8, v2
	v_subrev_u32_e32 v2, 28, v1
	v_sub_u32_e32 v1, 29, v1
	v_mov_b32_e32 v36, v9
	v_mov_b32_e32 v37, v21
	v_cndmask_b32_e32 v22, v22, v1, vcc
	v_cndmask_b32_e32 v1, 0, v2, vcc
	v_lshlrev_b64 v[1:2], v1, v[36:37]
	v_lshlrev_b32_e32 v2, 24, v36
	v_lshlrev_b32_e32 v1, 20, v1
	v_bfrev_b32_e32 v23, 60
	v_and_b32_e32 v1, 0x700000, v1
	v_and_b32_e32 v2, 0x80000000, v2
	v_lshl_add_u32 v22, v22, 23, v23
	v_or3_b32 v1, v2, v22, v1
.LBB6_8669:                             ;   in Loop: Header=BB6_7203 Depth=3
	s_or_b64 exec, exec, s[34:35]
.LBB6_8670:                             ;   in Loop: Header=BB6_7203 Depth=3
	s_or_b64 exec, exec, s[30:31]
.LBB6_8671:                             ;   in Loop: Header=BB6_7203 Depth=3
	s_or_b64 exec, exec, s[28:29]
	v_mul_f32_e32 v0, v0, v1
	v_and_b32_e32 v1, 0x7f800000, v0
	v_mov_b32_e32 v2, v21
	v_cmp_ne_u64_e32 vcc, s[62:63], v[1:2]
                                        ; implicit-def: $vgpr61
	s_and_saveexec_b64 s[28:29], vcc
	s_xor_b64 s[30:31], exec, s[28:29]
	s_cbranch_execz .LBB6_8685
; %bb.8672:                             ;   in Loop: Header=BB6_7203 Depth=3
	v_and_b32_e32 v1, 0x7fffffff, v0
	v_mov_b32_e32 v2, v21
	v_cmp_gt_u64_e32 vcc, s[78:79], v[1:2]
	v_and_b32_sdwa v28, v0, s80 dst_sel:DWORD dst_unused:UNUSED_PAD src0_sel:BYTE_3 src1_sel:DWORD
                                        ; implicit-def: $vgpr61
	s_and_saveexec_b64 s[28:29], vcc
	s_xor_b64 s[34:35], exec, s[28:29]
	s_cbranch_execz .LBB6_8682
; %bb.8673:                             ;   in Loop: Header=BB6_7203 Depth=3
	v_mov_b32_e32 v61, 0
	v_cmp_ne_u32_e32 vcc, 0, v0
	s_and_saveexec_b64 s[36:37], vcc
	s_cbranch_execz .LBB6_8681
; %bb.8674:                             ;   in Loop: Header=BB6_7203 Depth=3
	v_bfe_u32 v36, v0, 23, 8
	v_and_b32_e32 v1, 0x7fffff, v0
	v_cmp_gt_u32_e64 s[28:29], s47, v36
	v_sub_u32_e32 v0, 0x79, v36
	v_cmp_eq_u32_e32 vcc, 0, v36
	v_cndmask_b32_e64 v0, 0, v0, s[28:29]
	v_mov_b32_e32 v22, 0x78
	v_or_b32_e32 v2, 0x800000, v1
	v_cndmask_b32_e32 v37, v0, v22, vcc
	v_cndmask_b32_e32 v0, v2, v1, vcc
	v_add_u32_e32 v2, 20, v37
	v_lshlrev_b64 v[38:39], v2, -1
	v_mov_b32_e32 v1, v21
	v_add_u32_e32 v2, 19, v37
	v_bfi_b32 v38, v38, 0, v0
	v_lshlrev_b64 v[50:51], v2, 1
	v_lshrrev_b64 v[0:1], v37, v[0:1]
	v_bfi_b32 v39, v39, 0, 0
	v_cmp_eq_u64_e64 s[28:29], v[38:39], v[50:51]
	v_mov_b32_e32 v2, v1
	v_mov_b32_e32 v1, v0
	s_and_saveexec_b64 s[38:39], s[28:29]
; %bb.8675:                             ;   in Loop: Header=BB6_7203 Depth=3
	v_bfe_u32 v1, v0, 20, 1
	v_add_co_u32_e64 v1, s[28:29], v0, v1
	v_add_co_u32_e64 v1, s[28:29], -1, v1
; %bb.8676:                             ;   in Loop: Header=BB6_7203 Depth=3
	s_or_b64 exec, exec, s[38:39]
	v_add_u32_e32 v2, 0xffffff81, v36
	v_mov_b32_e32 v22, 0xffffff82
	v_cndmask_b32_e32 v2, v2, v22, vcc
	v_lshrrev_b32_e32 v22, 23, v0
	v_add3_u32 v37, v37, v2, v22
	v_add_u32_e32 v36, 6, v37
	v_and_b32_e32 v1, 0xfffff, v1
	v_add_u32_e32 v0, v1, v0
	v_mov_b32_e32 v1, v21
	v_cmp_ne_u32_e32 vcc, 0, v36
                                        ; implicit-def: $vgpr2
	s_and_saveexec_b64 s[28:29], vcc
	s_xor_b64 s[28:29], exec, s[28:29]
; %bb.8677:                             ;   in Loop: Header=BB6_7203 Depth=3
	v_cmp_lt_u64_e32 vcc, s[88:89], v[0:1]
	v_add_u32_e32 v2, 7, v37
	v_cndmask_b32_e64 v22, 0, 1, vcc
	v_lshrrev_b64 v[0:1], v22, v[0:1]
	v_cndmask_b32_e32 v2, v36, v2, vcc
; %bb.8678:                             ;   in Loop: Header=BB6_7203 Depth=3
	s_andn2_saveexec_b64 s[28:29], s[28:29]
; %bb.8679:                             ;   in Loop: Header=BB6_7203 Depth=3
	v_bfe_u32 v2, v0, 23, 1
; %bb.8680:                             ;   in Loop: Header=BB6_7203 Depth=3
	s_or_b64 exec, exec, s[28:29]
	v_lshrrev_b64 v[0:1], 20, v[0:1]
	v_cmp_gt_i32_e32 vcc, 16, v2
	v_cndmask_b32_e32 v1, 0, v1, vcc
	v_cndmask_b32_e32 v0, 7, v0, vcc
	v_cmp_eq_u64_e64 s[28:29], 0, v[0:1]
	v_min_i32_e32 v1, 15, v2
	v_lshlrev_b32_e32 v1, 3, v1
	v_cmp_eq_u32_e32 vcc, 0, v2
	v_and_b32_e32 v1, 0xf8, v1
	v_and_or_b32 v0, v0, 7, v1
	s_and_b64 s[28:29], vcc, s[28:29]
	v_cndmask_b32_e64 v0, v0, 0, s[28:29]
	v_or_b32_e32 v61, v0, v28
.LBB6_8681:                             ;   in Loop: Header=BB6_7203 Depth=3
	s_or_b64 exec, exec, s[36:37]
                                        ; implicit-def: $vgpr28
.LBB6_8682:                             ;   in Loop: Header=BB6_7203 Depth=3
	s_andn2_saveexec_b64 s[28:29], s[34:35]
; %bb.8683:                             ;   in Loop: Header=BB6_7203 Depth=3
	v_or_b32_e32 v61, 0x7e, v28
; %bb.8684:                             ;   in Loop: Header=BB6_7203 Depth=3
	s_or_b64 exec, exec, s[28:29]
                                        ; implicit-def: $vgpr0
.LBB6_8685:                             ;   in Loop: Header=BB6_7203 Depth=3
	s_andn2_saveexec_b64 s[28:29], s[30:31]
; %bb.8686:                             ;   in Loop: Header=BB6_7203 Depth=3
	v_or_b32_sdwa v61, v0, s81 dst_sel:DWORD dst_unused:UNUSED_PAD src0_sel:BYTE_3 src1_sel:DWORD
; %bb.8687:                             ;   in Loop: Header=BB6_7203 Depth=3
	s_or_b64 exec, exec, s[28:29]
	v_lshrrev_b16_e32 v0, 8, v20
	v_cmp_ne_u16_e32 vcc, 0, v0
	v_mov_b32_e32 v1, 0
	v_mov_b32_e32 v2, 0
	s_and_saveexec_b64 s[28:29], vcc
	s_cbranch_execz .LBB6_8693
; %bb.8688:                             ;   in Loop: Header=BB6_7203 Depth=3
	v_cmp_ne_u16_e32 vcc, s80, v0
	v_bfrev_b32_e32 v2, 1
	s_and_saveexec_b64 s[30:31], vcc
	s_cbranch_execz .LBB6_8692
; %bb.8689:                             ;   in Loop: Header=BB6_7203 Depth=3
	v_and_b32_e32 v28, 0x7f, v0
	v_cmp_ne_u32_e32 vcc, s81, v28
	v_mov_b32_e32 v2, 0x7f800001
	s_and_saveexec_b64 s[34:35], vcc
	s_cbranch_execz .LBB6_8691
; %bb.8690:                             ;   in Loop: Header=BB6_7203 Depth=3
	v_and_b32_e32 v2, 7, v0
	v_ffbh_u32_e32 v23, v2
	v_min_u32_e32 v23, 32, v23
	v_lshrrev_b32_e32 v22, 3, v28
	v_cmp_gt_u32_e32 vcc, 8, v28
	v_subrev_u32_e32 v28, 28, v23
	v_lshlrev_b64 v[36:37], v28, v[0:1]
	v_sub_u32_e32 v0, 29, v23
	v_and_b32_e32 v23, 7, v36
	v_cndmask_b32_e32 v0, v22, v0, vcc
	v_cndmask_b32_e32 v2, v2, v23, vcc
	v_lshlrev_b32_e32 v20, 16, v20
	v_bfrev_b32_e32 v22, 60
	v_lshlrev_b32_e32 v2, 20, v2
	v_and_b32_e32 v20, 0x80000000, v20
	v_lshl_add_u32 v0, v0, 23, v22
	v_or3_b32 v2, v20, v0, v2
.LBB6_8691:                             ;   in Loop: Header=BB6_7203 Depth=3
	s_or_b64 exec, exec, s[34:35]
.LBB6_8692:                             ;   in Loop: Header=BB6_7203 Depth=3
	s_or_b64 exec, exec, s[30:31]
.LBB6_8693:                             ;   in Loop: Header=BB6_7203 Depth=3
	s_or_b64 exec, exec, s[28:29]
	v_lshrrev_b16_e32 v0, 8, v9
	v_cmp_ne_u16_e32 vcc, 0, v0
	s_and_saveexec_b64 s[28:29], vcc
	s_cbranch_execz .LBB6_8699
; %bb.8694:                             ;   in Loop: Header=BB6_7203 Depth=3
	v_cmp_ne_u16_e32 vcc, s80, v0
	v_bfrev_b32_e32 v1, 1
	s_and_saveexec_b64 s[30:31], vcc
	s_cbranch_execz .LBB6_8698
; %bb.8695:                             ;   in Loop: Header=BB6_7203 Depth=3
	v_and_b32_e32 v20, 0x7f, v0
	v_cmp_ne_u32_e32 vcc, s81, v20
	v_mov_b32_e32 v1, 0x7f800001
	s_and_saveexec_b64 s[34:35], vcc
	s_cbranch_execz .LBB6_8697
; %bb.8696:                             ;   in Loop: Header=BB6_7203 Depth=3
	v_and_b32_e32 v22, 7, v0
	v_ffbh_u32_e32 v1, v22
	v_lshrrev_b32_e32 v23, 3, v20
	v_cmp_gt_u32_e32 vcc, 8, v20
	v_min_u32_e32 v20, 32, v1
	v_subrev_u32_e32 v1, 28, v20
	v_lshlrev_b64 v[0:1], v1, v[0:1]
	v_sub_u32_e32 v1, 29, v20
	v_and_b32_e32 v0, 7, v0
	v_cndmask_b32_e32 v1, v23, v1, vcc
	v_cndmask_b32_e32 v0, v22, v0, vcc
	v_lshlrev_b32_e32 v20, 16, v9
	v_bfrev_b32_e32 v22, 60
	v_lshlrev_b32_e32 v0, 20, v0
	v_and_b32_e32 v20, 0x80000000, v20
	v_lshl_add_u32 v1, v1, 23, v22
	v_or3_b32 v1, v20, v1, v0
.LBB6_8697:                             ;   in Loop: Header=BB6_7203 Depth=3
	s_or_b64 exec, exec, s[34:35]
.LBB6_8698:                             ;   in Loop: Header=BB6_7203 Depth=3
	s_or_b64 exec, exec, s[30:31]
.LBB6_8699:                             ;   in Loop: Header=BB6_7203 Depth=3
	s_or_b64 exec, exec, s[28:29]
	v_mul_f32_e32 v0, v2, v1
	v_and_b32_e32 v20, 0x7f800000, v0
	v_cmp_ne_u64_e32 vcc, s[62:63], v[20:21]
                                        ; implicit-def: $vgpr56
	s_and_saveexec_b64 s[28:29], vcc
	s_xor_b64 s[30:31], exec, s[28:29]
	s_cbranch_execz .LBB6_8713
; %bb.8700:                             ;   in Loop: Header=BB6_7203 Depth=3
	v_and_b32_e32 v20, 0x7fffffff, v0
	v_cmp_gt_u64_e32 vcc, s[78:79], v[20:21]
	v_and_b32_sdwa v28, v0, s80 dst_sel:DWORD dst_unused:UNUSED_PAD src0_sel:BYTE_3 src1_sel:DWORD
                                        ; implicit-def: $vgpr56
	s_and_saveexec_b64 s[28:29], vcc
	s_xor_b64 s[34:35], exec, s[28:29]
	s_cbranch_execz .LBB6_8710
; %bb.8701:                             ;   in Loop: Header=BB6_7203 Depth=3
	v_mov_b32_e32 v56, 0
	v_cmp_ne_u32_e32 vcc, 0, v0
	s_and_saveexec_b64 s[36:37], vcc
	s_cbranch_execz .LBB6_8709
; %bb.8702:                             ;   in Loop: Header=BB6_7203 Depth=3
	v_bfe_u32 v36, v0, 23, 8
	v_and_b32_e32 v1, 0x7fffff, v0
	v_cmp_gt_u32_e64 s[28:29], s47, v36
	v_sub_u32_e32 v0, 0x79, v36
	v_cmp_eq_u32_e32 vcc, 0, v36
	v_cndmask_b32_e64 v0, 0, v0, s[28:29]
	v_mov_b32_e32 v20, 0x78
	v_cndmask_b32_e32 v37, v0, v20, vcc
	v_or_b32_e32 v2, 0x800000, v1
	v_add_u32_e32 v0, 20, v37
	v_cndmask_b32_e32 v20, v2, v1, vcc
	v_lshlrev_b64 v[0:1], v0, -1
	v_add_u32_e32 v2, 19, v37
	v_lshlrev_b64 v[38:39], v2, 1
	v_bfi_b32 v1, v1, 0, 0
	v_bfi_b32 v0, v0, 0, v20
	v_cmp_eq_u64_e64 s[28:29], v[0:1], v[38:39]
	v_lshrrev_b64 v[0:1], v37, v[20:21]
	v_mov_b32_e32 v2, v1
	v_mov_b32_e32 v1, v0
	s_and_saveexec_b64 s[38:39], s[28:29]
; %bb.8703:                             ;   in Loop: Header=BB6_7203 Depth=3
	v_bfe_u32 v1, v0, 20, 1
	v_add_co_u32_e64 v1, s[28:29], v0, v1
	v_add_co_u32_e64 v1, s[28:29], -1, v1
; %bb.8704:                             ;   in Loop: Header=BB6_7203 Depth=3
	s_or_b64 exec, exec, s[38:39]
	v_add_u32_e32 v2, 0xffffff81, v36
	v_mov_b32_e32 v20, 0xffffff82
	v_cndmask_b32_e32 v2, v2, v20, vcc
	v_lshrrev_b32_e32 v20, 23, v0
	v_add3_u32 v37, v37, v2, v20
	v_add_u32_e32 v36, 6, v37
	v_and_b32_e32 v1, 0xfffff, v1
	v_add_u32_e32 v20, v1, v0
	v_cmp_ne_u32_e32 vcc, 0, v36
                                        ; implicit-def: $vgpr0_vgpr1
                                        ; implicit-def: $vgpr2
	s_and_saveexec_b64 s[28:29], vcc
	s_xor_b64 s[28:29], exec, s[28:29]
; %bb.8705:                             ;   in Loop: Header=BB6_7203 Depth=3
	v_cmp_lt_u64_e32 vcc, s[88:89], v[20:21]
	v_add_u32_e32 v0, 7, v37
	v_cndmask_b32_e32 v2, v36, v0, vcc
	v_cndmask_b32_e64 v0, 0, 1, vcc
	v_lshrrev_b64 v[0:1], v0, v[20:21]
; %bb.8706:                             ;   in Loop: Header=BB6_7203 Depth=3
	s_andn2_saveexec_b64 s[28:29], s[28:29]
; %bb.8707:                             ;   in Loop: Header=BB6_7203 Depth=3
	v_mov_b32_e32 v0, v20
	v_bfe_u32 v2, v20, 23, 1
	v_mov_b32_e32 v1, v21
; %bb.8708:                             ;   in Loop: Header=BB6_7203 Depth=3
	s_or_b64 exec, exec, s[28:29]
	v_lshrrev_b64 v[0:1], 20, v[0:1]
	v_cmp_gt_i32_e32 vcc, 16, v2
	v_cndmask_b32_e32 v1, 0, v1, vcc
	v_cndmask_b32_e32 v0, 7, v0, vcc
	v_cmp_eq_u64_e64 s[28:29], 0, v[0:1]
	v_min_i32_e32 v1, 15, v2
	v_lshlrev_b32_e32 v1, 3, v1
	v_cmp_eq_u32_e32 vcc, 0, v2
	v_and_b32_e32 v1, 0xf8, v1
	v_and_or_b32 v0, v0, 7, v1
	s_and_b64 s[28:29], vcc, s[28:29]
	v_cndmask_b32_e64 v0, v0, 0, s[28:29]
	v_or_b32_e32 v56, v0, v28
.LBB6_8709:                             ;   in Loop: Header=BB6_7203 Depth=3
	s_or_b64 exec, exec, s[36:37]
                                        ; implicit-def: $vgpr28
.LBB6_8710:                             ;   in Loop: Header=BB6_7203 Depth=3
	s_andn2_saveexec_b64 s[28:29], s[34:35]
; %bb.8711:                             ;   in Loop: Header=BB6_7203 Depth=3
	v_or_b32_e32 v56, 0x7e, v28
; %bb.8712:                             ;   in Loop: Header=BB6_7203 Depth=3
	s_or_b64 exec, exec, s[28:29]
                                        ; implicit-def: $vgpr0
.LBB6_8713:                             ;   in Loop: Header=BB6_7203 Depth=3
	s_andn2_saveexec_b64 s[28:29], s[30:31]
; %bb.8714:                             ;   in Loop: Header=BB6_7203 Depth=3
	v_or_b32_sdwa v56, v0, s81 dst_sel:DWORD dst_unused:UNUSED_PAD src0_sel:BYTE_3 src1_sel:DWORD
; %bb.8715:                             ;   in Loop: Header=BB6_7203 Depth=3
	s_or_b64 exec, exec, s[28:29]
	v_lshrrev_b32_e32 v0, 16, v13
	v_cmp_ne_u16_sdwa vcc, v0, v21 src0_sel:BYTE_0 src1_sel:DWORD
	v_mov_b32_e32 v1, 0
	v_mov_b32_e32 v2, 0
	s_and_saveexec_b64 s[28:29], vcc
	s_cbranch_execz .LBB6_8721
; %bb.8716:                             ;   in Loop: Header=BB6_7203 Depth=3
	v_cmp_ne_u16_sdwa vcc, v0, s80 src0_sel:BYTE_0 src1_sel:DWORD
	v_bfrev_b32_e32 v2, 1
	s_and_saveexec_b64 s[30:31], vcc
	s_cbranch_execz .LBB6_8720
; %bb.8717:                             ;   in Loop: Header=BB6_7203 Depth=3
	v_bfe_u32 v20, v13, 16, 7
	v_cmp_ne_u32_e32 vcc, s81, v20
	v_mov_b32_e32 v2, 0x7f800001
	s_and_saveexec_b64 s[34:35], vcc
	s_cbranch_execz .LBB6_8719
; %bb.8718:                             ;   in Loop: Header=BB6_7203 Depth=3
	v_and_b32_e32 v2, 7, v0
	v_lshrrev_b32_e32 v22, 3, v20
	v_cmp_gt_u32_e32 vcc, 8, v20
	v_ffbh_u32_e32 v20, v2
	v_min_u32_e32 v20, 32, v20
	v_subrev_u32_e32 v23, 28, v20
	v_lshlrev_b64 v[36:37], v23, v[0:1]
	v_sub_u32_e32 v20, 29, v20
	v_and_b32_e32 v23, 7, v36
	v_cndmask_b32_e32 v20, v22, v20, vcc
	v_cndmask_b32_e32 v2, v2, v23, vcc
	v_lshlrev_b32_e32 v0, 24, v0
	v_bfrev_b32_e32 v22, 60
	v_lshlrev_b32_e32 v2, 20, v2
	v_and_b32_e32 v0, 0x80000000, v0
	v_lshl_add_u32 v20, v20, 23, v22
	v_or3_b32 v2, v0, v20, v2
.LBB6_8719:                             ;   in Loop: Header=BB6_7203 Depth=3
	s_or_b64 exec, exec, s[34:35]
.LBB6_8720:                             ;   in Loop: Header=BB6_7203 Depth=3
	s_or_b64 exec, exec, s[30:31]
.LBB6_8721:                             ;   in Loop: Header=BB6_7203 Depth=3
	s_or_b64 exec, exec, s[28:29]
	v_lshrrev_b32_e32 v0, 16, v9
	v_cmp_ne_u16_sdwa vcc, v0, v21 src0_sel:BYTE_0 src1_sel:DWORD
	s_and_saveexec_b64 s[28:29], vcc
	s_cbranch_execz .LBB6_8727
; %bb.8722:                             ;   in Loop: Header=BB6_7203 Depth=3
	v_cmp_ne_u16_sdwa vcc, v0, s80 src0_sel:BYTE_0 src1_sel:DWORD
	v_bfrev_b32_e32 v1, 1
	s_and_saveexec_b64 s[30:31], vcc
	s_cbranch_execz .LBB6_8726
; %bb.8723:                             ;   in Loop: Header=BB6_7203 Depth=3
	v_bfe_u32 v20, v9, 16, 7
	v_cmp_ne_u32_e32 vcc, s81, v20
	v_mov_b32_e32 v1, 0x7f800001
	s_and_saveexec_b64 s[34:35], vcc
	s_cbranch_execz .LBB6_8725
; %bb.8724:                             ;   in Loop: Header=BB6_7203 Depth=3
	v_and_b32_e32 v22, 7, v0
	v_ffbh_u32_e32 v1, v22
	v_lshrrev_b32_e32 v23, 3, v20
	v_cmp_gt_u32_e32 vcc, 8, v20
	v_min_u32_e32 v20, 32, v1
	v_subrev_u32_e32 v1, 28, v20
	v_lshlrev_b64 v[0:1], v1, v[0:1]
	v_sub_u32_e32 v1, 29, v20
	v_and_b32_e32 v0, 7, v0
	v_cndmask_b32_e32 v1, v23, v1, vcc
	v_cndmask_b32_e32 v0, v22, v0, vcc
	v_lshlrev_b32_e32 v20, 8, v9
	v_bfrev_b32_e32 v22, 60
	v_lshlrev_b32_e32 v0, 20, v0
	v_and_b32_e32 v20, 0x80000000, v20
	v_lshl_add_u32 v1, v1, 23, v22
	v_or3_b32 v1, v20, v1, v0
.LBB6_8725:                             ;   in Loop: Header=BB6_7203 Depth=3
	s_or_b64 exec, exec, s[34:35]
.LBB6_8726:                             ;   in Loop: Header=BB6_7203 Depth=3
	s_or_b64 exec, exec, s[30:31]
.LBB6_8727:                             ;   in Loop: Header=BB6_7203 Depth=3
	s_or_b64 exec, exec, s[28:29]
	v_mul_f32_e32 v0, v2, v1
	v_and_b32_e32 v20, 0x7f800000, v0
	v_cmp_ne_u64_e32 vcc, s[62:63], v[20:21]
                                        ; implicit-def: $vgpr36
	s_and_saveexec_b64 s[28:29], vcc
	s_xor_b64 s[30:31], exec, s[28:29]
	s_cbranch_execz .LBB6_8741
; %bb.8728:                             ;   in Loop: Header=BB6_7203 Depth=3
	v_and_b32_e32 v20, 0x7fffffff, v0
	v_cmp_gt_u64_e32 vcc, s[78:79], v[20:21]
	v_and_b32_sdwa v28, v0, s80 dst_sel:DWORD dst_unused:UNUSED_PAD src0_sel:BYTE_3 src1_sel:DWORD
                                        ; implicit-def: $vgpr36
	s_and_saveexec_b64 s[28:29], vcc
	s_xor_b64 s[34:35], exec, s[28:29]
	s_cbranch_execz .LBB6_8738
; %bb.8729:                             ;   in Loop: Header=BB6_7203 Depth=3
	v_mov_b32_e32 v36, 0
	v_cmp_ne_u32_e32 vcc, 0, v0
	s_and_saveexec_b64 s[36:37], vcc
	s_cbranch_execz .LBB6_8737
; %bb.8730:                             ;   in Loop: Header=BB6_7203 Depth=3
	v_bfe_u32 v36, v0, 23, 8
	v_and_b32_e32 v1, 0x7fffff, v0
	v_cmp_gt_u32_e64 s[28:29], s47, v36
	v_sub_u32_e32 v0, 0x79, v36
	v_cmp_eq_u32_e32 vcc, 0, v36
	v_cndmask_b32_e64 v0, 0, v0, s[28:29]
	v_mov_b32_e32 v20, 0x78
	v_cndmask_b32_e32 v37, v0, v20, vcc
	v_or_b32_e32 v2, 0x800000, v1
	v_add_u32_e32 v0, 20, v37
	v_cndmask_b32_e32 v20, v2, v1, vcc
	v_lshlrev_b64 v[0:1], v0, -1
	v_add_u32_e32 v2, 19, v37
	v_lshlrev_b64 v[38:39], v2, 1
	v_bfi_b32 v1, v1, 0, 0
	v_bfi_b32 v0, v0, 0, v20
	v_cmp_eq_u64_e64 s[28:29], v[0:1], v[38:39]
	v_lshrrev_b64 v[0:1], v37, v[20:21]
	v_mov_b32_e32 v2, v1
	v_mov_b32_e32 v1, v0
	s_and_saveexec_b64 s[38:39], s[28:29]
; %bb.8731:                             ;   in Loop: Header=BB6_7203 Depth=3
	v_bfe_u32 v1, v0, 20, 1
	v_add_co_u32_e64 v1, s[28:29], v0, v1
	v_add_co_u32_e64 v1, s[28:29], -1, v1
; %bb.8732:                             ;   in Loop: Header=BB6_7203 Depth=3
	s_or_b64 exec, exec, s[38:39]
	v_add_u32_e32 v2, 0xffffff81, v36
	v_mov_b32_e32 v20, 0xffffff82
	v_cndmask_b32_e32 v2, v2, v20, vcc
	v_lshrrev_b32_e32 v20, 23, v0
	v_add3_u32 v37, v37, v2, v20
	v_add_u32_e32 v36, 6, v37
	v_and_b32_e32 v1, 0xfffff, v1
	v_add_u32_e32 v20, v1, v0
	v_cmp_ne_u32_e32 vcc, 0, v36
                                        ; implicit-def: $vgpr0_vgpr1
                                        ; implicit-def: $vgpr2
	s_and_saveexec_b64 s[28:29], vcc
	s_xor_b64 s[28:29], exec, s[28:29]
; %bb.8733:                             ;   in Loop: Header=BB6_7203 Depth=3
	v_cmp_lt_u64_e32 vcc, s[88:89], v[20:21]
	v_add_u32_e32 v0, 7, v37
	v_cndmask_b32_e32 v2, v36, v0, vcc
	v_cndmask_b32_e64 v0, 0, 1, vcc
	v_lshrrev_b64 v[0:1], v0, v[20:21]
; %bb.8734:                             ;   in Loop: Header=BB6_7203 Depth=3
	s_andn2_saveexec_b64 s[28:29], s[28:29]
; %bb.8735:                             ;   in Loop: Header=BB6_7203 Depth=3
	v_mov_b32_e32 v0, v20
	v_bfe_u32 v2, v20, 23, 1
	v_mov_b32_e32 v1, v21
; %bb.8736:                             ;   in Loop: Header=BB6_7203 Depth=3
	s_or_b64 exec, exec, s[28:29]
	v_lshrrev_b64 v[0:1], 20, v[0:1]
	v_cmp_gt_i32_e32 vcc, 16, v2
	v_cndmask_b32_e32 v1, 0, v1, vcc
	v_cndmask_b32_e32 v0, 7, v0, vcc
	v_cmp_eq_u64_e64 s[28:29], 0, v[0:1]
	v_min_i32_e32 v1, 15, v2
	v_lshlrev_b32_e32 v1, 3, v1
	v_cmp_eq_u32_e32 vcc, 0, v2
	v_and_b32_e32 v1, 0xf8, v1
	v_and_or_b32 v0, v0, 7, v1
	s_and_b64 s[28:29], vcc, s[28:29]
	v_cndmask_b32_e64 v0, v0, 0, s[28:29]
	v_or_b32_e32 v36, v0, v28
.LBB6_8737:                             ;   in Loop: Header=BB6_7203 Depth=3
	s_or_b64 exec, exec, s[36:37]
                                        ; implicit-def: $vgpr28
.LBB6_8738:                             ;   in Loop: Header=BB6_7203 Depth=3
	s_andn2_saveexec_b64 s[28:29], s[34:35]
; %bb.8739:                             ;   in Loop: Header=BB6_7203 Depth=3
	v_or_b32_e32 v36, 0x7e, v28
; %bb.8740:                             ;   in Loop: Header=BB6_7203 Depth=3
	s_or_b64 exec, exec, s[28:29]
                                        ; implicit-def: $vgpr0
.LBB6_8741:                             ;   in Loop: Header=BB6_7203 Depth=3
	s_andn2_saveexec_b64 s[28:29], s[30:31]
; %bb.8742:                             ;   in Loop: Header=BB6_7203 Depth=3
	v_or_b32_sdwa v36, v0, s81 dst_sel:DWORD dst_unused:UNUSED_PAD src0_sel:BYTE_3 src1_sel:DWORD
; %bb.8743:                             ;   in Loop: Header=BB6_7203 Depth=3
	s_or_b64 exec, exec, s[28:29]
	v_cmp_lt_u64_e32 vcc, s[56:57], v[12:13]
	v_mov_b32_e32 v1, 0
	v_mov_b32_e32 v2, 0
	s_and_saveexec_b64 s[28:29], vcc
	s_cbranch_execz .LBB6_8749
; %bb.8744:                             ;   in Loop: Header=BB6_7203 Depth=3
	v_lshrrev_b32_e32 v0, 24, v13
	v_cmp_ne_u32_e32 vcc, s80, v0
	v_bfrev_b32_e32 v2, 1
	s_and_saveexec_b64 s[30:31], vcc
	s_cbranch_execz .LBB6_8748
; %bb.8745:                             ;   in Loop: Header=BB6_7203 Depth=3
	v_bfe_u32 v12, v13, 24, 7
	v_cmp_ne_u32_e32 vcc, s81, v12
	v_mov_b32_e32 v2, 0x7f800001
	s_and_saveexec_b64 s[34:35], vcc
	s_cbranch_execz .LBB6_8747
; %bb.8746:                             ;   in Loop: Header=BB6_7203 Depth=3
	v_and_b32_e32 v2, 7, v0
	v_lshrrev_b32_e32 v20, 3, v12
	v_cmp_gt_u32_e32 vcc, 8, v12
	v_ffbh_u32_e32 v12, v2
	v_min_u32_e32 v22, 32, v12
	v_subrev_u32_e32 v12, 28, v22
	v_lshlrev_b64 v[12:13], v12, v[0:1]
	v_sub_u32_e32 v13, 29, v22
	v_and_b32_e32 v12, 7, v12
	v_cndmask_b32_e32 v13, v20, v13, vcc
	v_cndmask_b32_e32 v2, v2, v12, vcc
	v_lshlrev_b32_e32 v0, 24, v0
	v_bfrev_b32_e32 v12, 60
	v_lshlrev_b32_e32 v2, 20, v2
	v_and_b32_e32 v0, 0x80000000, v0
	v_lshl_add_u32 v12, v13, 23, v12
	v_or3_b32 v2, v0, v12, v2
.LBB6_8747:                             ;   in Loop: Header=BB6_7203 Depth=3
	s_or_b64 exec, exec, s[34:35]
.LBB6_8748:                             ;   in Loop: Header=BB6_7203 Depth=3
	s_or_b64 exec, exec, s[30:31]
.LBB6_8749:                             ;   in Loop: Header=BB6_7203 Depth=3
	s_or_b64 exec, exec, s[28:29]
	v_cmp_lt_u64_e32 vcc, s[56:57], v[8:9]
	s_and_saveexec_b64 s[28:29], vcc
	s_cbranch_execz .LBB6_8755
; %bb.8750:                             ;   in Loop: Header=BB6_7203 Depth=3
	v_lshrrev_b32_e32 v0, 24, v9
	v_cmp_ne_u32_e32 vcc, s80, v0
	v_bfrev_b32_e32 v1, 1
	s_and_saveexec_b64 s[30:31], vcc
	s_cbranch_execz .LBB6_8754
; %bb.8751:                             ;   in Loop: Header=BB6_7203 Depth=3
	v_bfe_u32 v8, v9, 24, 7
	v_cmp_ne_u32_e32 vcc, s81, v8
	v_mov_b32_e32 v1, 0x7f800001
	s_and_saveexec_b64 s[34:35], vcc
	s_cbranch_execz .LBB6_8753
; %bb.8752:                             ;   in Loop: Header=BB6_7203 Depth=3
	v_and_b32_e32 v1, 7, v0
	v_lshrrev_b32_e32 v12, 3, v8
	v_cmp_gt_u32_e32 vcc, 8, v8
	v_ffbh_u32_e32 v8, v1
	v_min_u32_e32 v13, 32, v8
	v_subrev_u32_e32 v8, 28, v13
	v_lshlrev_b64 v[8:9], v8, v[0:1]
	v_sub_u32_e32 v9, 29, v13
	v_and_b32_e32 v8, 7, v8
	v_cndmask_b32_e32 v9, v12, v9, vcc
	v_cndmask_b32_e32 v1, v1, v8, vcc
	v_lshlrev_b32_e32 v0, 24, v0
	v_bfrev_b32_e32 v8, 60
	v_lshlrev_b32_e32 v1, 20, v1
	v_and_b32_e32 v0, 0x80000000, v0
	v_lshl_add_u32 v8, v9, 23, v8
	v_or3_b32 v1, v0, v8, v1
.LBB6_8753:                             ;   in Loop: Header=BB6_7203 Depth=3
	s_or_b64 exec, exec, s[34:35]
.LBB6_8754:                             ;   in Loop: Header=BB6_7203 Depth=3
	s_or_b64 exec, exec, s[30:31]
.LBB6_8755:                             ;   in Loop: Header=BB6_7203 Depth=3
	s_or_b64 exec, exec, s[28:29]
	v_mul_f32_e32 v0, v2, v1
	v_and_b32_e32 v20, 0x7f800000, v0
	v_cmp_ne_u64_e32 vcc, s[62:63], v[20:21]
                                        ; implicit-def: $vgpr8
	s_and_saveexec_b64 s[28:29], vcc
	s_xor_b64 s[30:31], exec, s[28:29]
	s_cbranch_execz .LBB6_8769
; %bb.8756:                             ;   in Loop: Header=BB6_7203 Depth=3
	v_and_b32_e32 v20, 0x7fffffff, v0
	v_cmp_gt_u64_e32 vcc, s[78:79], v[20:21]
	v_and_b32_sdwa v9, v0, s80 dst_sel:DWORD dst_unused:UNUSED_PAD src0_sel:BYTE_3 src1_sel:DWORD
                                        ; implicit-def: $vgpr8
	s_and_saveexec_b64 s[28:29], vcc
	s_xor_b64 s[34:35], exec, s[28:29]
	s_cbranch_execz .LBB6_8766
; %bb.8757:                             ;   in Loop: Header=BB6_7203 Depth=3
	v_mov_b32_e32 v8, 0
	v_cmp_ne_u32_e32 vcc, 0, v0
	s_and_saveexec_b64 s[36:37], vcc
	s_cbranch_execz .LBB6_8765
; %bb.8758:                             ;   in Loop: Header=BB6_7203 Depth=3
	v_bfe_u32 v8, v0, 23, 8
	v_and_b32_e32 v1, 0x7fffff, v0
	v_cmp_gt_u32_e64 s[28:29], s47, v8
	v_sub_u32_e32 v0, 0x79, v8
	v_cmp_eq_u32_e32 vcc, 0, v8
	v_cndmask_b32_e64 v0, 0, v0, s[28:29]
	v_mov_b32_e32 v12, 0x78
	v_cndmask_b32_e32 v12, v0, v12, vcc
	v_or_b32_e32 v2, 0x800000, v1
	v_add_u32_e32 v0, 20, v12
	v_cndmask_b32_e32 v20, v2, v1, vcc
	v_lshlrev_b64 v[0:1], v0, -1
	v_add_u32_e32 v2, 19, v12
	v_lshlrev_b64 v[37:38], v2, 1
	v_bfi_b32 v1, v1, 0, 0
	v_bfi_b32 v0, v0, 0, v20
	v_cmp_eq_u64_e64 s[28:29], v[0:1], v[37:38]
	v_lshrrev_b64 v[0:1], v12, v[20:21]
	v_mov_b32_e32 v2, v1
	v_mov_b32_e32 v1, v0
	s_and_saveexec_b64 s[38:39], s[28:29]
; %bb.8759:                             ;   in Loop: Header=BB6_7203 Depth=3
	v_bfe_u32 v1, v0, 20, 1
	v_add_co_u32_e64 v1, s[28:29], v0, v1
	v_add_co_u32_e64 v1, s[28:29], -1, v1
; %bb.8760:                             ;   in Loop: Header=BB6_7203 Depth=3
	s_or_b64 exec, exec, s[38:39]
	v_add_u32_e32 v2, 0xffffff81, v8
	v_mov_b32_e32 v8, 0xffffff82
	v_cndmask_b32_e32 v2, v2, v8, vcc
	v_lshrrev_b32_e32 v8, 23, v0
	v_add3_u32 v12, v12, v2, v8
	v_add_u32_e32 v8, 6, v12
	v_and_b32_e32 v1, 0xfffff, v1
	v_add_u32_e32 v20, v1, v0
	v_cmp_ne_u32_e32 vcc, 0, v8
                                        ; implicit-def: $vgpr0_vgpr1
                                        ; implicit-def: $vgpr2
	s_and_saveexec_b64 s[28:29], vcc
	s_xor_b64 s[28:29], exec, s[28:29]
; %bb.8761:                             ;   in Loop: Header=BB6_7203 Depth=3
	v_cmp_lt_u64_e32 vcc, s[88:89], v[20:21]
	v_add_u32_e32 v0, 7, v12
	v_cndmask_b32_e32 v2, v8, v0, vcc
	v_cndmask_b32_e64 v0, 0, 1, vcc
	v_lshrrev_b64 v[0:1], v0, v[20:21]
; %bb.8762:                             ;   in Loop: Header=BB6_7203 Depth=3
	s_andn2_saveexec_b64 s[28:29], s[28:29]
; %bb.8763:                             ;   in Loop: Header=BB6_7203 Depth=3
	v_mov_b32_e32 v0, v20
	v_bfe_u32 v2, v20, 23, 1
	v_mov_b32_e32 v1, v21
; %bb.8764:                             ;   in Loop: Header=BB6_7203 Depth=3
	s_or_b64 exec, exec, s[28:29]
	v_lshrrev_b64 v[0:1], 20, v[0:1]
	v_cmp_gt_i32_e32 vcc, 16, v2
	v_cndmask_b32_e32 v1, 0, v1, vcc
	v_cndmask_b32_e32 v0, 7, v0, vcc
	v_cmp_eq_u64_e64 s[28:29], 0, v[0:1]
	v_min_i32_e32 v1, 15, v2
	v_lshlrev_b32_e32 v1, 3, v1
	v_cmp_eq_u32_e32 vcc, 0, v2
	v_and_b32_e32 v1, 0xf8, v1
	v_and_or_b32 v0, v0, 7, v1
	s_and_b64 s[28:29], vcc, s[28:29]
	v_cndmask_b32_e64 v0, v0, 0, s[28:29]
	v_or_b32_e32 v8, v0, v9
.LBB6_8765:                             ;   in Loop: Header=BB6_7203 Depth=3
	s_or_b64 exec, exec, s[36:37]
                                        ; implicit-def: $vgpr9
.LBB6_8766:                             ;   in Loop: Header=BB6_7203 Depth=3
	s_andn2_saveexec_b64 s[28:29], s[34:35]
; %bb.8767:                             ;   in Loop: Header=BB6_7203 Depth=3
	v_or_b32_e32 v8, 0x7e, v9
; %bb.8768:                             ;   in Loop: Header=BB6_7203 Depth=3
	s_or_b64 exec, exec, s[28:29]
                                        ; implicit-def: $vgpr0
.LBB6_8769:                             ;   in Loop: Header=BB6_7203 Depth=3
	s_andn2_saveexec_b64 s[28:29], s[30:31]
; %bb.8770:                             ;   in Loop: Header=BB6_7203 Depth=3
	v_or_b32_sdwa v8, v0, s81 dst_sel:DWORD dst_unused:UNUSED_PAD src0_sel:BYTE_3 src1_sel:DWORD
; %bb.8771:                             ;   in Loop: Header=BB6_7203 Depth=3
	s_or_b64 exec, exec, s[28:29]
	v_cmp_ne_u16_sdwa vcc, v14, v21 src0_sel:BYTE_0 src1_sel:DWORD
	v_mov_b32_e32 v0, 0
	v_mov_b32_e32 v1, 0
	s_and_saveexec_b64 s[28:29], vcc
	s_cbranch_execz .LBB6_8777
; %bb.8772:                             ;   in Loop: Header=BB6_7203 Depth=3
	v_cmp_ne_u16_sdwa vcc, v14, s80 src0_sel:BYTE_0 src1_sel:DWORD
	v_bfrev_b32_e32 v1, 1
	s_and_saveexec_b64 s[30:31], vcc
	s_cbranch_execz .LBB6_8776
; %bb.8773:                             ;   in Loop: Header=BB6_7203 Depth=3
	v_and_b32_e32 v2, 0x7f, v14
	v_cmp_ne_u32_e32 vcc, s81, v2
	v_mov_b32_e32 v1, 0x7f800001
	s_and_saveexec_b64 s[34:35], vcc
	s_cbranch_execz .LBB6_8775
; %bb.8774:                             ;   in Loop: Header=BB6_7203 Depth=3
	v_and_b32_e32 v1, 7, v14
	v_ffbh_u32_e32 v1, v1
	v_min_u32_e32 v1, 32, v1
	v_lshrrev_b32_e32 v9, 3, v2
	v_cmp_gt_u32_e32 vcc, 8, v2
	v_subrev_u32_e32 v2, 28, v1
	v_sub_u32_e32 v1, 29, v1
	v_cndmask_b32_e32 v9, v9, v1, vcc
	v_cndmask_b32_e32 v1, 0, v2, vcc
	v_lshlrev_b64 v[1:2], v1, v[14:15]
	v_lshlrev_b32_e32 v2, 24, v14
	v_lshlrev_b32_e32 v1, 20, v1
	v_bfrev_b32_e32 v12, 60
	v_and_b32_e32 v1, 0x700000, v1
	v_and_b32_e32 v2, 0x80000000, v2
	v_lshl_add_u32 v9, v9, 23, v12
	v_or3_b32 v1, v2, v9, v1
.LBB6_8775:                             ;   in Loop: Header=BB6_7203 Depth=3
	s_or_b64 exec, exec, s[34:35]
.LBB6_8776:                             ;   in Loop: Header=BB6_7203 Depth=3
	s_or_b64 exec, exec, s[30:31]
.LBB6_8777:                             ;   in Loop: Header=BB6_7203 Depth=3
	s_or_b64 exec, exec, s[28:29]
	v_cmp_ne_u16_sdwa vcc, v10, v21 src0_sel:BYTE_0 src1_sel:DWORD
	s_and_saveexec_b64 s[28:29], vcc
	s_cbranch_execz .LBB6_8783
; %bb.8778:                             ;   in Loop: Header=BB6_7203 Depth=3
	v_cmp_ne_u16_sdwa vcc, v10, s80 src0_sel:BYTE_0 src1_sel:DWORD
	v_bfrev_b32_e32 v0, 1
	s_and_saveexec_b64 s[30:31], vcc
	s_cbranch_execz .LBB6_8782
; %bb.8779:                             ;   in Loop: Header=BB6_7203 Depth=3
	v_and_b32_e32 v2, 0x7f, v10
	v_cmp_ne_u32_e32 vcc, s81, v2
	v_mov_b32_e32 v0, 0x7f800001
	s_and_saveexec_b64 s[34:35], vcc
	s_cbranch_execz .LBB6_8781
; %bb.8780:                             ;   in Loop: Header=BB6_7203 Depth=3
	v_and_b32_e32 v0, 7, v10
	v_ffbh_u32_e32 v0, v0
	v_min_u32_e32 v0, 32, v0
	v_lshrrev_b32_e32 v9, 3, v2
	v_cmp_gt_u32_e32 vcc, 8, v2
	v_subrev_u32_e32 v2, 28, v0
	v_cndmask_b32_e32 v2, 0, v2, vcc
	v_lshlrev_b64 v[12:13], v2, v[10:11]
	v_sub_u32_e32 v0, 29, v0
	v_cndmask_b32_e32 v0, v9, v0, vcc
	v_lshlrev_b32_e32 v2, 20, v12
	v_lshlrev_b32_e32 v9, 24, v10
	v_bfrev_b32_e32 v12, 60
	v_and_b32_e32 v2, 0x700000, v2
	v_and_b32_e32 v9, 0x80000000, v9
	v_lshl_add_u32 v0, v0, 23, v12
	v_or3_b32 v0, v9, v0, v2
.LBB6_8781:                             ;   in Loop: Header=BB6_7203 Depth=3
	s_or_b64 exec, exec, s[34:35]
.LBB6_8782:                             ;   in Loop: Header=BB6_7203 Depth=3
	s_or_b64 exec, exec, s[30:31]
.LBB6_8783:                             ;   in Loop: Header=BB6_7203 Depth=3
	s_or_b64 exec, exec, s[28:29]
	v_mul_f32_e32 v0, v1, v0
	v_and_b32_e32 v20, 0x7f800000, v0
	v_cmp_ne_u64_e32 vcc, s[62:63], v[20:21]
                                        ; implicit-def: $vgpr9
	s_and_saveexec_b64 s[28:29], vcc
	s_xor_b64 s[30:31], exec, s[28:29]
	s_cbranch_execz .LBB6_8797
; %bb.8784:                             ;   in Loop: Header=BB6_7203 Depth=3
	v_and_b32_e32 v20, 0x7fffffff, v0
	v_cmp_gt_u64_e32 vcc, s[78:79], v[20:21]
	v_and_b32_sdwa v12, v0, s80 dst_sel:DWORD dst_unused:UNUSED_PAD src0_sel:BYTE_3 src1_sel:DWORD
                                        ; implicit-def: $vgpr9
	s_and_saveexec_b64 s[28:29], vcc
	s_xor_b64 s[34:35], exec, s[28:29]
	s_cbranch_execz .LBB6_8794
; %bb.8785:                             ;   in Loop: Header=BB6_7203 Depth=3
	v_mov_b32_e32 v9, 0
	v_cmp_ne_u32_e32 vcc, 0, v0
	s_and_saveexec_b64 s[36:37], vcc
	s_cbranch_execz .LBB6_8793
; %bb.8786:                             ;   in Loop: Header=BB6_7203 Depth=3
	v_bfe_u32 v9, v0, 23, 8
	v_and_b32_e32 v1, 0x7fffff, v0
	v_cmp_gt_u32_e64 s[28:29], s47, v9
	v_sub_u32_e32 v0, 0x79, v9
	v_cmp_eq_u32_e32 vcc, 0, v9
	v_cndmask_b32_e64 v0, 0, v0, s[28:29]
	v_mov_b32_e32 v13, 0x78
	v_cndmask_b32_e32 v13, v0, v13, vcc
	v_or_b32_e32 v2, 0x800000, v1
	v_add_u32_e32 v0, 20, v13
	v_cndmask_b32_e32 v20, v2, v1, vcc
	v_lshlrev_b64 v[0:1], v0, -1
	v_add_u32_e32 v2, 19, v13
	v_lshlrev_b64 v[37:38], v2, 1
	v_bfi_b32 v1, v1, 0, 0
	v_bfi_b32 v0, v0, 0, v20
	v_cmp_eq_u64_e64 s[28:29], v[0:1], v[37:38]
	v_lshrrev_b64 v[0:1], v13, v[20:21]
	v_mov_b32_e32 v2, v1
	v_mov_b32_e32 v1, v0
	s_and_saveexec_b64 s[38:39], s[28:29]
; %bb.8787:                             ;   in Loop: Header=BB6_7203 Depth=3
	v_bfe_u32 v1, v0, 20, 1
	v_add_co_u32_e64 v1, s[28:29], v0, v1
	v_add_co_u32_e64 v1, s[28:29], -1, v1
; %bb.8788:                             ;   in Loop: Header=BB6_7203 Depth=3
	s_or_b64 exec, exec, s[38:39]
	v_add_u32_e32 v2, 0xffffff81, v9
	v_mov_b32_e32 v9, 0xffffff82
	v_cndmask_b32_e32 v2, v2, v9, vcc
	v_lshrrev_b32_e32 v9, 23, v0
	v_add3_u32 v13, v13, v2, v9
	v_add_u32_e32 v9, 6, v13
	v_and_b32_e32 v1, 0xfffff, v1
	v_add_u32_e32 v20, v1, v0
	v_cmp_ne_u32_e32 vcc, 0, v9
                                        ; implicit-def: $vgpr0_vgpr1
                                        ; implicit-def: $vgpr2
	s_and_saveexec_b64 s[28:29], vcc
	s_xor_b64 s[28:29], exec, s[28:29]
; %bb.8789:                             ;   in Loop: Header=BB6_7203 Depth=3
	v_cmp_lt_u64_e32 vcc, s[88:89], v[20:21]
	v_add_u32_e32 v0, 7, v13
	v_cndmask_b32_e32 v2, v9, v0, vcc
	v_cndmask_b32_e64 v0, 0, 1, vcc
	v_lshrrev_b64 v[0:1], v0, v[20:21]
; %bb.8790:                             ;   in Loop: Header=BB6_7203 Depth=3
	s_andn2_saveexec_b64 s[28:29], s[28:29]
; %bb.8791:                             ;   in Loop: Header=BB6_7203 Depth=3
	v_mov_b32_e32 v0, v20
	v_bfe_u32 v2, v20, 23, 1
	v_mov_b32_e32 v1, v21
; %bb.8792:                             ;   in Loop: Header=BB6_7203 Depth=3
	s_or_b64 exec, exec, s[28:29]
	v_lshrrev_b64 v[0:1], 20, v[0:1]
	v_cmp_gt_i32_e32 vcc, 16, v2
	v_cndmask_b32_e32 v1, 0, v1, vcc
	v_cndmask_b32_e32 v0, 7, v0, vcc
	v_cmp_eq_u64_e64 s[28:29], 0, v[0:1]
	v_min_i32_e32 v1, 15, v2
	v_lshlrev_b32_e32 v1, 3, v1
	v_cmp_eq_u32_e32 vcc, 0, v2
	v_and_b32_e32 v1, 0xf8, v1
	v_and_or_b32 v0, v0, 7, v1
	s_and_b64 s[28:29], vcc, s[28:29]
	v_cndmask_b32_e64 v0, v0, 0, s[28:29]
	v_or_b32_e32 v9, v0, v12
.LBB6_8793:                             ;   in Loop: Header=BB6_7203 Depth=3
	s_or_b64 exec, exec, s[36:37]
                                        ; implicit-def: $vgpr12
.LBB6_8794:                             ;   in Loop: Header=BB6_7203 Depth=3
	s_andn2_saveexec_b64 s[28:29], s[34:35]
; %bb.8795:                             ;   in Loop: Header=BB6_7203 Depth=3
	v_or_b32_e32 v9, 0x7e, v12
; %bb.8796:                             ;   in Loop: Header=BB6_7203 Depth=3
	s_or_b64 exec, exec, s[28:29]
                                        ; implicit-def: $vgpr0
.LBB6_8797:                             ;   in Loop: Header=BB6_7203 Depth=3
	s_andn2_saveexec_b64 s[28:29], s[30:31]
; %bb.8798:                             ;   in Loop: Header=BB6_7203 Depth=3
	v_or_b32_sdwa v9, v0, s81 dst_sel:DWORD dst_unused:UNUSED_PAD src0_sel:BYTE_3 src1_sel:DWORD
; %bb.8799:                             ;   in Loop: Header=BB6_7203 Depth=3
	s_or_b64 exec, exec, s[28:29]
	v_lshrrev_b16_e32 v0, 8, v14
	v_cmp_ne_u16_e32 vcc, 0, v0
	v_mov_b32_e32 v1, 0
	v_mov_b32_e32 v2, 0
	s_and_saveexec_b64 s[28:29], vcc
	s_cbranch_execz .LBB6_8805
; %bb.8800:                             ;   in Loop: Header=BB6_7203 Depth=3
	v_cmp_ne_u16_e32 vcc, s80, v0
	v_bfrev_b32_e32 v2, 1
	s_and_saveexec_b64 s[30:31], vcc
	s_cbranch_execz .LBB6_8804
; %bb.8801:                             ;   in Loop: Header=BB6_7203 Depth=3
	v_and_b32_e32 v12, 0x7f, v0
	v_cmp_ne_u32_e32 vcc, s81, v12
	v_mov_b32_e32 v2, 0x7f800001
	s_and_saveexec_b64 s[34:35], vcc
	s_cbranch_execz .LBB6_8803
; %bb.8802:                             ;   in Loop: Header=BB6_7203 Depth=3
	v_and_b32_e32 v2, 7, v0
	v_lshrrev_b32_e32 v20, 3, v12
	v_cmp_gt_u32_e32 vcc, 8, v12
	v_ffbh_u32_e32 v12, v2
	v_min_u32_e32 v22, 32, v12
	v_subrev_u32_e32 v12, 28, v22
	v_lshlrev_b64 v[12:13], v12, v[0:1]
	v_sub_u32_e32 v0, 29, v22
	v_and_b32_e32 v12, 7, v12
	v_cndmask_b32_e32 v0, v20, v0, vcc
	v_cndmask_b32_e32 v2, v2, v12, vcc
	v_lshlrev_b32_e32 v12, 16, v14
	v_bfrev_b32_e32 v13, 60
	v_lshlrev_b32_e32 v2, 20, v2
	v_and_b32_e32 v12, 0x80000000, v12
	v_lshl_add_u32 v0, v0, 23, v13
	v_or3_b32 v2, v12, v0, v2
.LBB6_8803:                             ;   in Loop: Header=BB6_7203 Depth=3
	s_or_b64 exec, exec, s[34:35]
.LBB6_8804:                             ;   in Loop: Header=BB6_7203 Depth=3
	s_or_b64 exec, exec, s[30:31]
.LBB6_8805:                             ;   in Loop: Header=BB6_7203 Depth=3
	s_or_b64 exec, exec, s[28:29]
	v_lshrrev_b16_e32 v0, 8, v10
	v_cmp_ne_u16_e32 vcc, 0, v0
	s_and_saveexec_b64 s[28:29], vcc
	s_cbranch_execz .LBB6_8811
; %bb.8806:                             ;   in Loop: Header=BB6_7203 Depth=3
	v_cmp_ne_u16_e32 vcc, s80, v0
	v_bfrev_b32_e32 v1, 1
	s_and_saveexec_b64 s[30:31], vcc
	s_cbranch_execz .LBB6_8810
; %bb.8807:                             ;   in Loop: Header=BB6_7203 Depth=3
	v_and_b32_e32 v12, 0x7f, v0
	v_cmp_ne_u32_e32 vcc, s81, v12
	v_mov_b32_e32 v1, 0x7f800001
	s_and_saveexec_b64 s[34:35], vcc
	s_cbranch_execz .LBB6_8809
; %bb.8808:                             ;   in Loop: Header=BB6_7203 Depth=3
	v_and_b32_e32 v13, 7, v0
	v_ffbh_u32_e32 v1, v13
	v_lshrrev_b32_e32 v20, 3, v12
	v_cmp_gt_u32_e32 vcc, 8, v12
	v_min_u32_e32 v12, 32, v1
	v_subrev_u32_e32 v1, 28, v12
	v_lshlrev_b64 v[0:1], v1, v[0:1]
	v_sub_u32_e32 v1, 29, v12
	v_and_b32_e32 v0, 7, v0
	v_cndmask_b32_e32 v1, v20, v1, vcc
	v_cndmask_b32_e32 v0, v13, v0, vcc
	v_lshlrev_b32_e32 v12, 16, v10
	v_bfrev_b32_e32 v13, 60
	v_lshlrev_b32_e32 v0, 20, v0
	v_and_b32_e32 v12, 0x80000000, v12
	v_lshl_add_u32 v1, v1, 23, v13
	v_or3_b32 v1, v12, v1, v0
.LBB6_8809:                             ;   in Loop: Header=BB6_7203 Depth=3
	s_or_b64 exec, exec, s[34:35]
.LBB6_8810:                             ;   in Loop: Header=BB6_7203 Depth=3
	s_or_b64 exec, exec, s[30:31]
.LBB6_8811:                             ;   in Loop: Header=BB6_7203 Depth=3
	s_or_b64 exec, exec, s[28:29]
	v_mul_f32_e32 v0, v2, v1
	v_and_b32_e32 v20, 0x7f800000, v0
	v_cmp_ne_u64_e32 vcc, s[62:63], v[20:21]
                                        ; implicit-def: $vgpr12
	s_and_saveexec_b64 s[28:29], vcc
	s_xor_b64 s[30:31], exec, s[28:29]
	s_cbranch_execz .LBB6_8825
; %bb.8812:                             ;   in Loop: Header=BB6_7203 Depth=3
	v_and_b32_e32 v20, 0x7fffffff, v0
	v_cmp_gt_u64_e32 vcc, s[78:79], v[20:21]
	v_and_b32_sdwa v13, v0, s80 dst_sel:DWORD dst_unused:UNUSED_PAD src0_sel:BYTE_3 src1_sel:DWORD
                                        ; implicit-def: $vgpr12
	s_and_saveexec_b64 s[28:29], vcc
	s_xor_b64 s[34:35], exec, s[28:29]
	s_cbranch_execz .LBB6_8822
; %bb.8813:                             ;   in Loop: Header=BB6_7203 Depth=3
	v_mov_b32_e32 v12, 0
	v_cmp_ne_u32_e32 vcc, 0, v0
	s_and_saveexec_b64 s[36:37], vcc
	s_cbranch_execz .LBB6_8821
; %bb.8814:                             ;   in Loop: Header=BB6_7203 Depth=3
	v_bfe_u32 v12, v0, 23, 8
	v_and_b32_e32 v1, 0x7fffff, v0
	v_cmp_gt_u32_e64 s[28:29], s47, v12
	v_sub_u32_e32 v0, 0x79, v12
	v_cmp_eq_u32_e32 vcc, 0, v12
	v_cndmask_b32_e64 v0, 0, v0, s[28:29]
	v_mov_b32_e32 v20, 0x78
	v_cndmask_b32_e32 v28, v0, v20, vcc
	v_or_b32_e32 v2, 0x800000, v1
	v_add_u32_e32 v0, 20, v28
	v_cndmask_b32_e32 v20, v2, v1, vcc
	v_lshlrev_b64 v[0:1], v0, -1
	v_add_u32_e32 v2, 19, v28
	v_lshlrev_b64 v[37:38], v2, 1
	v_bfi_b32 v1, v1, 0, 0
	v_bfi_b32 v0, v0, 0, v20
	v_cmp_eq_u64_e64 s[28:29], v[0:1], v[37:38]
	v_lshrrev_b64 v[0:1], v28, v[20:21]
	v_mov_b32_e32 v2, v1
	v_mov_b32_e32 v1, v0
	s_and_saveexec_b64 s[38:39], s[28:29]
; %bb.8815:                             ;   in Loop: Header=BB6_7203 Depth=3
	v_bfe_u32 v1, v0, 20, 1
	v_add_co_u32_e64 v1, s[28:29], v0, v1
	v_add_co_u32_e64 v1, s[28:29], -1, v1
; %bb.8816:                             ;   in Loop: Header=BB6_7203 Depth=3
	s_or_b64 exec, exec, s[38:39]
	v_add_u32_e32 v2, 0xffffff81, v12
	v_mov_b32_e32 v12, 0xffffff82
	v_cndmask_b32_e32 v2, v2, v12, vcc
	v_lshrrev_b32_e32 v12, 23, v0
	v_add3_u32 v28, v28, v2, v12
	v_add_u32_e32 v12, 6, v28
	v_and_b32_e32 v1, 0xfffff, v1
	v_add_u32_e32 v20, v1, v0
	v_cmp_ne_u32_e32 vcc, 0, v12
                                        ; implicit-def: $vgpr0_vgpr1
                                        ; implicit-def: $vgpr2
	s_and_saveexec_b64 s[28:29], vcc
	s_xor_b64 s[28:29], exec, s[28:29]
; %bb.8817:                             ;   in Loop: Header=BB6_7203 Depth=3
	v_cmp_lt_u64_e32 vcc, s[88:89], v[20:21]
	v_add_u32_e32 v0, 7, v28
	v_cndmask_b32_e32 v2, v12, v0, vcc
	v_cndmask_b32_e64 v0, 0, 1, vcc
	v_lshrrev_b64 v[0:1], v0, v[20:21]
; %bb.8818:                             ;   in Loop: Header=BB6_7203 Depth=3
	s_andn2_saveexec_b64 s[28:29], s[28:29]
; %bb.8819:                             ;   in Loop: Header=BB6_7203 Depth=3
	v_mov_b32_e32 v0, v20
	v_bfe_u32 v2, v20, 23, 1
	v_mov_b32_e32 v1, v21
; %bb.8820:                             ;   in Loop: Header=BB6_7203 Depth=3
	s_or_b64 exec, exec, s[28:29]
	v_lshrrev_b64 v[0:1], 20, v[0:1]
	v_cmp_gt_i32_e32 vcc, 16, v2
	v_cndmask_b32_e32 v1, 0, v1, vcc
	v_cndmask_b32_e32 v0, 7, v0, vcc
	v_cmp_eq_u64_e64 s[28:29], 0, v[0:1]
	v_min_i32_e32 v1, 15, v2
	v_lshlrev_b32_e32 v1, 3, v1
	v_cmp_eq_u32_e32 vcc, 0, v2
	v_and_b32_e32 v1, 0xf8, v1
	v_and_or_b32 v0, v0, 7, v1
	s_and_b64 s[28:29], vcc, s[28:29]
	v_cndmask_b32_e64 v0, v0, 0, s[28:29]
	v_or_b32_e32 v12, v0, v13
.LBB6_8821:                             ;   in Loop: Header=BB6_7203 Depth=3
	s_or_b64 exec, exec, s[36:37]
                                        ; implicit-def: $vgpr13
.LBB6_8822:                             ;   in Loop: Header=BB6_7203 Depth=3
	s_andn2_saveexec_b64 s[28:29], s[34:35]
; %bb.8823:                             ;   in Loop: Header=BB6_7203 Depth=3
	v_or_b32_e32 v12, 0x7e, v13
; %bb.8824:                             ;   in Loop: Header=BB6_7203 Depth=3
	s_or_b64 exec, exec, s[28:29]
                                        ; implicit-def: $vgpr0
.LBB6_8825:                             ;   in Loop: Header=BB6_7203 Depth=3
	s_andn2_saveexec_b64 s[28:29], s[30:31]
; %bb.8826:                             ;   in Loop: Header=BB6_7203 Depth=3
	v_or_b32_sdwa v12, v0, s81 dst_sel:DWORD dst_unused:UNUSED_PAD src0_sel:BYTE_3 src1_sel:DWORD
; %bb.8827:                             ;   in Loop: Header=BB6_7203 Depth=3
	s_or_b64 exec, exec, s[28:29]
	v_lshrrev_b32_e32 v0, 16, v14
	v_cmp_ne_u16_sdwa vcc, v0, v21 src0_sel:BYTE_0 src1_sel:DWORD
	v_mov_b32_e32 v1, 0
	v_mov_b32_e32 v2, 0
	s_and_saveexec_b64 s[28:29], vcc
	s_cbranch_execz .LBB6_8833
; %bb.8828:                             ;   in Loop: Header=BB6_7203 Depth=3
	v_cmp_ne_u16_sdwa vcc, v0, s80 src0_sel:BYTE_0 src1_sel:DWORD
	v_bfrev_b32_e32 v2, 1
	s_and_saveexec_b64 s[30:31], vcc
	s_cbranch_execz .LBB6_8832
; %bb.8829:                             ;   in Loop: Header=BB6_7203 Depth=3
	v_bfe_u32 v13, v14, 16, 7
	v_cmp_ne_u32_e32 vcc, s81, v13
	v_mov_b32_e32 v2, 0x7f800001
	s_and_saveexec_b64 s[34:35], vcc
	s_cbranch_execz .LBB6_8831
; %bb.8830:                             ;   in Loop: Header=BB6_7203 Depth=3
	v_and_b32_e32 v2, 7, v0
	v_lshrrev_b32_e32 v20, 3, v13
	v_cmp_gt_u32_e32 vcc, 8, v13
	v_ffbh_u32_e32 v13, v2
	v_min_u32_e32 v13, 32, v13
	v_subrev_u32_e32 v22, 28, v13
	v_lshlrev_b64 v[37:38], v22, v[0:1]
	v_sub_u32_e32 v13, 29, v13
	v_and_b32_e32 v22, 7, v37
	v_cndmask_b32_e32 v13, v20, v13, vcc
	v_cndmask_b32_e32 v2, v2, v22, vcc
	v_lshlrev_b32_e32 v0, 24, v0
	v_bfrev_b32_e32 v20, 60
	v_lshlrev_b32_e32 v2, 20, v2
	v_and_b32_e32 v0, 0x80000000, v0
	v_lshl_add_u32 v13, v13, 23, v20
	v_or3_b32 v2, v0, v13, v2
.LBB6_8831:                             ;   in Loop: Header=BB6_7203 Depth=3
	s_or_b64 exec, exec, s[34:35]
.LBB6_8832:                             ;   in Loop: Header=BB6_7203 Depth=3
	s_or_b64 exec, exec, s[30:31]
.LBB6_8833:                             ;   in Loop: Header=BB6_7203 Depth=3
	s_or_b64 exec, exec, s[28:29]
	v_lshrrev_b32_e32 v0, 16, v10
	v_cmp_ne_u16_sdwa vcc, v0, v21 src0_sel:BYTE_0 src1_sel:DWORD
	s_and_saveexec_b64 s[28:29], vcc
	s_cbranch_execz .LBB6_8839
; %bb.8834:                             ;   in Loop: Header=BB6_7203 Depth=3
	v_cmp_ne_u16_sdwa vcc, v0, s80 src0_sel:BYTE_0 src1_sel:DWORD
	v_bfrev_b32_e32 v1, 1
	s_and_saveexec_b64 s[30:31], vcc
	s_cbranch_execz .LBB6_8838
; %bb.8835:                             ;   in Loop: Header=BB6_7203 Depth=3
	v_bfe_u32 v13, v10, 16, 7
	v_cmp_ne_u32_e32 vcc, s81, v13
	v_mov_b32_e32 v1, 0x7f800001
	s_and_saveexec_b64 s[34:35], vcc
	s_cbranch_execz .LBB6_8837
; %bb.8836:                             ;   in Loop: Header=BB6_7203 Depth=3
	v_and_b32_e32 v20, 7, v0
	v_ffbh_u32_e32 v1, v20
	v_lshrrev_b32_e32 v22, 3, v13
	v_cmp_gt_u32_e32 vcc, 8, v13
	v_min_u32_e32 v13, 32, v1
	v_subrev_u32_e32 v1, 28, v13
	v_lshlrev_b64 v[0:1], v1, v[0:1]
	v_sub_u32_e32 v1, 29, v13
	v_and_b32_e32 v0, 7, v0
	v_cndmask_b32_e32 v1, v22, v1, vcc
	v_cndmask_b32_e32 v0, v20, v0, vcc
	v_lshlrev_b32_e32 v13, 8, v10
	v_bfrev_b32_e32 v20, 60
	v_lshlrev_b32_e32 v0, 20, v0
	v_and_b32_e32 v13, 0x80000000, v13
	v_lshl_add_u32 v1, v1, 23, v20
	v_or3_b32 v1, v13, v1, v0
.LBB6_8837:                             ;   in Loop: Header=BB6_7203 Depth=3
	s_or_b64 exec, exec, s[34:35]
.LBB6_8838:                             ;   in Loop: Header=BB6_7203 Depth=3
	s_or_b64 exec, exec, s[30:31]
.LBB6_8839:                             ;   in Loop: Header=BB6_7203 Depth=3
	s_or_b64 exec, exec, s[28:29]
	v_mul_f32_e32 v0, v2, v1
	v_and_b32_e32 v20, 0x7f800000, v0
	v_cmp_ne_u64_e32 vcc, s[62:63], v[20:21]
                                        ; implicit-def: $vgpr13
	s_and_saveexec_b64 s[28:29], vcc
	s_xor_b64 s[30:31], exec, s[28:29]
	s_cbranch_execz .LBB6_8853
; %bb.8840:                             ;   in Loop: Header=BB6_7203 Depth=3
	v_and_b32_e32 v20, 0x7fffffff, v0
	v_cmp_gt_u64_e32 vcc, s[78:79], v[20:21]
	v_and_b32_sdwa v28, v0, s80 dst_sel:DWORD dst_unused:UNUSED_PAD src0_sel:BYTE_3 src1_sel:DWORD
                                        ; implicit-def: $vgpr13
	s_and_saveexec_b64 s[28:29], vcc
	s_xor_b64 s[34:35], exec, s[28:29]
	s_cbranch_execz .LBB6_8850
; %bb.8841:                             ;   in Loop: Header=BB6_7203 Depth=3
	v_mov_b32_e32 v13, 0
	v_cmp_ne_u32_e32 vcc, 0, v0
	s_and_saveexec_b64 s[36:37], vcc
	s_cbranch_execz .LBB6_8849
; %bb.8842:                             ;   in Loop: Header=BB6_7203 Depth=3
	v_bfe_u32 v13, v0, 23, 8
	v_and_b32_e32 v1, 0x7fffff, v0
	v_cmp_gt_u32_e64 s[28:29], s47, v13
	v_sub_u32_e32 v0, 0x79, v13
	v_cmp_eq_u32_e32 vcc, 0, v13
	v_cndmask_b32_e64 v0, 0, v0, s[28:29]
	v_mov_b32_e32 v20, 0x78
	v_cndmask_b32_e32 v37, v0, v20, vcc
	v_or_b32_e32 v2, 0x800000, v1
	v_add_u32_e32 v0, 20, v37
	v_cndmask_b32_e32 v20, v2, v1, vcc
	v_lshlrev_b64 v[0:1], v0, -1
	v_add_u32_e32 v2, 19, v37
	v_lshlrev_b64 v[38:39], v2, 1
	v_bfi_b32 v1, v1, 0, 0
	v_bfi_b32 v0, v0, 0, v20
	v_cmp_eq_u64_e64 s[28:29], v[0:1], v[38:39]
	v_lshrrev_b64 v[0:1], v37, v[20:21]
	v_mov_b32_e32 v2, v1
	v_mov_b32_e32 v1, v0
	s_and_saveexec_b64 s[38:39], s[28:29]
; %bb.8843:                             ;   in Loop: Header=BB6_7203 Depth=3
	v_bfe_u32 v1, v0, 20, 1
	v_add_co_u32_e64 v1, s[28:29], v0, v1
	v_add_co_u32_e64 v1, s[28:29], -1, v1
; %bb.8844:                             ;   in Loop: Header=BB6_7203 Depth=3
	s_or_b64 exec, exec, s[38:39]
	v_add_u32_e32 v2, 0xffffff81, v13
	v_mov_b32_e32 v13, 0xffffff82
	v_cndmask_b32_e32 v2, v2, v13, vcc
	v_lshrrev_b32_e32 v13, 23, v0
	v_add3_u32 v37, v37, v2, v13
	v_add_u32_e32 v13, 6, v37
	v_and_b32_e32 v1, 0xfffff, v1
	v_add_u32_e32 v20, v1, v0
	v_cmp_ne_u32_e32 vcc, 0, v13
                                        ; implicit-def: $vgpr0_vgpr1
                                        ; implicit-def: $vgpr2
	s_and_saveexec_b64 s[28:29], vcc
	s_xor_b64 s[28:29], exec, s[28:29]
; %bb.8845:                             ;   in Loop: Header=BB6_7203 Depth=3
	v_cmp_lt_u64_e32 vcc, s[88:89], v[20:21]
	v_add_u32_e32 v0, 7, v37
	v_cndmask_b32_e32 v2, v13, v0, vcc
	v_cndmask_b32_e64 v0, 0, 1, vcc
	v_lshrrev_b64 v[0:1], v0, v[20:21]
; %bb.8846:                             ;   in Loop: Header=BB6_7203 Depth=3
	s_andn2_saveexec_b64 s[28:29], s[28:29]
; %bb.8847:                             ;   in Loop: Header=BB6_7203 Depth=3
	v_mov_b32_e32 v0, v20
	v_bfe_u32 v2, v20, 23, 1
	v_mov_b32_e32 v1, v21
; %bb.8848:                             ;   in Loop: Header=BB6_7203 Depth=3
	s_or_b64 exec, exec, s[28:29]
	v_lshrrev_b64 v[0:1], 20, v[0:1]
	v_cmp_gt_i32_e32 vcc, 16, v2
	v_cndmask_b32_e32 v1, 0, v1, vcc
	v_cndmask_b32_e32 v0, 7, v0, vcc
	v_cmp_eq_u64_e64 s[28:29], 0, v[0:1]
	v_min_i32_e32 v1, 15, v2
	v_lshlrev_b32_e32 v1, 3, v1
	v_cmp_eq_u32_e32 vcc, 0, v2
	v_and_b32_e32 v1, 0xf8, v1
	v_and_or_b32 v0, v0, 7, v1
	s_and_b64 s[28:29], vcc, s[28:29]
	v_cndmask_b32_e64 v0, v0, 0, s[28:29]
	v_or_b32_e32 v13, v0, v28
.LBB6_8849:                             ;   in Loop: Header=BB6_7203 Depth=3
	s_or_b64 exec, exec, s[36:37]
                                        ; implicit-def: $vgpr28
.LBB6_8850:                             ;   in Loop: Header=BB6_7203 Depth=3
	s_andn2_saveexec_b64 s[28:29], s[34:35]
; %bb.8851:                             ;   in Loop: Header=BB6_7203 Depth=3
	v_or_b32_e32 v13, 0x7e, v28
; %bb.8852:                             ;   in Loop: Header=BB6_7203 Depth=3
	s_or_b64 exec, exec, s[28:29]
                                        ; implicit-def: $vgpr0
.LBB6_8853:                             ;   in Loop: Header=BB6_7203 Depth=3
	s_andn2_saveexec_b64 s[28:29], s[30:31]
; %bb.8854:                             ;   in Loop: Header=BB6_7203 Depth=3
	v_or_b32_sdwa v13, v0, s81 dst_sel:DWORD dst_unused:UNUSED_PAD src0_sel:BYTE_3 src1_sel:DWORD
; %bb.8855:                             ;   in Loop: Header=BB6_7203 Depth=3
	s_or_b64 exec, exec, s[28:29]
	v_cmp_lt_u32_e32 vcc, s57, v14
	v_mov_b32_e32 v1, 0
	v_mov_b32_e32 v2, 0
	s_and_saveexec_b64 s[28:29], vcc
	s_cbranch_execz .LBB6_8861
; %bb.8856:                             ;   in Loop: Header=BB6_7203 Depth=3
	v_lshrrev_b32_e32 v0, 24, v14
	v_cmp_ne_u32_e32 vcc, s80, v0
	v_bfrev_b32_e32 v2, 1
	s_and_saveexec_b64 s[30:31], vcc
	s_cbranch_execz .LBB6_8860
; %bb.8857:                             ;   in Loop: Header=BB6_7203 Depth=3
	v_bfe_u32 v20, v14, 24, 7
	v_cmp_ne_u32_e32 vcc, s81, v20
	v_mov_b32_e32 v2, 0x7f800001
	s_and_saveexec_b64 s[34:35], vcc
	s_cbranch_execz .LBB6_8859
; %bb.8858:                             ;   in Loop: Header=BB6_7203 Depth=3
	v_and_b32_e32 v2, 7, v0
	v_lshrrev_b32_e32 v22, 3, v20
	v_cmp_gt_u32_e32 vcc, 8, v20
	v_ffbh_u32_e32 v20, v2
	v_min_u32_e32 v20, 32, v20
	v_subrev_u32_e32 v23, 28, v20
	v_lshlrev_b64 v[37:38], v23, v[0:1]
	v_sub_u32_e32 v20, 29, v20
	v_and_b32_e32 v23, 7, v37
	v_cndmask_b32_e32 v20, v22, v20, vcc
	v_cndmask_b32_e32 v2, v2, v23, vcc
	v_lshlrev_b32_e32 v0, 24, v0
	v_bfrev_b32_e32 v22, 60
	v_lshlrev_b32_e32 v2, 20, v2
	v_and_b32_e32 v0, 0x80000000, v0
	v_lshl_add_u32 v20, v20, 23, v22
	v_or3_b32 v2, v0, v20, v2
.LBB6_8859:                             ;   in Loop: Header=BB6_7203 Depth=3
	s_or_b64 exec, exec, s[34:35]
.LBB6_8860:                             ;   in Loop: Header=BB6_7203 Depth=3
	s_or_b64 exec, exec, s[30:31]
.LBB6_8861:                             ;   in Loop: Header=BB6_7203 Depth=3
	s_or_b64 exec, exec, s[28:29]
	v_cmp_lt_u32_e32 vcc, s57, v10
	s_and_saveexec_b64 s[28:29], vcc
	s_cbranch_execz .LBB6_8867
; %bb.8862:                             ;   in Loop: Header=BB6_7203 Depth=3
	v_lshrrev_b32_e32 v0, 24, v10
	v_cmp_ne_u32_e32 vcc, s80, v0
	v_bfrev_b32_e32 v1, 1
	s_and_saveexec_b64 s[30:31], vcc
	s_cbranch_execz .LBB6_8866
; %bb.8863:                             ;   in Loop: Header=BB6_7203 Depth=3
	v_bfe_u32 v20, v10, 24, 7
	v_cmp_ne_u32_e32 vcc, s81, v20
	v_mov_b32_e32 v1, 0x7f800001
	s_and_saveexec_b64 s[34:35], vcc
	s_cbranch_execz .LBB6_8865
; %bb.8864:                             ;   in Loop: Header=BB6_7203 Depth=3
	v_and_b32_e32 v1, 7, v0
	v_lshrrev_b32_e32 v22, 3, v20
	v_cmp_gt_u32_e32 vcc, 8, v20
	v_ffbh_u32_e32 v20, v1
	v_min_u32_e32 v20, 32, v20
	v_subrev_u32_e32 v23, 28, v20
	v_lshlrev_b64 v[37:38], v23, v[0:1]
	v_sub_u32_e32 v20, 29, v20
	v_and_b32_e32 v23, 7, v37
	v_cndmask_b32_e32 v20, v22, v20, vcc
	v_cndmask_b32_e32 v1, v1, v23, vcc
	v_lshlrev_b32_e32 v0, 24, v0
	v_bfrev_b32_e32 v22, 60
	v_lshlrev_b32_e32 v1, 20, v1
	v_and_b32_e32 v0, 0x80000000, v0
	v_lshl_add_u32 v20, v20, 23, v22
	v_or3_b32 v1, v0, v20, v1
.LBB6_8865:                             ;   in Loop: Header=BB6_7203 Depth=3
	s_or_b64 exec, exec, s[34:35]
.LBB6_8866:                             ;   in Loop: Header=BB6_7203 Depth=3
	s_or_b64 exec, exec, s[30:31]
.LBB6_8867:                             ;   in Loop: Header=BB6_7203 Depth=3
	s_or_b64 exec, exec, s[28:29]
	v_mul_f32_e32 v0, v2, v1
	v_and_b32_e32 v20, 0x7f800000, v0
	v_cmp_ne_u64_e32 vcc, s[62:63], v[20:21]
                                        ; implicit-def: $vgpr37
	s_and_saveexec_b64 s[28:29], vcc
	s_xor_b64 s[30:31], exec, s[28:29]
	s_cbranch_execz .LBB6_8881
; %bb.8868:                             ;   in Loop: Header=BB6_7203 Depth=3
	v_and_b32_e32 v20, 0x7fffffff, v0
	v_cmp_gt_u64_e32 vcc, s[78:79], v[20:21]
	v_and_b32_sdwa v28, v0, s80 dst_sel:DWORD dst_unused:UNUSED_PAD src0_sel:BYTE_3 src1_sel:DWORD
                                        ; implicit-def: $vgpr37
	s_and_saveexec_b64 s[28:29], vcc
	s_xor_b64 s[34:35], exec, s[28:29]
	s_cbranch_execz .LBB6_8878
; %bb.8869:                             ;   in Loop: Header=BB6_7203 Depth=3
	v_mov_b32_e32 v37, 0
	v_cmp_ne_u32_e32 vcc, 0, v0
	s_and_saveexec_b64 s[36:37], vcc
	s_cbranch_execz .LBB6_8877
; %bb.8870:                             ;   in Loop: Header=BB6_7203 Depth=3
	v_bfe_u32 v37, v0, 23, 8
	v_and_b32_e32 v1, 0x7fffff, v0
	v_cmp_gt_u32_e64 s[28:29], s47, v37
	v_sub_u32_e32 v0, 0x79, v37
	v_cmp_eq_u32_e32 vcc, 0, v37
	v_cndmask_b32_e64 v0, 0, v0, s[28:29]
	v_mov_b32_e32 v20, 0x78
	v_cndmask_b32_e32 v38, v0, v20, vcc
	v_or_b32_e32 v2, 0x800000, v1
	v_add_u32_e32 v0, 20, v38
	v_cndmask_b32_e32 v20, v2, v1, vcc
	v_lshlrev_b64 v[0:1], v0, -1
	v_add_u32_e32 v2, 19, v38
	v_lshlrev_b64 v[50:51], v2, 1
	v_bfi_b32 v1, v1, 0, 0
	v_bfi_b32 v0, v0, 0, v20
	v_cmp_eq_u64_e64 s[28:29], v[0:1], v[50:51]
	v_lshrrev_b64 v[0:1], v38, v[20:21]
	v_mov_b32_e32 v2, v1
	v_mov_b32_e32 v1, v0
	s_and_saveexec_b64 s[38:39], s[28:29]
; %bb.8871:                             ;   in Loop: Header=BB6_7203 Depth=3
	v_bfe_u32 v1, v0, 20, 1
	v_add_co_u32_e64 v1, s[28:29], v0, v1
	v_add_co_u32_e64 v1, s[28:29], -1, v1
; %bb.8872:                             ;   in Loop: Header=BB6_7203 Depth=3
	s_or_b64 exec, exec, s[38:39]
	v_add_u32_e32 v2, 0xffffff81, v37
	v_mov_b32_e32 v20, 0xffffff82
	v_cndmask_b32_e32 v2, v2, v20, vcc
	v_lshrrev_b32_e32 v20, 23, v0
	v_add3_u32 v38, v38, v2, v20
	v_add_u32_e32 v37, 6, v38
	v_and_b32_e32 v1, 0xfffff, v1
	v_add_u32_e32 v20, v1, v0
	v_cmp_ne_u32_e32 vcc, 0, v37
                                        ; implicit-def: $vgpr0_vgpr1
                                        ; implicit-def: $vgpr2
	s_and_saveexec_b64 s[28:29], vcc
	s_xor_b64 s[28:29], exec, s[28:29]
; %bb.8873:                             ;   in Loop: Header=BB6_7203 Depth=3
	v_cmp_lt_u64_e32 vcc, s[88:89], v[20:21]
	v_add_u32_e32 v0, 7, v38
	v_cndmask_b32_e32 v2, v37, v0, vcc
	v_cndmask_b32_e64 v0, 0, 1, vcc
	v_lshrrev_b64 v[0:1], v0, v[20:21]
; %bb.8874:                             ;   in Loop: Header=BB6_7203 Depth=3
	s_andn2_saveexec_b64 s[28:29], s[28:29]
; %bb.8875:                             ;   in Loop: Header=BB6_7203 Depth=3
	v_mov_b32_e32 v0, v20
	v_bfe_u32 v2, v20, 23, 1
	v_mov_b32_e32 v1, v21
; %bb.8876:                             ;   in Loop: Header=BB6_7203 Depth=3
	s_or_b64 exec, exec, s[28:29]
	v_lshrrev_b64 v[0:1], 20, v[0:1]
	v_cmp_gt_i32_e32 vcc, 16, v2
	v_cndmask_b32_e32 v1, 0, v1, vcc
	v_cndmask_b32_e32 v0, 7, v0, vcc
	v_cmp_eq_u64_e64 s[28:29], 0, v[0:1]
	v_min_i32_e32 v1, 15, v2
	v_lshlrev_b32_e32 v1, 3, v1
	v_cmp_eq_u32_e32 vcc, 0, v2
	v_and_b32_e32 v1, 0xf8, v1
	v_and_or_b32 v0, v0, 7, v1
	s_and_b64 s[28:29], vcc, s[28:29]
	v_cndmask_b32_e64 v0, v0, 0, s[28:29]
	v_or_b32_e32 v37, v0, v28
.LBB6_8877:                             ;   in Loop: Header=BB6_7203 Depth=3
	s_or_b64 exec, exec, s[36:37]
                                        ; implicit-def: $vgpr28
.LBB6_8878:                             ;   in Loop: Header=BB6_7203 Depth=3
	s_andn2_saveexec_b64 s[28:29], s[34:35]
; %bb.8879:                             ;   in Loop: Header=BB6_7203 Depth=3
	v_or_b32_e32 v37, 0x7e, v28
; %bb.8880:                             ;   in Loop: Header=BB6_7203 Depth=3
	s_or_b64 exec, exec, s[28:29]
                                        ; implicit-def: $vgpr0
.LBB6_8881:                             ;   in Loop: Header=BB6_7203 Depth=3
	s_andn2_saveexec_b64 s[28:29], s[30:31]
; %bb.8882:                             ;   in Loop: Header=BB6_7203 Depth=3
	v_or_b32_sdwa v37, v0, s81 dst_sel:DWORD dst_unused:UNUSED_PAD src0_sel:BYTE_3 src1_sel:DWORD
; %bb.8883:                             ;   in Loop: Header=BB6_7203 Depth=3
	s_or_b64 exec, exec, s[28:29]
	v_mov_b32_e32 v20, v15
	v_cmp_ne_u16_sdwa vcc, v15, v21 src0_sel:BYTE_0 src1_sel:DWORD
	v_mov_b32_e32 v1, 0
	v_mov_b32_e32 v0, 0
	s_and_saveexec_b64 s[28:29], vcc
	s_cbranch_execz .LBB6_8889
; %bb.8884:                             ;   in Loop: Header=BB6_7203 Depth=3
	v_cmp_ne_u16_sdwa vcc, v15, s80 src0_sel:BYTE_0 src1_sel:DWORD
	v_bfrev_b32_e32 v0, 1
	s_and_saveexec_b64 s[30:31], vcc
	s_cbranch_execz .LBB6_8888
; %bb.8885:                             ;   in Loop: Header=BB6_7203 Depth=3
	v_and_b32_e32 v2, 0x7f, v15
	v_cmp_ne_u32_e32 vcc, s81, v2
	v_mov_b32_e32 v0, 0x7f800001
	s_and_saveexec_b64 s[34:35], vcc
	s_cbranch_execz .LBB6_8887
; %bb.8886:                             ;   in Loop: Header=BB6_7203 Depth=3
	v_and_b32_e32 v0, 7, v15
	v_ffbh_u32_e32 v0, v0
	v_min_u32_e32 v0, 32, v0
	v_lshrrev_b32_e32 v22, 3, v2
	v_cmp_gt_u32_e32 vcc, 8, v2
	v_subrev_u32_e32 v2, 28, v0
	v_cndmask_b32_e32 v2, 0, v2, vcc
	v_lshlrev_b64 v[38:39], v2, v[20:21]
	v_sub_u32_e32 v0, 29, v0
	v_cndmask_b32_e32 v0, v22, v0, vcc
	v_lshlrev_b32_e32 v2, 20, v38
	v_lshlrev_b32_e32 v22, 24, v20
	v_bfrev_b32_e32 v23, 60
	v_and_b32_e32 v2, 0x700000, v2
	v_and_b32_e32 v22, 0x80000000, v22
	v_lshl_add_u32 v0, v0, 23, v23
	v_or3_b32 v0, v22, v0, v2
.LBB6_8887:                             ;   in Loop: Header=BB6_7203 Depth=3
	s_or_b64 exec, exec, s[34:35]
.LBB6_8888:                             ;   in Loop: Header=BB6_7203 Depth=3
	s_or_b64 exec, exec, s[30:31]
.LBB6_8889:                             ;   in Loop: Header=BB6_7203 Depth=3
	s_or_b64 exec, exec, s[28:29]
	v_cmp_ne_u16_sdwa vcc, v11, v21 src0_sel:BYTE_0 src1_sel:DWORD
	s_and_saveexec_b64 s[28:29], vcc
	s_cbranch_execz .LBB6_8895
; %bb.8890:                             ;   in Loop: Header=BB6_7203 Depth=3
	v_cmp_ne_u16_sdwa vcc, v11, s80 src0_sel:BYTE_0 src1_sel:DWORD
	v_bfrev_b32_e32 v1, 1
	s_and_saveexec_b64 s[30:31], vcc
	s_cbranch_execz .LBB6_8894
; %bb.8891:                             ;   in Loop: Header=BB6_7203 Depth=3
	v_and_b32_e32 v2, 0x7f, v11
	v_cmp_ne_u32_e32 vcc, s81, v2
	v_mov_b32_e32 v1, 0x7f800001
	s_and_saveexec_b64 s[34:35], vcc
	s_cbranch_execz .LBB6_8893
; %bb.8892:                             ;   in Loop: Header=BB6_7203 Depth=3
	v_and_b32_e32 v1, 7, v11
	v_ffbh_u32_e32 v1, v1
	v_min_u32_e32 v1, 32, v1
	v_lshrrev_b32_e32 v22, 3, v2
	v_cmp_gt_u32_e32 vcc, 8, v2
	v_subrev_u32_e32 v2, 28, v1
	v_sub_u32_e32 v1, 29, v1
	v_mov_b32_e32 v38, v11
	v_mov_b32_e32 v39, v21
	v_cndmask_b32_e32 v22, v22, v1, vcc
	v_cndmask_b32_e32 v1, 0, v2, vcc
	v_lshlrev_b64 v[1:2], v1, v[38:39]
	v_lshlrev_b32_e32 v2, 24, v38
	v_lshlrev_b32_e32 v1, 20, v1
	v_bfrev_b32_e32 v23, 60
	v_and_b32_e32 v1, 0x700000, v1
	v_and_b32_e32 v2, 0x80000000, v2
	v_lshl_add_u32 v22, v22, 23, v23
	v_or3_b32 v1, v2, v22, v1
.LBB6_8893:                             ;   in Loop: Header=BB6_7203 Depth=3
	s_or_b64 exec, exec, s[34:35]
.LBB6_8894:                             ;   in Loop: Header=BB6_7203 Depth=3
	s_or_b64 exec, exec, s[30:31]
.LBB6_8895:                             ;   in Loop: Header=BB6_7203 Depth=3
	s_or_b64 exec, exec, s[28:29]
	v_mul_f32_e32 v0, v0, v1
	v_and_b32_e32 v1, 0x7f800000, v0
	v_mov_b32_e32 v2, v21
	v_cmp_ne_u64_e32 vcc, s[62:63], v[1:2]
                                        ; implicit-def: $vgpr28
	s_and_saveexec_b64 s[28:29], vcc
	s_xor_b64 s[30:31], exec, s[28:29]
	s_cbranch_execz .LBB6_8909
; %bb.8896:                             ;   in Loop: Header=BB6_7203 Depth=3
	v_and_b32_e32 v1, 0x7fffffff, v0
	v_mov_b32_e32 v2, v21
	v_cmp_gt_u64_e32 vcc, s[78:79], v[1:2]
	v_and_b32_sdwa v38, v0, s80 dst_sel:DWORD dst_unused:UNUSED_PAD src0_sel:BYTE_3 src1_sel:DWORD
                                        ; implicit-def: $vgpr28
	s_and_saveexec_b64 s[28:29], vcc
	s_xor_b64 s[34:35], exec, s[28:29]
	s_cbranch_execz .LBB6_8906
; %bb.8897:                             ;   in Loop: Header=BB6_7203 Depth=3
	v_mov_b32_e32 v28, 0
	v_cmp_ne_u32_e32 vcc, 0, v0
	s_and_saveexec_b64 s[36:37], vcc
	s_cbranch_execz .LBB6_8905
; %bb.8898:                             ;   in Loop: Header=BB6_7203 Depth=3
	v_bfe_u32 v28, v0, 23, 8
	v_and_b32_e32 v1, 0x7fffff, v0
	v_cmp_gt_u32_e64 s[28:29], s47, v28
	v_sub_u32_e32 v0, 0x79, v28
	v_cmp_eq_u32_e32 vcc, 0, v28
	v_cndmask_b32_e64 v0, 0, v0, s[28:29]
	v_mov_b32_e32 v22, 0x78
	v_or_b32_e32 v2, 0x800000, v1
	v_cndmask_b32_e32 v39, v0, v22, vcc
	v_cndmask_b32_e32 v0, v2, v1, vcc
	v_add_u32_e32 v2, 20, v39
	v_lshlrev_b64 v[50:51], v2, -1
	v_mov_b32_e32 v1, v21
	v_add_u32_e32 v2, 19, v39
	v_bfi_b32 v50, v50, 0, v0
	v_lshlrev_b64 v[22:23], v2, 1
	v_lshrrev_b64 v[0:1], v39, v[0:1]
	v_bfi_b32 v51, v51, 0, 0
	v_cmp_eq_u64_e64 s[28:29], v[50:51], v[22:23]
	v_mov_b32_e32 v2, v1
	v_mov_b32_e32 v1, v0
	s_and_saveexec_b64 s[38:39], s[28:29]
; %bb.8899:                             ;   in Loop: Header=BB6_7203 Depth=3
	v_bfe_u32 v1, v0, 20, 1
	v_add_co_u32_e64 v1, s[28:29], v0, v1
	v_add_co_u32_e64 v1, s[28:29], -1, v1
; %bb.8900:                             ;   in Loop: Header=BB6_7203 Depth=3
	s_or_b64 exec, exec, s[38:39]
	v_add_u32_e32 v2, 0xffffff81, v28
	v_mov_b32_e32 v22, 0xffffff82
	v_cndmask_b32_e32 v2, v2, v22, vcc
	v_lshrrev_b32_e32 v22, 23, v0
	v_add3_u32 v39, v39, v2, v22
	v_add_u32_e32 v28, 6, v39
	v_and_b32_e32 v1, 0xfffff, v1
	v_add_u32_e32 v0, v1, v0
	v_mov_b32_e32 v1, v21
	v_cmp_ne_u32_e32 vcc, 0, v28
                                        ; implicit-def: $vgpr2
	s_and_saveexec_b64 s[28:29], vcc
	s_xor_b64 s[28:29], exec, s[28:29]
; %bb.8901:                             ;   in Loop: Header=BB6_7203 Depth=3
	v_cmp_lt_u64_e32 vcc, s[88:89], v[0:1]
	v_add_u32_e32 v2, 7, v39
	v_cndmask_b32_e64 v22, 0, 1, vcc
	v_lshrrev_b64 v[0:1], v22, v[0:1]
	v_cndmask_b32_e32 v2, v28, v2, vcc
; %bb.8902:                             ;   in Loop: Header=BB6_7203 Depth=3
	s_andn2_saveexec_b64 s[28:29], s[28:29]
; %bb.8903:                             ;   in Loop: Header=BB6_7203 Depth=3
	v_bfe_u32 v2, v0, 23, 1
; %bb.8904:                             ;   in Loop: Header=BB6_7203 Depth=3
	s_or_b64 exec, exec, s[28:29]
	v_lshrrev_b64 v[0:1], 20, v[0:1]
	v_cmp_gt_i32_e32 vcc, 16, v2
	v_cndmask_b32_e32 v1, 0, v1, vcc
	v_cndmask_b32_e32 v0, 7, v0, vcc
	v_cmp_eq_u64_e64 s[28:29], 0, v[0:1]
	v_min_i32_e32 v1, 15, v2
	v_lshlrev_b32_e32 v1, 3, v1
	v_cmp_eq_u32_e32 vcc, 0, v2
	v_and_b32_e32 v1, 0xf8, v1
	v_and_or_b32 v0, v0, 7, v1
	s_and_b64 s[28:29], vcc, s[28:29]
	v_cndmask_b32_e64 v0, v0, 0, s[28:29]
	v_or_b32_e32 v28, v0, v38
.LBB6_8905:                             ;   in Loop: Header=BB6_7203 Depth=3
	s_or_b64 exec, exec, s[36:37]
                                        ; implicit-def: $vgpr38
.LBB6_8906:                             ;   in Loop: Header=BB6_7203 Depth=3
	s_andn2_saveexec_b64 s[28:29], s[34:35]
; %bb.8907:                             ;   in Loop: Header=BB6_7203 Depth=3
	v_or_b32_e32 v28, 0x7e, v38
; %bb.8908:                             ;   in Loop: Header=BB6_7203 Depth=3
	s_or_b64 exec, exec, s[28:29]
                                        ; implicit-def: $vgpr0
.LBB6_8909:                             ;   in Loop: Header=BB6_7203 Depth=3
	s_andn2_saveexec_b64 s[28:29], s[30:31]
; %bb.8910:                             ;   in Loop: Header=BB6_7203 Depth=3
	v_or_b32_sdwa v28, v0, s81 dst_sel:DWORD dst_unused:UNUSED_PAD src0_sel:BYTE_3 src1_sel:DWORD
; %bb.8911:                             ;   in Loop: Header=BB6_7203 Depth=3
	s_or_b64 exec, exec, s[28:29]
	v_lshrrev_b16_e32 v0, 8, v20
	v_cmp_ne_u16_e32 vcc, 0, v0
	v_mov_b32_e32 v1, 0
	v_mov_b32_e32 v2, 0
	s_and_saveexec_b64 s[28:29], vcc
	s_cbranch_execz .LBB6_8917
; %bb.8912:                             ;   in Loop: Header=BB6_7203 Depth=3
	v_cmp_ne_u16_e32 vcc, s80, v0
	v_bfrev_b32_e32 v2, 1
	s_and_saveexec_b64 s[30:31], vcc
	s_cbranch_execz .LBB6_8916
; %bb.8913:                             ;   in Loop: Header=BB6_7203 Depth=3
	v_and_b32_e32 v38, 0x7f, v0
	v_cmp_ne_u32_e32 vcc, s81, v38
	v_mov_b32_e32 v2, 0x7f800001
	s_and_saveexec_b64 s[34:35], vcc
	s_cbranch_execz .LBB6_8915
; %bb.8914:                             ;   in Loop: Header=BB6_7203 Depth=3
	v_and_b32_e32 v2, 7, v0
	v_ffbh_u32_e32 v22, v2
	v_lshrrev_b32_e32 v39, 3, v38
	v_cmp_gt_u32_e32 vcc, 8, v38
	v_min_u32_e32 v38, 32, v22
	v_subrev_u32_e32 v22, 28, v38
	v_lshlrev_b64 v[22:23], v22, v[0:1]
	v_sub_u32_e32 v0, 29, v38
	v_and_b32_e32 v22, 7, v22
	v_cndmask_b32_e32 v0, v39, v0, vcc
	v_cndmask_b32_e32 v2, v2, v22, vcc
	v_lshlrev_b32_e32 v20, 16, v20
	v_bfrev_b32_e32 v22, 60
	v_lshlrev_b32_e32 v2, 20, v2
	v_and_b32_e32 v20, 0x80000000, v20
	v_lshl_add_u32 v0, v0, 23, v22
	v_or3_b32 v2, v20, v0, v2
.LBB6_8915:                             ;   in Loop: Header=BB6_7203 Depth=3
	s_or_b64 exec, exec, s[34:35]
.LBB6_8916:                             ;   in Loop: Header=BB6_7203 Depth=3
	s_or_b64 exec, exec, s[30:31]
.LBB6_8917:                             ;   in Loop: Header=BB6_7203 Depth=3
	s_or_b64 exec, exec, s[28:29]
	v_lshrrev_b16_e32 v0, 8, v11
	v_cmp_ne_u16_e32 vcc, 0, v0
	s_and_saveexec_b64 s[28:29], vcc
	s_cbranch_execz .LBB6_8923
; %bb.8918:                             ;   in Loop: Header=BB6_7203 Depth=3
	v_cmp_ne_u16_e32 vcc, s80, v0
	v_bfrev_b32_e32 v1, 1
	s_and_saveexec_b64 s[30:31], vcc
	s_cbranch_execz .LBB6_8922
; %bb.8919:                             ;   in Loop: Header=BB6_7203 Depth=3
	v_and_b32_e32 v20, 0x7f, v0
	v_cmp_ne_u32_e32 vcc, s81, v20
	v_mov_b32_e32 v1, 0x7f800001
	s_and_saveexec_b64 s[34:35], vcc
	s_cbranch_execz .LBB6_8921
; %bb.8920:                             ;   in Loop: Header=BB6_7203 Depth=3
	v_and_b32_e32 v22, 7, v0
	v_ffbh_u32_e32 v1, v22
	v_lshrrev_b32_e32 v23, 3, v20
	v_cmp_gt_u32_e32 vcc, 8, v20
	v_min_u32_e32 v20, 32, v1
	v_subrev_u32_e32 v1, 28, v20
	v_lshlrev_b64 v[0:1], v1, v[0:1]
	v_sub_u32_e32 v1, 29, v20
	v_and_b32_e32 v0, 7, v0
	v_cndmask_b32_e32 v1, v23, v1, vcc
	v_cndmask_b32_e32 v0, v22, v0, vcc
	v_lshlrev_b32_e32 v20, 16, v11
	v_bfrev_b32_e32 v22, 60
	v_lshlrev_b32_e32 v0, 20, v0
	v_and_b32_e32 v20, 0x80000000, v20
	v_lshl_add_u32 v1, v1, 23, v22
	v_or3_b32 v1, v20, v1, v0
.LBB6_8921:                             ;   in Loop: Header=BB6_7203 Depth=3
	s_or_b64 exec, exec, s[34:35]
.LBB6_8922:                             ;   in Loop: Header=BB6_7203 Depth=3
	s_or_b64 exec, exec, s[30:31]
.LBB6_8923:                             ;   in Loop: Header=BB6_7203 Depth=3
	s_or_b64 exec, exec, s[28:29]
	v_mul_f32_e32 v0, v2, v1
	v_and_b32_e32 v20, 0x7f800000, v0
	v_cmp_ne_u64_e32 vcc, s[62:63], v[20:21]
                                        ; implicit-def: $vgpr38
	s_and_saveexec_b64 s[28:29], vcc
	s_xor_b64 s[30:31], exec, s[28:29]
	s_cbranch_execz .LBB6_8937
; %bb.8924:                             ;   in Loop: Header=BB6_7203 Depth=3
	v_and_b32_e32 v20, 0x7fffffff, v0
	v_cmp_gt_u64_e32 vcc, s[78:79], v[20:21]
	v_and_b32_sdwa v39, v0, s80 dst_sel:DWORD dst_unused:UNUSED_PAD src0_sel:BYTE_3 src1_sel:DWORD
                                        ; implicit-def: $vgpr38
	s_and_saveexec_b64 s[28:29], vcc
	s_xor_b64 s[34:35], exec, s[28:29]
	s_cbranch_execz .LBB6_8934
; %bb.8925:                             ;   in Loop: Header=BB6_7203 Depth=3
	v_mov_b32_e32 v38, 0
	v_cmp_ne_u32_e32 vcc, 0, v0
	s_and_saveexec_b64 s[36:37], vcc
	s_cbranch_execz .LBB6_8933
; %bb.8926:                             ;   in Loop: Header=BB6_7203 Depth=3
	v_bfe_u32 v38, v0, 23, 8
	v_and_b32_e32 v1, 0x7fffff, v0
	v_cmp_gt_u32_e64 s[28:29], s47, v38
	v_sub_u32_e32 v0, 0x79, v38
	v_cmp_eq_u32_e32 vcc, 0, v38
	v_cndmask_b32_e64 v0, 0, v0, s[28:29]
	v_mov_b32_e32 v20, 0x78
	v_cndmask_b32_e32 v50, v0, v20, vcc
	v_or_b32_e32 v2, 0x800000, v1
	v_add_u32_e32 v0, 20, v50
	v_cndmask_b32_e32 v20, v2, v1, vcc
	v_lshlrev_b64 v[0:1], v0, -1
	v_add_u32_e32 v2, 19, v50
	v_lshlrev_b64 v[22:23], v2, 1
	v_bfi_b32 v1, v1, 0, 0
	v_bfi_b32 v0, v0, 0, v20
	v_cmp_eq_u64_e64 s[28:29], v[0:1], v[22:23]
	v_lshrrev_b64 v[0:1], v50, v[20:21]
	v_mov_b32_e32 v2, v1
	v_mov_b32_e32 v1, v0
	s_and_saveexec_b64 s[38:39], s[28:29]
; %bb.8927:                             ;   in Loop: Header=BB6_7203 Depth=3
	v_bfe_u32 v1, v0, 20, 1
	v_add_co_u32_e64 v1, s[28:29], v0, v1
	v_add_co_u32_e64 v1, s[28:29], -1, v1
; %bb.8928:                             ;   in Loop: Header=BB6_7203 Depth=3
	s_or_b64 exec, exec, s[38:39]
	v_add_u32_e32 v2, 0xffffff81, v38
	v_mov_b32_e32 v20, 0xffffff82
	v_cndmask_b32_e32 v2, v2, v20, vcc
	v_lshrrev_b32_e32 v20, 23, v0
	v_add3_u32 v50, v50, v2, v20
	v_add_u32_e32 v38, 6, v50
	v_and_b32_e32 v1, 0xfffff, v1
	v_add_u32_e32 v20, v1, v0
	v_cmp_ne_u32_e32 vcc, 0, v38
                                        ; implicit-def: $vgpr0_vgpr1
                                        ; implicit-def: $vgpr2
	s_and_saveexec_b64 s[28:29], vcc
	s_xor_b64 s[28:29], exec, s[28:29]
; %bb.8929:                             ;   in Loop: Header=BB6_7203 Depth=3
	v_cmp_lt_u64_e32 vcc, s[88:89], v[20:21]
	v_add_u32_e32 v0, 7, v50
	v_cndmask_b32_e32 v2, v38, v0, vcc
	v_cndmask_b32_e64 v0, 0, 1, vcc
	v_lshrrev_b64 v[0:1], v0, v[20:21]
; %bb.8930:                             ;   in Loop: Header=BB6_7203 Depth=3
	s_andn2_saveexec_b64 s[28:29], s[28:29]
; %bb.8931:                             ;   in Loop: Header=BB6_7203 Depth=3
	v_mov_b32_e32 v0, v20
	v_bfe_u32 v2, v20, 23, 1
	v_mov_b32_e32 v1, v21
; %bb.8932:                             ;   in Loop: Header=BB6_7203 Depth=3
	s_or_b64 exec, exec, s[28:29]
	v_lshrrev_b64 v[0:1], 20, v[0:1]
	v_cmp_gt_i32_e32 vcc, 16, v2
	v_cndmask_b32_e32 v1, 0, v1, vcc
	v_cndmask_b32_e32 v0, 7, v0, vcc
	v_cmp_eq_u64_e64 s[28:29], 0, v[0:1]
	v_min_i32_e32 v1, 15, v2
	v_lshlrev_b32_e32 v1, 3, v1
	v_cmp_eq_u32_e32 vcc, 0, v2
	v_and_b32_e32 v1, 0xf8, v1
	v_and_or_b32 v0, v0, 7, v1
	s_and_b64 s[28:29], vcc, s[28:29]
	v_cndmask_b32_e64 v0, v0, 0, s[28:29]
	v_or_b32_e32 v38, v0, v39
.LBB6_8933:                             ;   in Loop: Header=BB6_7203 Depth=3
	s_or_b64 exec, exec, s[36:37]
                                        ; implicit-def: $vgpr39
.LBB6_8934:                             ;   in Loop: Header=BB6_7203 Depth=3
	s_andn2_saveexec_b64 s[28:29], s[34:35]
; %bb.8935:                             ;   in Loop: Header=BB6_7203 Depth=3
	v_or_b32_e32 v38, 0x7e, v39
; %bb.8936:                             ;   in Loop: Header=BB6_7203 Depth=3
	s_or_b64 exec, exec, s[28:29]
                                        ; implicit-def: $vgpr0
.LBB6_8937:                             ;   in Loop: Header=BB6_7203 Depth=3
	s_andn2_saveexec_b64 s[28:29], s[30:31]
; %bb.8938:                             ;   in Loop: Header=BB6_7203 Depth=3
	v_or_b32_sdwa v38, v0, s81 dst_sel:DWORD dst_unused:UNUSED_PAD src0_sel:BYTE_3 src1_sel:DWORD
; %bb.8939:                             ;   in Loop: Header=BB6_7203 Depth=3
	s_or_b64 exec, exec, s[28:29]
	v_lshrrev_b32_e32 v0, 16, v15
	v_cmp_ne_u16_sdwa vcc, v0, v21 src0_sel:BYTE_0 src1_sel:DWORD
	v_mov_b32_e32 v1, 0
	v_mov_b32_e32 v2, 0
	s_and_saveexec_b64 s[28:29], vcc
	s_cbranch_execz .LBB6_8945
; %bb.8940:                             ;   in Loop: Header=BB6_7203 Depth=3
	v_cmp_ne_u16_sdwa vcc, v0, s80 src0_sel:BYTE_0 src1_sel:DWORD
	v_bfrev_b32_e32 v2, 1
	s_and_saveexec_b64 s[30:31], vcc
	s_cbranch_execz .LBB6_8944
; %bb.8941:                             ;   in Loop: Header=BB6_7203 Depth=3
	v_bfe_u32 v20, v15, 16, 7
	v_cmp_ne_u32_e32 vcc, s81, v20
	v_mov_b32_e32 v2, 0x7f800001
	s_and_saveexec_b64 s[34:35], vcc
	s_cbranch_execz .LBB6_8943
; %bb.8942:                             ;   in Loop: Header=BB6_7203 Depth=3
	v_and_b32_e32 v2, 7, v0
	v_lshrrev_b32_e32 v39, 3, v20
	v_cmp_gt_u32_e32 vcc, 8, v20
	v_ffbh_u32_e32 v20, v2
	v_min_u32_e32 v20, 32, v20
	v_subrev_u32_e32 v22, 28, v20
	v_lshlrev_b64 v[22:23], v22, v[0:1]
	v_sub_u32_e32 v20, 29, v20
	v_and_b32_e32 v22, 7, v22
	v_cndmask_b32_e32 v20, v39, v20, vcc
	v_cndmask_b32_e32 v2, v2, v22, vcc
	v_lshlrev_b32_e32 v0, 24, v0
	v_bfrev_b32_e32 v22, 60
	v_lshlrev_b32_e32 v2, 20, v2
	v_and_b32_e32 v0, 0x80000000, v0
	v_lshl_add_u32 v20, v20, 23, v22
	v_or3_b32 v2, v0, v20, v2
.LBB6_8943:                             ;   in Loop: Header=BB6_7203 Depth=3
	s_or_b64 exec, exec, s[34:35]
.LBB6_8944:                             ;   in Loop: Header=BB6_7203 Depth=3
	s_or_b64 exec, exec, s[30:31]
.LBB6_8945:                             ;   in Loop: Header=BB6_7203 Depth=3
	s_or_b64 exec, exec, s[28:29]
	v_lshrrev_b32_e32 v0, 16, v11
	v_cmp_ne_u16_sdwa vcc, v0, v21 src0_sel:BYTE_0 src1_sel:DWORD
	s_and_saveexec_b64 s[28:29], vcc
	s_cbranch_execz .LBB6_8951
; %bb.8946:                             ;   in Loop: Header=BB6_7203 Depth=3
	v_cmp_ne_u16_sdwa vcc, v0, s80 src0_sel:BYTE_0 src1_sel:DWORD
	v_bfrev_b32_e32 v1, 1
	s_and_saveexec_b64 s[30:31], vcc
	s_cbranch_execz .LBB6_8950
; %bb.8947:                             ;   in Loop: Header=BB6_7203 Depth=3
	v_bfe_u32 v20, v11, 16, 7
	v_cmp_ne_u32_e32 vcc, s81, v20
	v_mov_b32_e32 v1, 0x7f800001
	s_and_saveexec_b64 s[34:35], vcc
	s_cbranch_execz .LBB6_8949
; %bb.8948:                             ;   in Loop: Header=BB6_7203 Depth=3
	v_and_b32_e32 v22, 7, v0
	v_ffbh_u32_e32 v1, v22
	v_lshrrev_b32_e32 v23, 3, v20
	v_cmp_gt_u32_e32 vcc, 8, v20
	v_min_u32_e32 v20, 32, v1
	v_subrev_u32_e32 v1, 28, v20
	v_lshlrev_b64 v[0:1], v1, v[0:1]
	v_sub_u32_e32 v1, 29, v20
	v_and_b32_e32 v0, 7, v0
	v_cndmask_b32_e32 v1, v23, v1, vcc
	v_cndmask_b32_e32 v0, v22, v0, vcc
	v_lshlrev_b32_e32 v20, 8, v11
	v_bfrev_b32_e32 v22, 60
	v_lshlrev_b32_e32 v0, 20, v0
	v_and_b32_e32 v20, 0x80000000, v20
	v_lshl_add_u32 v1, v1, 23, v22
	v_or3_b32 v1, v20, v1, v0
.LBB6_8949:                             ;   in Loop: Header=BB6_7203 Depth=3
	s_or_b64 exec, exec, s[34:35]
.LBB6_8950:                             ;   in Loop: Header=BB6_7203 Depth=3
	s_or_b64 exec, exec, s[30:31]
.LBB6_8951:                             ;   in Loop: Header=BB6_7203 Depth=3
	s_or_b64 exec, exec, s[28:29]
	v_mul_f32_e32 v0, v2, v1
	v_and_b32_e32 v20, 0x7f800000, v0
	v_cmp_ne_u64_e32 vcc, s[62:63], v[20:21]
                                        ; implicit-def: $vgpr39
	s_and_saveexec_b64 s[28:29], vcc
	s_xor_b64 s[30:31], exec, s[28:29]
	s_cbranch_execz .LBB6_8965
; %bb.8952:                             ;   in Loop: Header=BB6_7203 Depth=3
	v_and_b32_e32 v20, 0x7fffffff, v0
	v_cmp_gt_u64_e32 vcc, s[78:79], v[20:21]
	v_and_b32_sdwa v50, v0, s80 dst_sel:DWORD dst_unused:UNUSED_PAD src0_sel:BYTE_3 src1_sel:DWORD
                                        ; implicit-def: $vgpr39
	s_and_saveexec_b64 s[28:29], vcc
	s_xor_b64 s[34:35], exec, s[28:29]
	s_cbranch_execz .LBB6_8962
; %bb.8953:                             ;   in Loop: Header=BB6_7203 Depth=3
	v_mov_b32_e32 v39, 0
	v_cmp_ne_u32_e32 vcc, 0, v0
	s_and_saveexec_b64 s[36:37], vcc
	s_cbranch_execz .LBB6_8961
; %bb.8954:                             ;   in Loop: Header=BB6_7203 Depth=3
	v_bfe_u32 v39, v0, 23, 8
	v_and_b32_e32 v1, 0x7fffff, v0
	v_cmp_gt_u32_e64 s[28:29], s47, v39
	v_sub_u32_e32 v0, 0x79, v39
	v_cmp_eq_u32_e32 vcc, 0, v39
	v_cndmask_b32_e64 v0, 0, v0, s[28:29]
	v_mov_b32_e32 v20, 0x78
	v_cndmask_b32_e32 v51, v0, v20, vcc
	v_or_b32_e32 v2, 0x800000, v1
	v_add_u32_e32 v0, 20, v51
	v_cndmask_b32_e32 v20, v2, v1, vcc
	v_lshlrev_b64 v[0:1], v0, -1
	v_add_u32_e32 v2, 19, v51
	v_lshlrev_b64 v[22:23], v2, 1
	v_bfi_b32 v1, v1, 0, 0
	v_bfi_b32 v0, v0, 0, v20
	v_cmp_eq_u64_e64 s[28:29], v[0:1], v[22:23]
	v_lshrrev_b64 v[0:1], v51, v[20:21]
	v_mov_b32_e32 v2, v1
	v_mov_b32_e32 v1, v0
	s_and_saveexec_b64 s[38:39], s[28:29]
; %bb.8955:                             ;   in Loop: Header=BB6_7203 Depth=3
	v_bfe_u32 v1, v0, 20, 1
	v_add_co_u32_e64 v1, s[28:29], v0, v1
	v_add_co_u32_e64 v1, s[28:29], -1, v1
; %bb.8956:                             ;   in Loop: Header=BB6_7203 Depth=3
	s_or_b64 exec, exec, s[38:39]
	v_add_u32_e32 v2, 0xffffff81, v39
	v_mov_b32_e32 v20, 0xffffff82
	v_cndmask_b32_e32 v2, v2, v20, vcc
	v_lshrrev_b32_e32 v20, 23, v0
	v_add3_u32 v51, v51, v2, v20
	v_add_u32_e32 v39, 6, v51
	v_and_b32_e32 v1, 0xfffff, v1
	v_add_u32_e32 v20, v1, v0
	v_cmp_ne_u32_e32 vcc, 0, v39
                                        ; implicit-def: $vgpr0_vgpr1
                                        ; implicit-def: $vgpr2
	s_and_saveexec_b64 s[28:29], vcc
	s_xor_b64 s[28:29], exec, s[28:29]
; %bb.8957:                             ;   in Loop: Header=BB6_7203 Depth=3
	v_cmp_lt_u64_e32 vcc, s[88:89], v[20:21]
	v_add_u32_e32 v0, 7, v51
	v_cndmask_b32_e32 v2, v39, v0, vcc
	v_cndmask_b32_e64 v0, 0, 1, vcc
	v_lshrrev_b64 v[0:1], v0, v[20:21]
; %bb.8958:                             ;   in Loop: Header=BB6_7203 Depth=3
	s_andn2_saveexec_b64 s[28:29], s[28:29]
; %bb.8959:                             ;   in Loop: Header=BB6_7203 Depth=3
	v_mov_b32_e32 v0, v20
	v_bfe_u32 v2, v20, 23, 1
	v_mov_b32_e32 v1, v21
; %bb.8960:                             ;   in Loop: Header=BB6_7203 Depth=3
	s_or_b64 exec, exec, s[28:29]
	v_lshrrev_b64 v[0:1], 20, v[0:1]
	v_cmp_gt_i32_e32 vcc, 16, v2
	v_cndmask_b32_e32 v1, 0, v1, vcc
	v_cndmask_b32_e32 v0, 7, v0, vcc
	v_cmp_eq_u64_e64 s[28:29], 0, v[0:1]
	v_min_i32_e32 v1, 15, v2
	v_lshlrev_b32_e32 v1, 3, v1
	v_cmp_eq_u32_e32 vcc, 0, v2
	v_and_b32_e32 v1, 0xf8, v1
	v_and_or_b32 v0, v0, 7, v1
	s_and_b64 s[28:29], vcc, s[28:29]
	v_cndmask_b32_e64 v0, v0, 0, s[28:29]
	v_or_b32_e32 v39, v0, v50
.LBB6_8961:                             ;   in Loop: Header=BB6_7203 Depth=3
	s_or_b64 exec, exec, s[36:37]
                                        ; implicit-def: $vgpr50
.LBB6_8962:                             ;   in Loop: Header=BB6_7203 Depth=3
	s_andn2_saveexec_b64 s[28:29], s[34:35]
; %bb.8963:                             ;   in Loop: Header=BB6_7203 Depth=3
	v_or_b32_e32 v39, 0x7e, v50
; %bb.8964:                             ;   in Loop: Header=BB6_7203 Depth=3
	s_or_b64 exec, exec, s[28:29]
                                        ; implicit-def: $vgpr0
.LBB6_8965:                             ;   in Loop: Header=BB6_7203 Depth=3
	s_andn2_saveexec_b64 s[28:29], s[30:31]
; %bb.8966:                             ;   in Loop: Header=BB6_7203 Depth=3
	v_or_b32_sdwa v39, v0, s81 dst_sel:DWORD dst_unused:UNUSED_PAD src0_sel:BYTE_3 src1_sel:DWORD
; %bb.8967:                             ;   in Loop: Header=BB6_7203 Depth=3
	s_or_b64 exec, exec, s[28:29]
	v_cmp_lt_u64_e32 vcc, s[56:57], v[14:15]
	v_mov_b32_e32 v1, 0
	v_mov_b32_e32 v2, 0
	s_and_saveexec_b64 s[28:29], vcc
	s_cbranch_execz .LBB6_8973
; %bb.8968:                             ;   in Loop: Header=BB6_7203 Depth=3
	v_lshrrev_b32_e32 v0, 24, v15
	v_cmp_ne_u32_e32 vcc, s80, v0
	v_bfrev_b32_e32 v2, 1
	s_and_saveexec_b64 s[30:31], vcc
	s_cbranch_execz .LBB6_8972
; %bb.8969:                             ;   in Loop: Header=BB6_7203 Depth=3
	v_bfe_u32 v14, v15, 24, 7
	v_cmp_ne_u32_e32 vcc, s81, v14
	v_mov_b32_e32 v2, 0x7f800001
	s_and_saveexec_b64 s[34:35], vcc
	s_cbranch_execz .LBB6_8971
; %bb.8970:                             ;   in Loop: Header=BB6_7203 Depth=3
	v_and_b32_e32 v2, 7, v0
	v_lshrrev_b32_e32 v20, 3, v14
	v_cmp_gt_u32_e32 vcc, 8, v14
	v_ffbh_u32_e32 v14, v2
	v_min_u32_e32 v22, 32, v14
	v_subrev_u32_e32 v14, 28, v22
	v_lshlrev_b64 v[14:15], v14, v[0:1]
	v_sub_u32_e32 v15, 29, v22
	v_and_b32_e32 v14, 7, v14
	v_cndmask_b32_e32 v15, v20, v15, vcc
	v_cndmask_b32_e32 v2, v2, v14, vcc
	v_lshlrev_b32_e32 v0, 24, v0
	v_bfrev_b32_e32 v14, 60
	v_lshlrev_b32_e32 v2, 20, v2
	v_and_b32_e32 v0, 0x80000000, v0
	v_lshl_add_u32 v14, v15, 23, v14
	v_or3_b32 v2, v0, v14, v2
.LBB6_8971:                             ;   in Loop: Header=BB6_7203 Depth=3
	s_or_b64 exec, exec, s[34:35]
.LBB6_8972:                             ;   in Loop: Header=BB6_7203 Depth=3
	s_or_b64 exec, exec, s[30:31]
.LBB6_8973:                             ;   in Loop: Header=BB6_7203 Depth=3
	s_or_b64 exec, exec, s[28:29]
	v_cmp_lt_u64_e32 vcc, s[56:57], v[10:11]
	s_and_saveexec_b64 s[28:29], vcc
	s_cbranch_execz .LBB6_8979
; %bb.8974:                             ;   in Loop: Header=BB6_7203 Depth=3
	v_lshrrev_b32_e32 v0, 24, v11
	v_cmp_ne_u32_e32 vcc, s80, v0
	v_bfrev_b32_e32 v1, 1
	s_and_saveexec_b64 s[30:31], vcc
	s_cbranch_execz .LBB6_8978
; %bb.8975:                             ;   in Loop: Header=BB6_7203 Depth=3
	v_bfe_u32 v10, v11, 24, 7
	v_cmp_ne_u32_e32 vcc, s81, v10
	v_mov_b32_e32 v1, 0x7f800001
	s_and_saveexec_b64 s[34:35], vcc
	s_cbranch_execz .LBB6_8977
; %bb.8976:                             ;   in Loop: Header=BB6_7203 Depth=3
	v_and_b32_e32 v1, 7, v0
	v_lshrrev_b32_e32 v14, 3, v10
	v_cmp_gt_u32_e32 vcc, 8, v10
	v_ffbh_u32_e32 v10, v1
	v_min_u32_e32 v15, 32, v10
	v_subrev_u32_e32 v10, 28, v15
	v_lshlrev_b64 v[10:11], v10, v[0:1]
	v_sub_u32_e32 v11, 29, v15
	v_and_b32_e32 v10, 7, v10
	v_cndmask_b32_e32 v11, v14, v11, vcc
	v_cndmask_b32_e32 v1, v1, v10, vcc
	v_lshlrev_b32_e32 v0, 24, v0
	v_bfrev_b32_e32 v10, 60
	v_lshlrev_b32_e32 v1, 20, v1
	v_and_b32_e32 v0, 0x80000000, v0
	v_lshl_add_u32 v10, v11, 23, v10
	v_or3_b32 v1, v0, v10, v1
.LBB6_8977:                             ;   in Loop: Header=BB6_7203 Depth=3
	s_or_b64 exec, exec, s[34:35]
.LBB6_8978:                             ;   in Loop: Header=BB6_7203 Depth=3
	s_or_b64 exec, exec, s[30:31]
.LBB6_8979:                             ;   in Loop: Header=BB6_7203 Depth=3
	s_or_b64 exec, exec, s[28:29]
	v_mul_f32_e32 v1, v2, v1
	v_and_b32_e32 v20, 0x7f800000, v1
	v_cmp_ne_u64_e32 vcc, s[62:63], v[20:21]
                                        ; implicit-def: $vgpr0
	s_and_saveexec_b64 s[28:29], vcc
	s_xor_b64 s[30:31], exec, s[28:29]
	s_cbranch_execz .LBB6_8993
; %bb.8980:                             ;   in Loop: Header=BB6_7203 Depth=3
	v_and_b32_e32 v20, 0x7fffffff, v1
	v_cmp_gt_u64_e32 vcc, s[78:79], v[20:21]
	v_and_b32_sdwa v10, v1, s80 dst_sel:DWORD dst_unused:UNUSED_PAD src0_sel:BYTE_3 src1_sel:DWORD
                                        ; implicit-def: $vgpr0
	s_and_saveexec_b64 s[28:29], vcc
	s_xor_b64 s[34:35], exec, s[28:29]
	s_cbranch_execz .LBB6_8990
; %bb.8981:                             ;   in Loop: Header=BB6_7203 Depth=3
	v_mov_b32_e32 v0, 0
	v_cmp_ne_u32_e32 vcc, 0, v1
	s_and_saveexec_b64 s[36:37], vcc
	s_cbranch_execz .LBB6_8989
; %bb.8982:                             ;   in Loop: Header=BB6_7203 Depth=3
	v_bfe_u32 v11, v1, 23, 8
	v_and_b32_e32 v0, 0x7fffff, v1
	v_cmp_gt_u32_e64 s[28:29], s47, v11
	v_sub_u32_e32 v1, 0x79, v11
	v_cmp_eq_u32_e32 vcc, 0, v11
	v_cndmask_b32_e64 v1, 0, v1, s[28:29]
	v_mov_b32_e32 v14, 0x78
	v_or_b32_e32 v2, 0x800000, v0
	v_cndmask_b32_e32 v14, v1, v14, vcc
	v_cndmask_b32_e32 v20, v2, v0, vcc
	v_add_u32_e32 v0, 20, v14
	v_lshlrev_b64 v[0:1], v0, -1
	v_add_u32_e32 v2, 19, v14
	v_lshlrev_b64 v[22:23], v2, 1
	v_bfi_b32 v1, v1, 0, 0
	v_bfi_b32 v0, v0, 0, v20
	v_cmp_eq_u64_e64 s[28:29], v[0:1], v[22:23]
	v_lshrrev_b64 v[0:1], v14, v[20:21]
	v_mov_b32_e32 v2, v1
	v_mov_b32_e32 v1, v0
	s_and_saveexec_b64 s[38:39], s[28:29]
; %bb.8983:                             ;   in Loop: Header=BB6_7203 Depth=3
	v_bfe_u32 v1, v0, 20, 1
	v_add_co_u32_e64 v1, s[28:29], v0, v1
	v_add_co_u32_e64 v1, s[28:29], -1, v1
; %bb.8984:                             ;   in Loop: Header=BB6_7203 Depth=3
	s_or_b64 exec, exec, s[38:39]
	v_add_u32_e32 v2, 0xffffff81, v11
	v_mov_b32_e32 v11, 0xffffff82
	v_cndmask_b32_e32 v2, v2, v11, vcc
	v_lshrrev_b32_e32 v11, 23, v0
	v_add3_u32 v14, v14, v2, v11
	v_add_u32_e32 v11, 6, v14
	v_and_b32_e32 v1, 0xfffff, v1
	v_add_u32_e32 v20, v1, v0
	v_cmp_ne_u32_e32 vcc, 0, v11
                                        ; implicit-def: $vgpr0_vgpr1
                                        ; implicit-def: $vgpr2
	s_and_saveexec_b64 s[28:29], vcc
	s_xor_b64 s[28:29], exec, s[28:29]
; %bb.8985:                             ;   in Loop: Header=BB6_7203 Depth=3
	v_cmp_lt_u64_e32 vcc, s[88:89], v[20:21]
	v_add_u32_e32 v0, 7, v14
	v_cndmask_b32_e32 v2, v11, v0, vcc
	v_cndmask_b32_e64 v0, 0, 1, vcc
	v_lshrrev_b64 v[0:1], v0, v[20:21]
; %bb.8986:                             ;   in Loop: Header=BB6_7203 Depth=3
	s_andn2_saveexec_b64 s[28:29], s[28:29]
; %bb.8987:                             ;   in Loop: Header=BB6_7203 Depth=3
	v_mov_b32_e32 v0, v20
	v_bfe_u32 v2, v20, 23, 1
	v_mov_b32_e32 v1, v21
; %bb.8988:                             ;   in Loop: Header=BB6_7203 Depth=3
	s_or_b64 exec, exec, s[28:29]
	v_lshrrev_b64 v[0:1], 20, v[0:1]
	v_cmp_gt_i32_e32 vcc, 16, v2
	v_cndmask_b32_e32 v1, 0, v1, vcc
	v_cndmask_b32_e32 v0, 7, v0, vcc
	v_cmp_eq_u64_e64 s[28:29], 0, v[0:1]
	v_min_i32_e32 v1, 15, v2
	v_lshlrev_b32_e32 v1, 3, v1
	v_cmp_eq_u32_e32 vcc, 0, v2
	v_and_b32_e32 v1, 0xf8, v1
	v_and_or_b32 v0, v0, 7, v1
	s_and_b64 s[28:29], vcc, s[28:29]
	v_cndmask_b32_e64 v0, v0, 0, s[28:29]
	v_or_b32_e32 v0, v0, v10
.LBB6_8989:                             ;   in Loop: Header=BB6_7203 Depth=3
	s_or_b64 exec, exec, s[36:37]
                                        ; implicit-def: $vgpr10
.LBB6_8990:                             ;   in Loop: Header=BB6_7203 Depth=3
	s_andn2_saveexec_b64 s[28:29], s[34:35]
; %bb.8991:                             ;   in Loop: Header=BB6_7203 Depth=3
	v_or_b32_e32 v0, 0x7e, v10
; %bb.8992:                             ;   in Loop: Header=BB6_7203 Depth=3
	s_or_b64 exec, exec, s[28:29]
                                        ; implicit-def: $vgpr1
.LBB6_8993:                             ;   in Loop: Header=BB6_7203 Depth=3
	s_andn2_saveexec_b64 s[28:29], s[30:31]
	s_cbranch_execz .LBB6_7202
; %bb.8994:                             ;   in Loop: Header=BB6_7203 Depth=3
	v_or_b32_sdwa v0, v1, s81 dst_sel:DWORD dst_unused:UNUSED_PAD src0_sel:BYTE_3 src1_sel:DWORD
	s_branch .LBB6_7202
.LBB6_8995:                             ;   in Loop: Header=BB6_3791 Depth=2
	s_or_b64 exec, exec, s[42:43]
	buffer_load_dword v1, off, s[0:3], s33 offset:296 ; 4-byte Folded Reload
.LBB6_8996:                             ;   in Loop: Header=BB6_3791 Depth=2
	s_or_b64 exec, exec, s[40:41]
	buffer_load_dword v0, off, s[0:3], s33 offset:324 ; 4-byte Folded Reload
	s_waitcnt vmcnt(0)
	v_lshlrev_b32_e32 v24, 12, v1
	s_mov_b64 s[28:29], 0
	v_mov_b32_e32 v4, 0
                                        ; implicit-def: $vgpr5
                                        ; implicit-def: $vgpr2
	v_cmp_ne_u32_e32 vcc, v0, v24
                                        ; implicit-def: $vgpr0
	s_and_saveexec_b64 s[42:43], vcc
	s_cbranch_execz .LBB6_9452
; %bb.8997:                             ;   in Loop: Header=BB6_3791 Depth=2
	buffer_load_dword v0, off, s[0:3], s33 offset:324 ; 4-byte Folded Reload
	buffer_load_dword v2, off, s[0:3], s33 offset:332 ; 4-byte Folded Reload
	s_waitcnt vmcnt(0)
	v_sub_u32_e32 v1, v0, v24
	v_lshlrev_b32_e32 v0, 6, v3
	v_sub_u32_e32 v0, v2, v0
	v_ashrrev_i32_e32 v2, 31, v0
	v_lshrrev_b32_e32 v2, 26, v2
	v_add_u32_e32 v2, v0, v2
	v_ashrrev_i32_e32 v3, 6, v2
	v_and_b32_e32 v2, 0xffffffc0, v2
	v_sub_u32_e32 v25, v0, v2
	v_ashrrev_i32_e32 v2, 31, v1
	v_lshrrev_b32_e32 v2, 22, v2
	v_add_u32_e32 v2, v1, v2
	v_and_b32_e32 v26, 0xfffffc00, v2
	v_lshlrev_b32_e32 v0, 4, v25
	v_sub_u32_e32 v28, v1, v26
	v_lshl_add_u32 v0, v3, 10, v0
	v_ashrrev_i32_e32 v4, 10, v2
	v_cmp_lt_i32_e32 vcc, 15, v28
	v_sub_u32_e32 v29, v1, v0
	v_addc_co_u32_e64 v1, s[28:29], 0, v4, vcc
	v_sub_u32_e32 v27, v1, v3
	v_cmp_lt_i32_e64 s[28:29], 15, v29
	s_and_saveexec_b64 s[30:31], s[28:29]
	s_cbranch_execz .LBB6_9449
; %bb.8998:                             ;   in Loop: Header=BB6_3791 Depth=2
	v_add_u32_e32 v2, v0, v24
	s_trap 2
	ds_read_b64 v[0:1], v0
	buffer_load_dword v4, off, s[0:3], s33 offset:336 ; 4-byte Folded Reload
	buffer_load_dword v5, off, s[0:3], s33 offset:340 ; 4-byte Folded Reload
	v_ashrrev_i32_e32 v3, 31, v2
	s_mov_b64 s[34:35], 0
	s_waitcnt vmcnt(0)
	v_add_co_u32_e64 v4, s[28:29], v2, v4
	v_addc_co_u32_e64 v5, s[28:29], v3, v5, s[28:29]
	s_waitcnt lgkmcnt(0)
	v_add_co_u32_e64 v16, s[28:29], v0, v2
	v_addc_co_u32_e64 v17, s[28:29], v1, v3, s[28:29]
	buffer_load_dword v0, off, s[0:3], s33 offset:344 ; 4-byte Folded Reload
	buffer_load_dword v1, off, s[0:3], s33 offset:348 ; 4-byte Folded Reload
	s_waitcnt vmcnt(1)
	v_add_co_u32_e64 v18, s[28:29], v2, v0
	s_waitcnt vmcnt(0)
	v_addc_co_u32_e64 v19, s[28:29], v3, v1, s[28:29]
	s_branch .LBB6_9000
.LBB6_8999:                             ;   in Loop: Header=BB6_9000 Depth=3
	s_or_b64 exec, exec, s[28:29]
	v_lshl_or_b32 v1, v6, 8, v3
	v_lshlrev_b32_e32 v2, 16, v7
	v_lshlrev_b32_e32 v3, 24, v22
	v_or3_b32 v49, v1, v2, v3
	v_lshl_or_b32 v1, v31, 8, v30
	v_lshlrev_b32_e32 v2, 16, v32
	v_lshlrev_b32_e32 v3, 24, v33
	v_or3_b32 v48, v1, v2, v3
	;; [unrolled: 4-line block ×3, first 2 shown]
	v_lshlrev_b32_e32 v0, 24, v0
	v_lshlrev_b32_e32 v1, 16, v12
	v_lshl_or_b32 v2, v8, 8, v9
	v_or3_b32 v51, v2, v1, v0
	buffer_load_dword v0, off, s[0:3], s33 offset:236 ; 4-byte Folded Reload
	s_nop 0
	global_store_dwordx4 v[18:19], v[48:51], off glc slc
	buffer_load_dword v49, off, s[0:3], s33 offset:92 ; 4-byte Folded Reload
	s_waitcnt vmcnt(2)
	v_add_co_u32_e64 v4, s[28:29], v4, v0
	v_addc_co_u32_e64 v5, s[28:29], 0, v5, s[28:29]
	v_add_co_u32_e64 v16, s[28:29], v16, v0
	v_addc_co_u32_e64 v17, s[28:29], 0, v17, s[28:29]
	;; [unrolled: 2-line block ×3, first 2 shown]
	v_sub_u32_e32 v29, v29, v0
	v_cmp_gt_i32_e64 s[28:29], 16, v29
	s_or_b64 s[34:35], s[28:29], s[34:35]
	s_waitcnt vmcnt(0)
	v_sub_u32_e32 v27, v27, v49
	s_andn2_b64 exec, exec, s[34:35]
	s_cbranch_execz .LBB6_9448
.LBB6_9000:                             ;   Parent Loop BB6_47 Depth=1
                                        ;     Parent Loop BB6_3791 Depth=2
                                        ; =>    This Inner Loop Header: Depth=3
	global_load_dwordx4 v[12:15], v[4:5], off glc slc
	global_load_dwordx4 v[8:11], v[16:17], off glc slc
	v_mov_b32_e32 v0, 0
	s_waitcnt vmcnt(1)
	v_cmp_ne_u16_sdwa s[28:29], v12, v21 src0_sel:BYTE_0 src1_sel:DWORD
	s_and_saveexec_b64 s[40:41], s[28:29]
	s_cbranch_execz .LBB6_9006
; %bb.9001:                             ;   in Loop: Header=BB6_9000 Depth=3
	v_cmp_ne_u16_sdwa s[28:29], v12, s80 src0_sel:BYTE_0 src1_sel:DWORD
	v_bfrev_b32_e32 v0, 1
	s_and_saveexec_b64 s[36:37], s[28:29]
	s_cbranch_execz .LBB6_9005
; %bb.9002:                             ;   in Loop: Header=BB6_9000 Depth=3
	v_and_b32_e32 v1, 0x7f, v12
	v_cmp_ne_u32_e64 s[28:29], s81, v1
	v_mov_b32_e32 v0, 0x7f800001
	s_and_saveexec_b64 s[38:39], s[28:29]
	s_cbranch_execz .LBB6_9004
; %bb.9003:                             ;   in Loop: Header=BB6_9000 Depth=3
	v_and_b32_e32 v0, 7, v12
	v_ffbh_u32_e32 v0, v0
	v_min_u32_e32 v0, 32, v0
	v_lshrrev_b32_e32 v2, 3, v1
	v_cmp_gt_u32_e64 s[28:29], 8, v1
	v_subrev_u32_e32 v1, 28, v0
	v_sub_u32_e32 v0, 29, v0
	v_cndmask_b32_e64 v2, v2, v0, s[28:29]
	v_cndmask_b32_e64 v0, 0, v1, s[28:29]
	v_lshlrev_b64 v[0:1], v0, v[12:13]
	v_lshlrev_b32_e32 v1, 24, v12
	v_lshlrev_b32_e32 v0, 20, v0
	v_bfrev_b32_e32 v3, 60
	v_and_b32_e32 v0, 0x700000, v0
	v_and_b32_e32 v1, 0x80000000, v1
	v_lshl_add_u32 v2, v2, 23, v3
	v_or3_b32 v0, v1, v2, v0
.LBB6_9004:                             ;   in Loop: Header=BB6_9000 Depth=3
	s_or_b64 exec, exec, s[38:39]
.LBB6_9005:                             ;   in Loop: Header=BB6_9000 Depth=3
	s_or_b64 exec, exec, s[36:37]
.LBB6_9006:                             ;   in Loop: Header=BB6_9000 Depth=3
	s_or_b64 exec, exec, s[40:41]
	s_waitcnt vmcnt(0)
	v_cmp_gt_i16_sdwa s[40:41], v8, s81 src0_sel:BYTE_0 src1_sel:DWORD
	s_mov_b64 s[28:29], 0
	s_and_saveexec_b64 s[36:37], s[40:41]
	s_xor_b64 s[40:41], exec, s[36:37]
	s_cbranch_execz .LBB6_9428
; %bb.9007:                             ;   in Loop: Header=BB6_9000 Depth=3
	v_cmp_eq_u16_sdwa s[38:39], v8, s80 src0_sel:BYTE_0 src1_sel:DWORD
	s_mov_b64 s[28:29], -1
	s_and_saveexec_b64 s[36:37], s[38:39]
; %bb.9008:                             ;   in Loop: Header=BB6_9000 Depth=3
	s_xor_b64 s[28:29], exec, -1
; %bb.9009:                             ;   in Loop: Header=BB6_9000 Depth=3
	s_or_b64 exec, exec, s[36:37]
	s_and_b64 s[28:29], s[28:29], exec
	s_or_saveexec_b64 s[40:41], s[40:41]
	v_bfrev_b32_e32 v1, 1
	s_xor_b64 exec, exec, s[40:41]
	s_cbranch_execnz .LBB6_9429
.LBB6_9010:                             ;   in Loop: Header=BB6_9000 Depth=3
	s_or_b64 exec, exec, s[40:41]
	s_and_saveexec_b64 s[40:41], s[28:29]
	s_cbranch_execz .LBB6_9012
.LBB6_9011:                             ;   in Loop: Header=BB6_9000 Depth=3
	v_and_b32_e32 v1, 7, v8
	v_ffbh_u32_e32 v1, v1
	v_and_b32_e32 v3, 0x7f, v8
	v_min_u32_e32 v1, 32, v1
	v_bfe_u32 v2, v8, 3, 4
	v_subrev_u32_e32 v6, 28, v1
	v_sub_u32_e32 v1, 29, v1
	v_cmp_gt_u32_e64 s[28:29], 8, v3
	v_cndmask_b32_e64 v7, v2, v1, s[28:29]
	v_cndmask_b32_e64 v1, 0, v6, s[28:29]
	v_lshlrev_b64 v[1:2], v1, v[8:9]
	v_lshlrev_b32_e32 v2, 24, v8
	v_lshlrev_b32_e32 v1, 20, v1
	v_bfrev_b32_e32 v6, 60
	v_and_b32_e32 v1, 0x700000, v1
	v_and_b32_e32 v2, 0x80000000, v2
	v_lshl_add_u32 v6, v7, 23, v6
	v_or3_b32 v1, v2, v6, v1
	v_cmp_ne_u32_e64 s[28:29], s81, v3
	v_mov_b32_e32 v2, 0x7f800001
	v_cndmask_b32_e64 v1, v2, v1, s[28:29]
.LBB6_9012:                             ;   in Loop: Header=BB6_9000 Depth=3
	s_or_b64 exec, exec, s[40:41]
	v_mul_f32_e32 v0, v0, v1
	v_and_b32_e32 v20, 0x7f800000, v0
	v_cmp_ne_u64_e64 s[28:29], s[62:63], v[20:21]
                                        ; implicit-def: $vgpr30
	s_and_saveexec_b64 s[40:41], s[28:29]
	s_xor_b64 s[36:37], exec, s[40:41]
	s_cbranch_execz .LBB6_9026
; %bb.9013:                             ;   in Loop: Header=BB6_9000 Depth=3
	v_and_b32_e32 v20, 0x7fffffff, v0
	v_cmp_gt_u64_e64 s[28:29], s[78:79], v[20:21]
	v_and_b32_sdwa v3, v0, s80 dst_sel:DWORD dst_unused:UNUSED_PAD src0_sel:BYTE_3 src1_sel:DWORD
                                        ; implicit-def: $vgpr30
	s_and_saveexec_b64 s[40:41], s[28:29]
	s_xor_b64 s[38:39], exec, s[40:41]
	s_cbranch_execz .LBB6_9023
; %bb.9014:                             ;   in Loop: Header=BB6_9000 Depth=3
	v_mov_b32_e32 v30, 0
	v_cmp_ne_u32_e64 s[28:29], 0, v0
	s_and_saveexec_b64 s[48:49], s[28:29]
	s_cbranch_execz .LBB6_9022
; %bb.9015:                             ;   in Loop: Header=BB6_9000 Depth=3
	v_bfe_u32 v6, v0, 23, 8
	v_and_b32_e32 v1, 0x7fffff, v0
	v_cmp_gt_u32_e64 s[40:41], s47, v6
	v_sub_u32_e32 v0, 0x79, v6
	v_cmp_eq_u32_e64 s[28:29], 0, v6
	v_cndmask_b32_e64 v0, 0, v0, s[40:41]
	v_mov_b32_e32 v7, 0x78
	v_cndmask_b32_e64 v7, v0, v7, s[28:29]
	v_or_b32_e32 v2, 0x800000, v1
	v_add_u32_e32 v0, 20, v7
	v_cndmask_b32_e64 v20, v2, v1, s[28:29]
	v_lshlrev_b64 v[0:1], v0, -1
	v_add_u32_e32 v2, 19, v7
	v_lshlrev_b64 v[22:23], v2, 1
	v_bfi_b32 v1, v1, 0, 0
	v_bfi_b32 v0, v0, 0, v20
	v_cmp_eq_u64_e64 s[40:41], v[0:1], v[22:23]
	v_lshrrev_b64 v[0:1], v7, v[20:21]
	v_mov_b32_e32 v2, v1
	v_mov_b32_e32 v1, v0
	s_and_saveexec_b64 s[50:51], s[40:41]
; %bb.9016:                             ;   in Loop: Header=BB6_9000 Depth=3
	v_bfe_u32 v1, v0, 20, 1
	v_add_co_u32_e64 v1, s[40:41], v0, v1
	v_add_co_u32_e64 v1, s[40:41], -1, v1
; %bb.9017:                             ;   in Loop: Header=BB6_9000 Depth=3
	s_or_b64 exec, exec, s[50:51]
	v_add_u32_e32 v2, 0xffffff81, v6
	v_mov_b32_e32 v6, 0xffffff82
	v_cndmask_b32_e64 v2, v2, v6, s[28:29]
	v_lshrrev_b32_e32 v6, 23, v0
	v_add3_u32 v7, v7, v2, v6
	v_add_u32_e32 v6, 6, v7
	v_and_b32_e32 v1, 0xfffff, v1
	v_add_u32_e32 v20, v1, v0
	v_cmp_ne_u32_e64 s[28:29], 0, v6
                                        ; implicit-def: $vgpr0_vgpr1
                                        ; implicit-def: $vgpr2
	s_and_saveexec_b64 s[40:41], s[28:29]
	s_xor_b64 s[40:41], exec, s[40:41]
; %bb.9018:                             ;   in Loop: Header=BB6_9000 Depth=3
	v_cmp_lt_u64_e64 s[28:29], s[88:89], v[20:21]
	v_add_u32_e32 v0, 7, v7
	v_cndmask_b32_e64 v2, v6, v0, s[28:29]
	v_cndmask_b32_e64 v0, 0, 1, s[28:29]
	v_lshrrev_b64 v[0:1], v0, v[20:21]
; %bb.9019:                             ;   in Loop: Header=BB6_9000 Depth=3
	s_andn2_saveexec_b64 s[28:29], s[40:41]
; %bb.9020:                             ;   in Loop: Header=BB6_9000 Depth=3
	v_mov_b32_e32 v0, v20
	v_bfe_u32 v2, v20, 23, 1
	v_mov_b32_e32 v1, v21
; %bb.9021:                             ;   in Loop: Header=BB6_9000 Depth=3
	s_or_b64 exec, exec, s[28:29]
	v_lshrrev_b64 v[0:1], 20, v[0:1]
	v_cmp_gt_i32_e64 s[28:29], 16, v2
	v_cndmask_b32_e64 v1, 0, v1, s[28:29]
	v_cndmask_b32_e64 v0, 7, v0, s[28:29]
	v_cmp_eq_u64_e64 s[40:41], 0, v[0:1]
	v_min_i32_e32 v1, 15, v2
	v_lshlrev_b32_e32 v1, 3, v1
	v_cmp_eq_u32_e64 s[28:29], 0, v2
	v_and_b32_e32 v1, 0xf8, v1
	v_and_or_b32 v0, v0, 7, v1
	s_and_b64 s[28:29], s[28:29], s[40:41]
	v_cndmask_b32_e64 v0, v0, 0, s[28:29]
	v_or_b32_e32 v30, v0, v3
.LBB6_9022:                             ;   in Loop: Header=BB6_9000 Depth=3
	s_or_b64 exec, exec, s[48:49]
                                        ; implicit-def: $vgpr3
.LBB6_9023:                             ;   in Loop: Header=BB6_9000 Depth=3
	s_andn2_saveexec_b64 s[28:29], s[38:39]
; %bb.9024:                             ;   in Loop: Header=BB6_9000 Depth=3
	v_or_b32_e32 v30, 0x7e, v3
; %bb.9025:                             ;   in Loop: Header=BB6_9000 Depth=3
	s_or_b64 exec, exec, s[28:29]
                                        ; implicit-def: $vgpr0
.LBB6_9026:                             ;   in Loop: Header=BB6_9000 Depth=3
	s_andn2_saveexec_b64 s[28:29], s[36:37]
; %bb.9027:                             ;   in Loop: Header=BB6_9000 Depth=3
	v_or_b32_sdwa v30, v0, s81 dst_sel:DWORD dst_unused:UNUSED_PAD src0_sel:BYTE_3 src1_sel:DWORD
; %bb.9028:                             ;   in Loop: Header=BB6_9000 Depth=3
	s_or_b64 exec, exec, s[28:29]
	v_lshrrev_b16_e32 v0, 8, v12
	v_cmp_ne_u16_e64 s[28:29], 0, v0
	v_mov_b32_e32 v1, 0
	s_and_saveexec_b64 s[40:41], s[28:29]
	s_cbranch_execz .LBB6_9034
; %bb.9029:                             ;   in Loop: Header=BB6_9000 Depth=3
	v_cmp_ne_u16_e64 s[28:29], s80, v0
	v_bfrev_b32_e32 v1, 1
	s_and_saveexec_b64 s[36:37], s[28:29]
	s_cbranch_execz .LBB6_9033
; %bb.9030:                             ;   in Loop: Header=BB6_9000 Depth=3
	v_and_b32_e32 v2, 0x7f, v0
	v_cmp_ne_u32_e64 s[28:29], s81, v2
	v_mov_b32_e32 v1, 0x7f800001
	s_and_saveexec_b64 s[38:39], s[28:29]
	s_cbranch_execz .LBB6_9032
; %bb.9031:                             ;   in Loop: Header=BB6_9000 Depth=3
	v_and_b32_e32 v3, 7, v0
	v_ffbh_u32_e32 v1, v3
	v_lshrrev_b32_e32 v6, 3, v2
	v_cmp_gt_u32_e64 s[28:29], 8, v2
	v_min_u32_e32 v2, 32, v1
	v_subrev_u32_e32 v1, 28, v2
	v_lshlrev_b64 v[0:1], v1, v[0:1]
	v_sub_u32_e32 v1, 29, v2
	v_and_b32_e32 v0, 7, v0
	v_cndmask_b32_e64 v1, v6, v1, s[28:29]
	v_cndmask_b32_e64 v0, v3, v0, s[28:29]
	v_lshlrev_b32_e32 v2, 16, v12
	v_bfrev_b32_e32 v3, 60
	v_lshlrev_b32_e32 v0, 20, v0
	v_and_b32_e32 v2, 0x80000000, v2
	v_lshl_add_u32 v1, v1, 23, v3
	v_or3_b32 v1, v2, v1, v0
.LBB6_9032:                             ;   in Loop: Header=BB6_9000 Depth=3
	s_or_b64 exec, exec, s[38:39]
.LBB6_9033:                             ;   in Loop: Header=BB6_9000 Depth=3
	s_or_b64 exec, exec, s[36:37]
.LBB6_9034:                             ;   in Loop: Header=BB6_9000 Depth=3
	s_or_b64 exec, exec, s[40:41]
	v_lshrrev_b16_e32 v20, 8, v8
	v_cmp_lt_i16_e64 s[28:29], s81, v20
	s_mov_b64 s[40:41], 0
	s_and_saveexec_b64 s[36:37], s[28:29]
	s_xor_b64 s[36:37], exec, s[36:37]
	s_cbranch_execz .LBB6_9430
; %bb.9035:                             ;   in Loop: Header=BB6_9000 Depth=3
	v_cmp_eq_u16_e64 s[28:29], s80, v20
	s_mov_b64 s[40:41], -1
	s_and_saveexec_b64 s[38:39], s[28:29]
; %bb.9036:                             ;   in Loop: Header=BB6_9000 Depth=3
	s_xor_b64 s[40:41], exec, -1
; %bb.9037:                             ;   in Loop: Header=BB6_9000 Depth=3
	s_or_b64 exec, exec, s[38:39]
	s_and_b64 s[40:41], s[40:41], exec
	s_or_saveexec_b64 s[36:37], s[36:37]
	v_bfrev_b32_e32 v0, 1
	s_xor_b64 exec, exec, s[36:37]
	s_cbranch_execnz .LBB6_9431
.LBB6_9038:                             ;   in Loop: Header=BB6_9000 Depth=3
	s_or_b64 exec, exec, s[36:37]
	s_and_saveexec_b64 s[36:37], s[40:41]
	s_cbranch_execz .LBB6_9040
.LBB6_9039:                             ;   in Loop: Header=BB6_9000 Depth=3
	v_and_b32_e32 v0, 7, v20
	v_ffbh_u32_e32 v2, v0
	v_min_u32_e32 v22, 32, v2
	v_subrev_u32_e32 v2, 28, v22
	v_lshlrev_b64 v[2:3], v2, v[20:21]
	v_and_b32_e32 v6, 0x7f, v20
	v_bfe_u32 v7, v20, 3, 4
	v_sub_u32_e32 v3, 29, v22
	v_and_b32_e32 v2, 7, v2
	v_cmp_gt_u32_e64 s[28:29], 8, v6
	v_cndmask_b32_e64 v3, v7, v3, s[28:29]
	v_cndmask_b32_e64 v0, v0, v2, s[28:29]
	v_lshlrev_b32_e32 v2, 24, v20
	v_bfrev_b32_e32 v7, 60
	v_lshlrev_b32_e32 v0, 20, v0
	v_and_b32_e32 v2, 0x80000000, v2
	v_lshl_add_u32 v3, v3, 23, v7
	v_or3_b32 v0, v2, v3, v0
	v_cmp_ne_u32_e64 s[28:29], s81, v6
	v_mov_b32_e32 v2, 0x7f800001
	v_cndmask_b32_e64 v0, v2, v0, s[28:29]
.LBB6_9040:                             ;   in Loop: Header=BB6_9000 Depth=3
	s_or_b64 exec, exec, s[36:37]
	v_mul_f32_e32 v0, v1, v0
	v_and_b32_e32 v20, 0x7f800000, v0
	v_cmp_ne_u64_e64 s[28:29], s[62:63], v[20:21]
                                        ; implicit-def: $vgpr31
	s_and_saveexec_b64 s[40:41], s[28:29]
	s_xor_b64 s[36:37], exec, s[40:41]
	s_cbranch_execz .LBB6_9054
; %bb.9041:                             ;   in Loop: Header=BB6_9000 Depth=3
	v_and_b32_e32 v20, 0x7fffffff, v0
	v_cmp_gt_u64_e64 s[28:29], s[78:79], v[20:21]
	v_and_b32_sdwa v3, v0, s80 dst_sel:DWORD dst_unused:UNUSED_PAD src0_sel:BYTE_3 src1_sel:DWORD
                                        ; implicit-def: $vgpr31
	s_and_saveexec_b64 s[40:41], s[28:29]
	s_xor_b64 s[38:39], exec, s[40:41]
	s_cbranch_execz .LBB6_9051
; %bb.9042:                             ;   in Loop: Header=BB6_9000 Depth=3
	v_mov_b32_e32 v31, 0
	v_cmp_ne_u32_e64 s[28:29], 0, v0
	s_and_saveexec_b64 s[48:49], s[28:29]
	s_cbranch_execz .LBB6_9050
; %bb.9043:                             ;   in Loop: Header=BB6_9000 Depth=3
	v_bfe_u32 v6, v0, 23, 8
	v_and_b32_e32 v1, 0x7fffff, v0
	v_cmp_gt_u32_e64 s[40:41], s47, v6
	v_sub_u32_e32 v0, 0x79, v6
	v_cmp_eq_u32_e64 s[28:29], 0, v6
	v_cndmask_b32_e64 v0, 0, v0, s[40:41]
	v_mov_b32_e32 v7, 0x78
	v_cndmask_b32_e64 v7, v0, v7, s[28:29]
	v_or_b32_e32 v2, 0x800000, v1
	v_add_u32_e32 v0, 20, v7
	v_cndmask_b32_e64 v20, v2, v1, s[28:29]
	v_lshlrev_b64 v[0:1], v0, -1
	v_add_u32_e32 v2, 19, v7
	v_lshlrev_b64 v[22:23], v2, 1
	v_bfi_b32 v1, v1, 0, 0
	v_bfi_b32 v0, v0, 0, v20
	v_cmp_eq_u64_e64 s[40:41], v[0:1], v[22:23]
	v_lshrrev_b64 v[0:1], v7, v[20:21]
	v_mov_b32_e32 v2, v1
	v_mov_b32_e32 v1, v0
	s_and_saveexec_b64 s[50:51], s[40:41]
; %bb.9044:                             ;   in Loop: Header=BB6_9000 Depth=3
	v_bfe_u32 v1, v0, 20, 1
	v_add_co_u32_e64 v1, s[40:41], v0, v1
	v_add_co_u32_e64 v1, s[40:41], -1, v1
; %bb.9045:                             ;   in Loop: Header=BB6_9000 Depth=3
	s_or_b64 exec, exec, s[50:51]
	v_add_u32_e32 v2, 0xffffff81, v6
	v_mov_b32_e32 v6, 0xffffff82
	v_cndmask_b32_e64 v2, v2, v6, s[28:29]
	v_lshrrev_b32_e32 v6, 23, v0
	v_add3_u32 v7, v7, v2, v6
	v_add_u32_e32 v6, 6, v7
	v_and_b32_e32 v1, 0xfffff, v1
	v_add_u32_e32 v20, v1, v0
	v_cmp_ne_u32_e64 s[28:29], 0, v6
                                        ; implicit-def: $vgpr0_vgpr1
                                        ; implicit-def: $vgpr2
	s_and_saveexec_b64 s[40:41], s[28:29]
	s_xor_b64 s[40:41], exec, s[40:41]
; %bb.9046:                             ;   in Loop: Header=BB6_9000 Depth=3
	v_cmp_lt_u64_e64 s[28:29], s[88:89], v[20:21]
	v_add_u32_e32 v0, 7, v7
	v_cndmask_b32_e64 v2, v6, v0, s[28:29]
	v_cndmask_b32_e64 v0, 0, 1, s[28:29]
	v_lshrrev_b64 v[0:1], v0, v[20:21]
; %bb.9047:                             ;   in Loop: Header=BB6_9000 Depth=3
	s_andn2_saveexec_b64 s[28:29], s[40:41]
; %bb.9048:                             ;   in Loop: Header=BB6_9000 Depth=3
	v_mov_b32_e32 v0, v20
	v_bfe_u32 v2, v20, 23, 1
	v_mov_b32_e32 v1, v21
; %bb.9049:                             ;   in Loop: Header=BB6_9000 Depth=3
	s_or_b64 exec, exec, s[28:29]
	v_lshrrev_b64 v[0:1], 20, v[0:1]
	v_cmp_gt_i32_e64 s[28:29], 16, v2
	v_cndmask_b32_e64 v1, 0, v1, s[28:29]
	v_cndmask_b32_e64 v0, 7, v0, s[28:29]
	v_cmp_eq_u64_e64 s[40:41], 0, v[0:1]
	v_min_i32_e32 v1, 15, v2
	v_lshlrev_b32_e32 v1, 3, v1
	v_cmp_eq_u32_e64 s[28:29], 0, v2
	v_and_b32_e32 v1, 0xf8, v1
	v_and_or_b32 v0, v0, 7, v1
	s_and_b64 s[28:29], s[28:29], s[40:41]
	v_cndmask_b32_e64 v0, v0, 0, s[28:29]
	v_or_b32_e32 v31, v0, v3
.LBB6_9050:                             ;   in Loop: Header=BB6_9000 Depth=3
	s_or_b64 exec, exec, s[48:49]
                                        ; implicit-def: $vgpr3
.LBB6_9051:                             ;   in Loop: Header=BB6_9000 Depth=3
	s_andn2_saveexec_b64 s[28:29], s[38:39]
; %bb.9052:                             ;   in Loop: Header=BB6_9000 Depth=3
	v_or_b32_e32 v31, 0x7e, v3
; %bb.9053:                             ;   in Loop: Header=BB6_9000 Depth=3
	s_or_b64 exec, exec, s[28:29]
                                        ; implicit-def: $vgpr0
.LBB6_9054:                             ;   in Loop: Header=BB6_9000 Depth=3
	s_andn2_saveexec_b64 s[28:29], s[36:37]
; %bb.9055:                             ;   in Loop: Header=BB6_9000 Depth=3
	v_or_b32_sdwa v31, v0, s81 dst_sel:DWORD dst_unused:UNUSED_PAD src0_sel:BYTE_3 src1_sel:DWORD
; %bb.9056:                             ;   in Loop: Header=BB6_9000 Depth=3
	s_or_b64 exec, exec, s[28:29]
	v_lshrrev_b32_e32 v0, 16, v12
	v_cmp_ne_u16_sdwa s[28:29], v0, v21 src0_sel:BYTE_0 src1_sel:DWORD
	v_mov_b32_e32 v1, 0
	s_and_saveexec_b64 s[40:41], s[28:29]
	s_cbranch_execz .LBB6_9062
; %bb.9057:                             ;   in Loop: Header=BB6_9000 Depth=3
	v_cmp_ne_u16_sdwa s[28:29], v0, s80 src0_sel:BYTE_0 src1_sel:DWORD
	v_bfrev_b32_e32 v1, 1
	s_and_saveexec_b64 s[36:37], s[28:29]
	s_cbranch_execz .LBB6_9061
; %bb.9058:                             ;   in Loop: Header=BB6_9000 Depth=3
	v_bfe_u32 v2, v12, 16, 7
	v_cmp_ne_u32_e64 s[28:29], s81, v2
	v_mov_b32_e32 v1, 0x7f800001
	s_and_saveexec_b64 s[38:39], s[28:29]
	s_cbranch_execz .LBB6_9060
; %bb.9059:                             ;   in Loop: Header=BB6_9000 Depth=3
	v_and_b32_e32 v3, 7, v0
	v_ffbh_u32_e32 v1, v3
	v_min_u32_e32 v7, 32, v1
	v_subrev_u32_e32 v1, 28, v7
	v_lshrrev_b32_e32 v6, 3, v2
	v_cmp_gt_u32_e64 s[28:29], 8, v2
	v_lshlrev_b64 v[1:2], v1, v[0:1]
	v_sub_u32_e32 v2, 29, v7
	v_and_b32_e32 v1, 7, v1
	v_cndmask_b32_e64 v2, v6, v2, s[28:29]
	v_cndmask_b32_e64 v1, v3, v1, s[28:29]
	v_lshlrev_b32_e32 v0, 24, v0
	v_bfrev_b32_e32 v3, 60
	v_lshlrev_b32_e32 v1, 20, v1
	v_and_b32_e32 v0, 0x80000000, v0
	v_lshl_add_u32 v2, v2, 23, v3
	v_or3_b32 v1, v0, v2, v1
.LBB6_9060:                             ;   in Loop: Header=BB6_9000 Depth=3
	s_or_b64 exec, exec, s[38:39]
.LBB6_9061:                             ;   in Loop: Header=BB6_9000 Depth=3
	s_or_b64 exec, exec, s[36:37]
.LBB6_9062:                             ;   in Loop: Header=BB6_9000 Depth=3
	s_or_b64 exec, exec, s[40:41]
	v_lshrrev_b32_e32 v2, 16, v8
	v_cmp_gt_i16_sdwa s[40:41], v2, s81 src0_sel:BYTE_0 src1_sel:DWORD
	s_mov_b64 s[28:29], 0
	s_and_saveexec_b64 s[36:37], s[40:41]
	s_xor_b64 s[40:41], exec, s[36:37]
	s_cbranch_execz .LBB6_9432
; %bb.9063:                             ;   in Loop: Header=BB6_9000 Depth=3
	v_cmp_eq_u16_sdwa s[38:39], v2, s80 src0_sel:BYTE_0 src1_sel:DWORD
	s_mov_b64 s[28:29], -1
	s_and_saveexec_b64 s[36:37], s[38:39]
; %bb.9064:                             ;   in Loop: Header=BB6_9000 Depth=3
	s_xor_b64 s[28:29], exec, -1
; %bb.9065:                             ;   in Loop: Header=BB6_9000 Depth=3
	s_or_b64 exec, exec, s[36:37]
	s_and_b64 s[28:29], s[28:29], exec
	s_or_saveexec_b64 s[40:41], s[40:41]
	v_bfrev_b32_e32 v0, 1
	s_xor_b64 exec, exec, s[40:41]
	s_cbranch_execnz .LBB6_9433
.LBB6_9066:                             ;   in Loop: Header=BB6_9000 Depth=3
	s_or_b64 exec, exec, s[40:41]
	s_and_saveexec_b64 s[40:41], s[28:29]
	s_cbranch_execz .LBB6_9068
.LBB6_9067:                             ;   in Loop: Header=BB6_9000 Depth=3
	v_and_b32_e32 v0, 7, v2
	v_ffbh_u32_e32 v6, v0
	v_min_u32_e32 v22, 32, v6
	v_and_b32_e32 v3, 0x7f, v2
	v_subrev_u32_e32 v6, 28, v22
	v_lshlrev_b64 v[6:7], v6, v[2:3]
	v_bfe_u32 v20, v2, 3, 4
	v_sub_u32_e32 v7, 29, v22
	v_and_b32_e32 v6, 7, v6
	v_cmp_gt_u32_e64 s[28:29], 8, v3
	v_cndmask_b32_e64 v7, v20, v7, s[28:29]
	v_cndmask_b32_e64 v0, v0, v6, s[28:29]
	v_lshlrev_b32_e32 v2, 24, v2
	v_bfrev_b32_e32 v6, 60
	v_lshlrev_b32_e32 v0, 20, v0
	v_and_b32_e32 v2, 0x80000000, v2
	v_lshl_add_u32 v6, v7, 23, v6
	v_or3_b32 v0, v2, v6, v0
	v_cmp_ne_u32_e64 s[28:29], s81, v3
	v_mov_b32_e32 v2, 0x7f800001
	v_cndmask_b32_e64 v0, v2, v0, s[28:29]
.LBB6_9068:                             ;   in Loop: Header=BB6_9000 Depth=3
	s_or_b64 exec, exec, s[40:41]
	v_mul_f32_e32 v0, v1, v0
	v_and_b32_e32 v20, 0x7f800000, v0
	v_cmp_ne_u64_e64 s[28:29], s[62:63], v[20:21]
                                        ; implicit-def: $vgpr32
	s_and_saveexec_b64 s[40:41], s[28:29]
	s_xor_b64 s[36:37], exec, s[40:41]
	s_cbranch_execz .LBB6_9082
; %bb.9069:                             ;   in Loop: Header=BB6_9000 Depth=3
	v_and_b32_e32 v20, 0x7fffffff, v0
	v_cmp_gt_u64_e64 s[28:29], s[78:79], v[20:21]
	v_and_b32_sdwa v3, v0, s80 dst_sel:DWORD dst_unused:UNUSED_PAD src0_sel:BYTE_3 src1_sel:DWORD
                                        ; implicit-def: $vgpr32
	s_and_saveexec_b64 s[40:41], s[28:29]
	s_xor_b64 s[38:39], exec, s[40:41]
	s_cbranch_execz .LBB6_9079
; %bb.9070:                             ;   in Loop: Header=BB6_9000 Depth=3
	v_mov_b32_e32 v32, 0
	v_cmp_ne_u32_e64 s[28:29], 0, v0
	s_and_saveexec_b64 s[48:49], s[28:29]
	s_cbranch_execz .LBB6_9078
; %bb.9071:                             ;   in Loop: Header=BB6_9000 Depth=3
	v_bfe_u32 v6, v0, 23, 8
	v_and_b32_e32 v1, 0x7fffff, v0
	v_cmp_gt_u32_e64 s[40:41], s47, v6
	v_sub_u32_e32 v0, 0x79, v6
	v_cmp_eq_u32_e64 s[28:29], 0, v6
	v_cndmask_b32_e64 v0, 0, v0, s[40:41]
	v_mov_b32_e32 v7, 0x78
	v_cndmask_b32_e64 v7, v0, v7, s[28:29]
	v_or_b32_e32 v2, 0x800000, v1
	v_add_u32_e32 v0, 20, v7
	v_cndmask_b32_e64 v20, v2, v1, s[28:29]
	v_lshlrev_b64 v[0:1], v0, -1
	v_add_u32_e32 v2, 19, v7
	v_lshlrev_b64 v[22:23], v2, 1
	v_bfi_b32 v1, v1, 0, 0
	v_bfi_b32 v0, v0, 0, v20
	v_cmp_eq_u64_e64 s[40:41], v[0:1], v[22:23]
	v_lshrrev_b64 v[0:1], v7, v[20:21]
	v_mov_b32_e32 v2, v1
	v_mov_b32_e32 v1, v0
	s_and_saveexec_b64 s[50:51], s[40:41]
; %bb.9072:                             ;   in Loop: Header=BB6_9000 Depth=3
	v_bfe_u32 v1, v0, 20, 1
	v_add_co_u32_e64 v1, s[40:41], v0, v1
	v_add_co_u32_e64 v1, s[40:41], -1, v1
; %bb.9073:                             ;   in Loop: Header=BB6_9000 Depth=3
	s_or_b64 exec, exec, s[50:51]
	v_add_u32_e32 v2, 0xffffff81, v6
	v_mov_b32_e32 v6, 0xffffff82
	v_cndmask_b32_e64 v2, v2, v6, s[28:29]
	v_lshrrev_b32_e32 v6, 23, v0
	v_add3_u32 v7, v7, v2, v6
	v_add_u32_e32 v6, 6, v7
	v_and_b32_e32 v1, 0xfffff, v1
	v_add_u32_e32 v20, v1, v0
	v_cmp_ne_u32_e64 s[28:29], 0, v6
                                        ; implicit-def: $vgpr0_vgpr1
                                        ; implicit-def: $vgpr2
	s_and_saveexec_b64 s[40:41], s[28:29]
	s_xor_b64 s[40:41], exec, s[40:41]
; %bb.9074:                             ;   in Loop: Header=BB6_9000 Depth=3
	v_cmp_lt_u64_e64 s[28:29], s[88:89], v[20:21]
	v_add_u32_e32 v0, 7, v7
	v_cndmask_b32_e64 v2, v6, v0, s[28:29]
	v_cndmask_b32_e64 v0, 0, 1, s[28:29]
	v_lshrrev_b64 v[0:1], v0, v[20:21]
; %bb.9075:                             ;   in Loop: Header=BB6_9000 Depth=3
	s_andn2_saveexec_b64 s[28:29], s[40:41]
; %bb.9076:                             ;   in Loop: Header=BB6_9000 Depth=3
	v_mov_b32_e32 v0, v20
	v_bfe_u32 v2, v20, 23, 1
	v_mov_b32_e32 v1, v21
; %bb.9077:                             ;   in Loop: Header=BB6_9000 Depth=3
	s_or_b64 exec, exec, s[28:29]
	v_lshrrev_b64 v[0:1], 20, v[0:1]
	v_cmp_gt_i32_e64 s[28:29], 16, v2
	v_cndmask_b32_e64 v1, 0, v1, s[28:29]
	v_cndmask_b32_e64 v0, 7, v0, s[28:29]
	v_cmp_eq_u64_e64 s[40:41], 0, v[0:1]
	v_min_i32_e32 v1, 15, v2
	v_lshlrev_b32_e32 v1, 3, v1
	v_cmp_eq_u32_e64 s[28:29], 0, v2
	v_and_b32_e32 v1, 0xf8, v1
	v_and_or_b32 v0, v0, 7, v1
	s_and_b64 s[28:29], s[28:29], s[40:41]
	v_cndmask_b32_e64 v0, v0, 0, s[28:29]
	v_or_b32_e32 v32, v0, v3
.LBB6_9078:                             ;   in Loop: Header=BB6_9000 Depth=3
	s_or_b64 exec, exec, s[48:49]
                                        ; implicit-def: $vgpr3
.LBB6_9079:                             ;   in Loop: Header=BB6_9000 Depth=3
	s_andn2_saveexec_b64 s[28:29], s[38:39]
; %bb.9080:                             ;   in Loop: Header=BB6_9000 Depth=3
	v_or_b32_e32 v32, 0x7e, v3
; %bb.9081:                             ;   in Loop: Header=BB6_9000 Depth=3
	s_or_b64 exec, exec, s[28:29]
                                        ; implicit-def: $vgpr0
.LBB6_9082:                             ;   in Loop: Header=BB6_9000 Depth=3
	s_andn2_saveexec_b64 s[28:29], s[36:37]
; %bb.9083:                             ;   in Loop: Header=BB6_9000 Depth=3
	v_or_b32_sdwa v32, v0, s81 dst_sel:DWORD dst_unused:UNUSED_PAD src0_sel:BYTE_3 src1_sel:DWORD
; %bb.9084:                             ;   in Loop: Header=BB6_9000 Depth=3
	s_or_b64 exec, exec, s[28:29]
	v_cmp_lt_u32_e64 s[28:29], s57, v12
	v_mov_b32_e32 v1, 0
	s_and_saveexec_b64 s[40:41], s[28:29]
	s_cbranch_execz .LBB6_9090
; %bb.9085:                             ;   in Loop: Header=BB6_9000 Depth=3
	v_lshrrev_b32_e32 v0, 24, v12
	v_cmp_ne_u32_e64 s[28:29], s80, v0
	v_bfrev_b32_e32 v1, 1
	s_and_saveexec_b64 s[36:37], s[28:29]
	s_cbranch_execz .LBB6_9089
; %bb.9086:                             ;   in Loop: Header=BB6_9000 Depth=3
	v_bfe_u32 v2, v12, 24, 7
	v_cmp_ne_u32_e64 s[28:29], s81, v2
	v_mov_b32_e32 v1, 0x7f800001
	s_and_saveexec_b64 s[38:39], s[28:29]
	s_cbranch_execz .LBB6_9088
; %bb.9087:                             ;   in Loop: Header=BB6_9000 Depth=3
	v_and_b32_e32 v3, 7, v0
	v_ffbh_u32_e32 v1, v3
	v_min_u32_e32 v7, 32, v1
	v_subrev_u32_e32 v1, 28, v7
	v_lshrrev_b32_e32 v6, 3, v2
	v_cmp_gt_u32_e64 s[28:29], 8, v2
	v_lshlrev_b64 v[1:2], v1, v[0:1]
	v_sub_u32_e32 v2, 29, v7
	v_and_b32_e32 v1, 7, v1
	v_cndmask_b32_e64 v2, v6, v2, s[28:29]
	v_cndmask_b32_e64 v1, v3, v1, s[28:29]
	v_lshlrev_b32_e32 v0, 24, v0
	v_bfrev_b32_e32 v3, 60
	v_lshlrev_b32_e32 v1, 20, v1
	v_and_b32_e32 v0, 0x80000000, v0
	v_lshl_add_u32 v2, v2, 23, v3
	v_or3_b32 v1, v0, v2, v1
.LBB6_9088:                             ;   in Loop: Header=BB6_9000 Depth=3
	s_or_b64 exec, exec, s[38:39]
.LBB6_9089:                             ;   in Loop: Header=BB6_9000 Depth=3
	s_or_b64 exec, exec, s[36:37]
.LBB6_9090:                             ;   in Loop: Header=BB6_9000 Depth=3
	s_or_b64 exec, exec, s[40:41]
	v_bfe_u32 v6, v8, 24, 3
	v_ffbh_u32_e32 v2, v6
	v_min_u32_e32 v22, 32, v2
	v_lshrrev_b32_e32 v0, 24, v8
	v_subrev_u32_e32 v2, 28, v22
	v_lshlrev_b64 v[2:3], v2, v[0:1]
	v_bfe_u32 v7, v8, 24, 7
	v_bfe_u32 v20, v0, 3, 4
	v_sub_u32_e32 v3, 29, v22
	v_and_b32_e32 v2, 7, v2
	v_cmp_gt_u32_e64 s[28:29], 8, v7
	v_cndmask_b32_e64 v3, v20, v3, s[28:29]
	v_cndmask_b32_e64 v2, v6, v2, s[28:29]
	v_bfrev_b32_e32 v20, 60
	v_lshlrev_b32_e32 v2, 20, v2
	v_and_b32_e32 v6, 0x80000000, v8
	v_lshl_add_u32 v3, v3, 23, v20
	v_or3_b32 v2, v6, v3, v2
	v_cmp_ne_u32_e64 s[28:29], s81, v7
	v_mov_b32_e32 v3, 0x7f800001
	v_cndmask_b32_e64 v2, v3, v2, s[28:29]
	v_cmp_ne_u32_e64 s[28:29], s80, v0
	v_bfrev_b32_e32 v0, 1
	v_cndmask_b32_e64 v0, v0, v2, s[28:29]
	v_cmp_lt_u32_e64 s[28:29], s57, v8
	v_cndmask_b32_e64 v0, 0, v0, s[28:29]
	v_mul_f32_e32 v0, v0, v1
	v_and_b32_e32 v20, 0x7f800000, v0
	v_cmp_ne_u64_e64 s[28:29], s[62:63], v[20:21]
                                        ; implicit-def: $vgpr33
	s_and_saveexec_b64 s[40:41], s[28:29]
	s_xor_b64 s[36:37], exec, s[40:41]
	s_cbranch_execz .LBB6_9104
; %bb.9091:                             ;   in Loop: Header=BB6_9000 Depth=3
	v_and_b32_e32 v20, 0x7fffffff, v0
	v_cmp_gt_u64_e64 s[28:29], s[78:79], v[20:21]
	v_and_b32_sdwa v3, v0, s80 dst_sel:DWORD dst_unused:UNUSED_PAD src0_sel:BYTE_3 src1_sel:DWORD
                                        ; implicit-def: $vgpr33
	s_and_saveexec_b64 s[40:41], s[28:29]
	s_xor_b64 s[38:39], exec, s[40:41]
	s_cbranch_execz .LBB6_9101
; %bb.9092:                             ;   in Loop: Header=BB6_9000 Depth=3
	v_mov_b32_e32 v33, 0
	v_cmp_ne_u32_e64 s[28:29], 0, v0
	s_and_saveexec_b64 s[48:49], s[28:29]
	s_cbranch_execz .LBB6_9100
; %bb.9093:                             ;   in Loop: Header=BB6_9000 Depth=3
	v_bfe_u32 v6, v0, 23, 8
	v_and_b32_e32 v1, 0x7fffff, v0
	v_cmp_gt_u32_e64 s[40:41], s47, v6
	v_sub_u32_e32 v0, 0x79, v6
	v_cmp_eq_u32_e64 s[28:29], 0, v6
	v_cndmask_b32_e64 v0, 0, v0, s[40:41]
	v_mov_b32_e32 v7, 0x78
	v_cndmask_b32_e64 v7, v0, v7, s[28:29]
	v_or_b32_e32 v2, 0x800000, v1
	v_add_u32_e32 v0, 20, v7
	v_cndmask_b32_e64 v20, v2, v1, s[28:29]
	v_lshlrev_b64 v[0:1], v0, -1
	v_add_u32_e32 v2, 19, v7
	v_lshlrev_b64 v[22:23], v2, 1
	v_bfi_b32 v1, v1, 0, 0
	v_bfi_b32 v0, v0, 0, v20
	v_cmp_eq_u64_e64 s[40:41], v[0:1], v[22:23]
	v_lshrrev_b64 v[0:1], v7, v[20:21]
	v_mov_b32_e32 v2, v1
	v_mov_b32_e32 v1, v0
	s_and_saveexec_b64 s[50:51], s[40:41]
; %bb.9094:                             ;   in Loop: Header=BB6_9000 Depth=3
	v_bfe_u32 v1, v0, 20, 1
	v_add_co_u32_e64 v1, s[40:41], v0, v1
	v_add_co_u32_e64 v1, s[40:41], -1, v1
; %bb.9095:                             ;   in Loop: Header=BB6_9000 Depth=3
	s_or_b64 exec, exec, s[50:51]
	v_add_u32_e32 v2, 0xffffff81, v6
	v_mov_b32_e32 v6, 0xffffff82
	v_cndmask_b32_e64 v2, v2, v6, s[28:29]
	v_lshrrev_b32_e32 v6, 23, v0
	v_add3_u32 v7, v7, v2, v6
	v_add_u32_e32 v6, 6, v7
	v_and_b32_e32 v1, 0xfffff, v1
	v_add_u32_e32 v20, v1, v0
	v_cmp_ne_u32_e64 s[28:29], 0, v6
                                        ; implicit-def: $vgpr0_vgpr1
                                        ; implicit-def: $vgpr2
	s_and_saveexec_b64 s[40:41], s[28:29]
	s_xor_b64 s[40:41], exec, s[40:41]
; %bb.9096:                             ;   in Loop: Header=BB6_9000 Depth=3
	v_cmp_lt_u64_e64 s[28:29], s[88:89], v[20:21]
	v_add_u32_e32 v0, 7, v7
	v_cndmask_b32_e64 v2, v6, v0, s[28:29]
	v_cndmask_b32_e64 v0, 0, 1, s[28:29]
	v_lshrrev_b64 v[0:1], v0, v[20:21]
; %bb.9097:                             ;   in Loop: Header=BB6_9000 Depth=3
	s_andn2_saveexec_b64 s[28:29], s[40:41]
; %bb.9098:                             ;   in Loop: Header=BB6_9000 Depth=3
	v_mov_b32_e32 v0, v20
	v_bfe_u32 v2, v20, 23, 1
	v_mov_b32_e32 v1, v21
; %bb.9099:                             ;   in Loop: Header=BB6_9000 Depth=3
	s_or_b64 exec, exec, s[28:29]
	v_lshrrev_b64 v[0:1], 20, v[0:1]
	v_cmp_gt_i32_e64 s[28:29], 16, v2
	v_cndmask_b32_e64 v1, 0, v1, s[28:29]
	v_cndmask_b32_e64 v0, 7, v0, s[28:29]
	v_cmp_eq_u64_e64 s[40:41], 0, v[0:1]
	v_min_i32_e32 v1, 15, v2
	v_lshlrev_b32_e32 v1, 3, v1
	v_cmp_eq_u32_e64 s[28:29], 0, v2
	v_and_b32_e32 v1, 0xf8, v1
	v_and_or_b32 v0, v0, 7, v1
	s_and_b64 s[28:29], s[28:29], s[40:41]
	v_cndmask_b32_e64 v0, v0, 0, s[28:29]
	v_or_b32_e32 v33, v0, v3
.LBB6_9100:                             ;   in Loop: Header=BB6_9000 Depth=3
	s_or_b64 exec, exec, s[48:49]
                                        ; implicit-def: $vgpr3
.LBB6_9101:                             ;   in Loop: Header=BB6_9000 Depth=3
	s_andn2_saveexec_b64 s[28:29], s[38:39]
; %bb.9102:                             ;   in Loop: Header=BB6_9000 Depth=3
	v_or_b32_e32 v33, 0x7e, v3
; %bb.9103:                             ;   in Loop: Header=BB6_9000 Depth=3
	s_or_b64 exec, exec, s[28:29]
                                        ; implicit-def: $vgpr0
.LBB6_9104:                             ;   in Loop: Header=BB6_9000 Depth=3
	s_andn2_saveexec_b64 s[28:29], s[36:37]
; %bb.9105:                             ;   in Loop: Header=BB6_9000 Depth=3
	v_or_b32_sdwa v33, v0, s81 dst_sel:DWORD dst_unused:UNUSED_PAD src0_sel:BYTE_3 src1_sel:DWORD
; %bb.9106:                             ;   in Loop: Header=BB6_9000 Depth=3
	s_or_b64 exec, exec, s[28:29]
	v_mov_b32_e32 v20, v13
	v_cmp_ne_u16_sdwa s[28:29], v13, v21 src0_sel:BYTE_0 src1_sel:DWORD
	v_mov_b32_e32 v0, 0
	s_and_saveexec_b64 s[40:41], s[28:29]
	s_cbranch_execz .LBB6_9112
; %bb.9107:                             ;   in Loop: Header=BB6_9000 Depth=3
	v_cmp_ne_u16_sdwa s[28:29], v13, s80 src0_sel:BYTE_0 src1_sel:DWORD
	v_bfrev_b32_e32 v0, 1
	s_and_saveexec_b64 s[36:37], s[28:29]
	s_cbranch_execz .LBB6_9111
; %bb.9108:                             ;   in Loop: Header=BB6_9000 Depth=3
	v_and_b32_e32 v1, 0x7f, v13
	v_cmp_ne_u32_e64 s[28:29], s81, v1
	v_mov_b32_e32 v0, 0x7f800001
	s_and_saveexec_b64 s[38:39], s[28:29]
	s_cbranch_execz .LBB6_9110
; %bb.9109:                             ;   in Loop: Header=BB6_9000 Depth=3
	v_and_b32_e32 v0, 7, v13
	v_ffbh_u32_e32 v0, v0
	v_min_u32_e32 v0, 32, v0
	v_lshrrev_b32_e32 v2, 3, v1
	v_cmp_gt_u32_e64 s[28:29], 8, v1
	v_subrev_u32_e32 v1, 28, v0
	v_sub_u32_e32 v0, 29, v0
	v_cndmask_b32_e64 v2, v2, v0, s[28:29]
	v_cndmask_b32_e64 v0, 0, v1, s[28:29]
	v_lshlrev_b64 v[0:1], v0, v[20:21]
	v_lshlrev_b32_e32 v1, 24, v20
	v_lshlrev_b32_e32 v0, 20, v0
	v_bfrev_b32_e32 v3, 60
	v_and_b32_e32 v0, 0x700000, v0
	v_and_b32_e32 v1, 0x80000000, v1
	v_lshl_add_u32 v2, v2, 23, v3
	v_or3_b32 v0, v1, v2, v0
.LBB6_9110:                             ;   in Loop: Header=BB6_9000 Depth=3
	s_or_b64 exec, exec, s[38:39]
.LBB6_9111:                             ;   in Loop: Header=BB6_9000 Depth=3
	s_or_b64 exec, exec, s[36:37]
.LBB6_9112:                             ;   in Loop: Header=BB6_9000 Depth=3
	s_or_b64 exec, exec, s[40:41]
	v_cmp_gt_i16_sdwa s[40:41], v9, s81 src0_sel:BYTE_0 src1_sel:DWORD
	s_mov_b64 s[28:29], 0
	s_and_saveexec_b64 s[36:37], s[40:41]
	s_xor_b64 s[40:41], exec, s[36:37]
	s_cbranch_execz .LBB6_9116
; %bb.9113:                             ;   in Loop: Header=BB6_9000 Depth=3
	v_cmp_eq_u16_sdwa s[38:39], v9, s80 src0_sel:BYTE_0 src1_sel:DWORD
	s_mov_b64 s[28:29], -1
	s_and_saveexec_b64 s[36:37], s[38:39]
; %bb.9114:                             ;   in Loop: Header=BB6_9000 Depth=3
	s_xor_b64 s[28:29], exec, -1
; %bb.9115:                             ;   in Loop: Header=BB6_9000 Depth=3
	s_or_b64 exec, exec, s[36:37]
	s_and_b64 s[28:29], s[28:29], exec
.LBB6_9116:                             ;   in Loop: Header=BB6_9000 Depth=3
	s_or_saveexec_b64 s[40:41], s[40:41]
	v_bfrev_b32_e32 v1, 1
	s_xor_b64 exec, exec, s[40:41]
; %bb.9117:                             ;   in Loop: Header=BB6_9000 Depth=3
	v_cmp_ne_u16_sdwa s[36:37], v9, v21 src0_sel:BYTE_0 src1_sel:DWORD
	s_andn2_b64 s[28:29], s[28:29], exec
	s_and_b64 s[36:37], s[36:37], exec
	v_mov_b32_e32 v1, 0
	s_or_b64 s[28:29], s[28:29], s[36:37]
; %bb.9118:                             ;   in Loop: Header=BB6_9000 Depth=3
	s_or_b64 exec, exec, s[40:41]
	v_mov_b32_e32 v2, v9
	v_mov_b32_e32 v3, v21
	s_and_saveexec_b64 s[40:41], s[28:29]
	s_cbranch_execz .LBB6_9120
; %bb.9119:                             ;   in Loop: Header=BB6_9000 Depth=3
	v_and_b32_e32 v1, 7, v9
	v_ffbh_u32_e32 v1, v1
	v_and_b32_e32 v22, 0x7f, v9
	v_min_u32_e32 v1, 32, v1
	v_bfe_u32 v6, v9, 3, 4
	v_subrev_u32_e32 v7, 28, v1
	v_sub_u32_e32 v1, 29, v1
	v_cmp_gt_u32_e64 s[28:29], 8, v22
	v_cndmask_b32_e64 v1, v6, v1, s[28:29]
	v_cndmask_b32_e64 v6, 0, v7, s[28:29]
	v_lshlrev_b64 v[6:7], v6, v[2:3]
	v_bfrev_b32_e32 v7, 60
	v_lshlrev_b32_e32 v3, 20, v6
	v_lshlrev_b32_e32 v6, 24, v2
	v_and_b32_e32 v3, 0x700000, v3
	v_and_b32_e32 v6, 0x80000000, v6
	v_lshl_add_u32 v1, v1, 23, v7
	v_or3_b32 v1, v6, v1, v3
	v_cmp_ne_u32_e64 s[28:29], s81, v22
	v_mov_b32_e32 v3, 0x7f800001
	v_cndmask_b32_e64 v1, v3, v1, s[28:29]
.LBB6_9120:                             ;   in Loop: Header=BB6_9000 Depth=3
	s_or_b64 exec, exec, s[40:41]
	v_mul_f32_e32 v0, v0, v1
	v_and_b32_e32 v6, 0x7f800000, v0
	v_mov_b32_e32 v7, v21
	v_cmp_ne_u64_e64 s[28:29], s[62:63], v[6:7]
                                        ; implicit-def: $vgpr3
	s_and_saveexec_b64 s[40:41], s[28:29]
	s_xor_b64 s[36:37], exec, s[40:41]
	s_cbranch_execz .LBB6_9134
; %bb.9121:                             ;   in Loop: Header=BB6_9000 Depth=3
	v_and_b32_e32 v6, 0x7fffffff, v0
	v_mov_b32_e32 v7, v21
	v_cmp_gt_u64_e64 s[28:29], s[78:79], v[6:7]
	v_and_b32_sdwa v34, v0, s80 dst_sel:DWORD dst_unused:UNUSED_PAD src0_sel:BYTE_3 src1_sel:DWORD
                                        ; implicit-def: $vgpr3
	s_and_saveexec_b64 s[40:41], s[28:29]
	s_xor_b64 s[38:39], exec, s[40:41]
	s_cbranch_execz .LBB6_9131
; %bb.9122:                             ;   in Loop: Header=BB6_9000 Depth=3
	v_mov_b32_e32 v3, 0
	v_cmp_ne_u32_e64 s[28:29], 0, v0
	s_and_saveexec_b64 s[48:49], s[28:29]
	s_cbranch_execz .LBB6_9130
; %bb.9123:                             ;   in Loop: Header=BB6_9000 Depth=3
	v_bfe_u32 v3, v0, 23, 8
	v_and_b32_e32 v1, 0x7fffff, v0
	v_cmp_gt_u32_e64 s[40:41], s47, v3
	v_sub_u32_e32 v0, 0x79, v3
	v_cmp_eq_u32_e64 s[28:29], 0, v3
	v_cndmask_b32_e64 v0, 0, v0, s[40:41]
	v_mov_b32_e32 v7, 0x78
	v_or_b32_e32 v6, 0x800000, v1
	v_cndmask_b32_e64 v22, v0, v7, s[28:29]
	v_cndmask_b32_e64 v0, v6, v1, s[28:29]
	v_add_u32_e32 v6, 20, v22
	v_lshlrev_b64 v[6:7], v6, -1
	v_mov_b32_e32 v1, v21
	v_add_u32_e32 v23, 19, v22
	v_bfi_b32 v6, v6, 0, v0
	v_lshlrev_b64 v[35:36], v23, 1
	v_lshrrev_b64 v[0:1], v22, v[0:1]
	v_bfi_b32 v7, v7, 0, 0
	v_cmp_eq_u64_e64 s[40:41], v[6:7], v[35:36]
	v_mov_b32_e32 v7, v1
	v_mov_b32_e32 v6, v0
	s_and_saveexec_b64 s[50:51], s[40:41]
; %bb.9124:                             ;   in Loop: Header=BB6_9000 Depth=3
	v_bfe_u32 v1, v0, 20, 1
	v_add_co_u32_e64 v1, s[40:41], v0, v1
	v_add_co_u32_e64 v6, s[40:41], -1, v1
; %bb.9125:                             ;   in Loop: Header=BB6_9000 Depth=3
	s_or_b64 exec, exec, s[50:51]
	v_add_u32_e32 v1, 0xffffff81, v3
	v_mov_b32_e32 v3, 0xffffff82
	v_cndmask_b32_e64 v1, v1, v3, s[28:29]
	v_lshrrev_b32_e32 v3, 23, v0
	v_add3_u32 v3, v22, v1, v3
	v_add_u32_e32 v1, 6, v3
	v_and_b32_e32 v6, 0xfffff, v6
	v_add_u32_e32 v22, v6, v0
	v_mov_b32_e32 v23, v21
	v_cmp_ne_u32_e64 s[28:29], 0, v1
                                        ; implicit-def: $vgpr0
	s_and_saveexec_b64 s[40:41], s[28:29]
	s_xor_b64 s[40:41], exec, s[40:41]
; %bb.9126:                             ;   in Loop: Header=BB6_9000 Depth=3
	v_cmp_lt_u64_e64 s[28:29], s[88:89], v[22:23]
	v_add_u32_e32 v0, 7, v3
	v_cndmask_b32_e64 v0, v1, v0, s[28:29]
	v_cndmask_b32_e64 v1, 0, 1, s[28:29]
	v_lshrrev_b64 v[22:23], v1, v[22:23]
; %bb.9127:                             ;   in Loop: Header=BB6_9000 Depth=3
	s_andn2_saveexec_b64 s[28:29], s[40:41]
; %bb.9128:                             ;   in Loop: Header=BB6_9000 Depth=3
	v_bfe_u32 v0, v22, 23, 1
; %bb.9129:                             ;   in Loop: Header=BB6_9000 Depth=3
	s_or_b64 exec, exec, s[28:29]
	v_lshrrev_b64 v[6:7], 20, v[22:23]
	v_cmp_gt_i32_e64 s[28:29], 16, v0
	v_cndmask_b32_e64 v7, 0, v7, s[28:29]
	v_cndmask_b32_e64 v6, 7, v6, s[28:29]
	v_cmp_eq_u32_e64 s[28:29], 0, v0
	v_min_i32_e32 v0, 15, v0
	v_cmp_eq_u64_e64 s[40:41], 0, v[6:7]
	v_lshlrev_b32_e32 v0, 3, v0
	v_and_b32_e32 v0, 0xf8, v0
	v_and_or_b32 v0, v6, 7, v0
	s_and_b64 s[28:29], s[28:29], s[40:41]
	v_cndmask_b32_e64 v0, v0, 0, s[28:29]
	v_or_b32_e32 v3, v0, v34
.LBB6_9130:                             ;   in Loop: Header=BB6_9000 Depth=3
	s_or_b64 exec, exec, s[48:49]
                                        ; implicit-def: $vgpr34
.LBB6_9131:                             ;   in Loop: Header=BB6_9000 Depth=3
	s_andn2_saveexec_b64 s[28:29], s[38:39]
; %bb.9132:                             ;   in Loop: Header=BB6_9000 Depth=3
	v_or_b32_e32 v3, 0x7e, v34
; %bb.9133:                             ;   in Loop: Header=BB6_9000 Depth=3
	s_or_b64 exec, exec, s[28:29]
                                        ; implicit-def: $vgpr0
.LBB6_9134:                             ;   in Loop: Header=BB6_9000 Depth=3
	s_andn2_saveexec_b64 s[28:29], s[36:37]
; %bb.9135:                             ;   in Loop: Header=BB6_9000 Depth=3
	v_or_b32_sdwa v3, v0, s81 dst_sel:DWORD dst_unused:UNUSED_PAD src0_sel:BYTE_3 src1_sel:DWORD
; %bb.9136:                             ;   in Loop: Header=BB6_9000 Depth=3
	s_or_b64 exec, exec, s[28:29]
	v_lshrrev_b16_e32 v0, 8, v20
	v_cmp_ne_u16_e64 s[28:29], 0, v0
	v_mov_b32_e32 v1, 0
	s_and_saveexec_b64 s[40:41], s[28:29]
	s_cbranch_execz .LBB6_9142
; %bb.9137:                             ;   in Loop: Header=BB6_9000 Depth=3
	v_cmp_ne_u16_e64 s[28:29], s80, v0
	v_bfrev_b32_e32 v1, 1
	s_and_saveexec_b64 s[36:37], s[28:29]
	s_cbranch_execz .LBB6_9141
; %bb.9138:                             ;   in Loop: Header=BB6_9000 Depth=3
	v_and_b32_e32 v6, 0x7f, v0
	v_cmp_ne_u32_e64 s[28:29], s81, v6
	v_mov_b32_e32 v1, 0x7f800001
	s_and_saveexec_b64 s[38:39], s[28:29]
	s_cbranch_execz .LBB6_9140
; %bb.9139:                             ;   in Loop: Header=BB6_9000 Depth=3
	v_and_b32_e32 v7, 7, v0
	v_ffbh_u32_e32 v1, v7
	v_lshrrev_b32_e32 v22, 3, v6
	v_cmp_gt_u32_e64 s[28:29], 8, v6
	v_min_u32_e32 v6, 32, v1
	v_subrev_u32_e32 v1, 28, v6
	v_lshlrev_b64 v[0:1], v1, v[0:1]
	v_sub_u32_e32 v1, 29, v6
	v_and_b32_e32 v0, 7, v0
	v_cndmask_b32_e64 v1, v22, v1, s[28:29]
	v_cndmask_b32_e64 v0, v7, v0, s[28:29]
	v_lshlrev_b32_e32 v6, 16, v20
	v_bfrev_b32_e32 v7, 60
	v_lshlrev_b32_e32 v0, 20, v0
	v_and_b32_e32 v6, 0x80000000, v6
	v_lshl_add_u32 v1, v1, 23, v7
	v_or3_b32 v1, v6, v1, v0
.LBB6_9140:                             ;   in Loop: Header=BB6_9000 Depth=3
	s_or_b64 exec, exec, s[38:39]
.LBB6_9141:                             ;   in Loop: Header=BB6_9000 Depth=3
	s_or_b64 exec, exec, s[36:37]
.LBB6_9142:                             ;   in Loop: Header=BB6_9000 Depth=3
	s_or_b64 exec, exec, s[40:41]
	v_lshrrev_b16_e32 v20, 8, v2
	v_cmp_lt_i16_e64 s[28:29], s81, v20
	s_mov_b64 s[40:41], 0
	s_and_saveexec_b64 s[36:37], s[28:29]
	s_xor_b64 s[36:37], exec, s[36:37]
	s_cbranch_execz .LBB6_9434
; %bb.9143:                             ;   in Loop: Header=BB6_9000 Depth=3
	v_cmp_eq_u16_e64 s[28:29], s80, v20
	s_mov_b64 s[40:41], -1
	s_and_saveexec_b64 s[38:39], s[28:29]
; %bb.9144:                             ;   in Loop: Header=BB6_9000 Depth=3
	s_xor_b64 s[40:41], exec, -1
; %bb.9145:                             ;   in Loop: Header=BB6_9000 Depth=3
	s_or_b64 exec, exec, s[38:39]
	s_and_b64 s[40:41], s[40:41], exec
	s_or_saveexec_b64 s[36:37], s[36:37]
	v_bfrev_b32_e32 v0, 1
	s_xor_b64 exec, exec, s[36:37]
	s_cbranch_execnz .LBB6_9435
.LBB6_9146:                             ;   in Loop: Header=BB6_9000 Depth=3
	s_or_b64 exec, exec, s[36:37]
	s_and_saveexec_b64 s[36:37], s[40:41]
	s_cbranch_execz .LBB6_9148
.LBB6_9147:                             ;   in Loop: Header=BB6_9000 Depth=3
	v_and_b32_e32 v0, 7, v20
	v_ffbh_u32_e32 v6, v0
	v_min_u32_e32 v23, 32, v6
	v_subrev_u32_e32 v6, 28, v23
	v_lshlrev_b64 v[6:7], v6, v[20:21]
	v_and_b32_e32 v2, 0x7f, v20
	v_bfe_u32 v22, v20, 3, 4
	v_sub_u32_e32 v7, 29, v23
	v_and_b32_e32 v6, 7, v6
	v_cmp_gt_u32_e64 s[28:29], 8, v2
	v_cndmask_b32_e64 v7, v22, v7, s[28:29]
	v_cndmask_b32_e64 v0, v0, v6, s[28:29]
	v_lshlrev_b32_e32 v6, 24, v20
	v_bfrev_b32_e32 v20, 60
	v_lshlrev_b32_e32 v0, 20, v0
	v_and_b32_e32 v6, 0x80000000, v6
	v_lshl_add_u32 v7, v7, 23, v20
	v_or3_b32 v0, v6, v7, v0
	v_cmp_ne_u32_e64 s[28:29], s81, v2
	v_mov_b32_e32 v2, 0x7f800001
	v_cndmask_b32_e64 v0, v2, v0, s[28:29]
.LBB6_9148:                             ;   in Loop: Header=BB6_9000 Depth=3
	s_or_b64 exec, exec, s[36:37]
	v_mul_f32_e32 v0, v1, v0
	v_and_b32_e32 v20, 0x7f800000, v0
	v_cmp_ne_u64_e64 s[28:29], s[62:63], v[20:21]
                                        ; implicit-def: $vgpr6
	s_and_saveexec_b64 s[40:41], s[28:29]
	s_xor_b64 s[36:37], exec, s[40:41]
	s_cbranch_execz .LBB6_9162
; %bb.9149:                             ;   in Loop: Header=BB6_9000 Depth=3
	v_and_b32_e32 v20, 0x7fffffff, v0
	v_cmp_gt_u64_e64 s[28:29], s[78:79], v[20:21]
	v_and_b32_sdwa v7, v0, s80 dst_sel:DWORD dst_unused:UNUSED_PAD src0_sel:BYTE_3 src1_sel:DWORD
                                        ; implicit-def: $vgpr6
	s_and_saveexec_b64 s[40:41], s[28:29]
	s_xor_b64 s[38:39], exec, s[40:41]
	s_cbranch_execz .LBB6_9159
; %bb.9150:                             ;   in Loop: Header=BB6_9000 Depth=3
	v_mov_b32_e32 v6, 0
	v_cmp_ne_u32_e64 s[28:29], 0, v0
	s_and_saveexec_b64 s[48:49], s[28:29]
	s_cbranch_execz .LBB6_9158
; %bb.9151:                             ;   in Loop: Header=BB6_9000 Depth=3
	v_bfe_u32 v6, v0, 23, 8
	v_and_b32_e32 v1, 0x7fffff, v0
	v_cmp_gt_u32_e64 s[40:41], s47, v6
	v_sub_u32_e32 v0, 0x79, v6
	v_cmp_eq_u32_e64 s[28:29], 0, v6
	v_cndmask_b32_e64 v0, 0, v0, s[40:41]
	v_mov_b32_e32 v20, 0x78
	v_cndmask_b32_e64 v22, v0, v20, s[28:29]
	v_or_b32_e32 v2, 0x800000, v1
	v_add_u32_e32 v0, 20, v22
	v_cndmask_b32_e64 v20, v2, v1, s[28:29]
	v_lshlrev_b64 v[0:1], v0, -1
	v_add_u32_e32 v2, 19, v22
	v_lshlrev_b64 v[34:35], v2, 1
	v_bfi_b32 v1, v1, 0, 0
	v_bfi_b32 v0, v0, 0, v20
	v_cmp_eq_u64_e64 s[40:41], v[0:1], v[34:35]
	v_lshrrev_b64 v[0:1], v22, v[20:21]
	v_mov_b32_e32 v2, v1
	v_mov_b32_e32 v1, v0
	s_and_saveexec_b64 s[50:51], s[40:41]
; %bb.9152:                             ;   in Loop: Header=BB6_9000 Depth=3
	v_bfe_u32 v1, v0, 20, 1
	v_add_co_u32_e64 v1, s[40:41], v0, v1
	v_add_co_u32_e64 v1, s[40:41], -1, v1
; %bb.9153:                             ;   in Loop: Header=BB6_9000 Depth=3
	s_or_b64 exec, exec, s[50:51]
	v_add_u32_e32 v2, 0xffffff81, v6
	v_mov_b32_e32 v6, 0xffffff82
	v_cndmask_b32_e64 v2, v2, v6, s[28:29]
	v_lshrrev_b32_e32 v6, 23, v0
	v_add3_u32 v22, v22, v2, v6
	v_add_u32_e32 v6, 6, v22
	v_and_b32_e32 v1, 0xfffff, v1
	v_add_u32_e32 v20, v1, v0
	v_cmp_ne_u32_e64 s[28:29], 0, v6
                                        ; implicit-def: $vgpr0_vgpr1
                                        ; implicit-def: $vgpr2
	s_and_saveexec_b64 s[40:41], s[28:29]
	s_xor_b64 s[40:41], exec, s[40:41]
; %bb.9154:                             ;   in Loop: Header=BB6_9000 Depth=3
	v_cmp_lt_u64_e64 s[28:29], s[88:89], v[20:21]
	v_add_u32_e32 v0, 7, v22
	v_cndmask_b32_e64 v2, v6, v0, s[28:29]
	v_cndmask_b32_e64 v0, 0, 1, s[28:29]
	v_lshrrev_b64 v[0:1], v0, v[20:21]
; %bb.9155:                             ;   in Loop: Header=BB6_9000 Depth=3
	s_andn2_saveexec_b64 s[28:29], s[40:41]
; %bb.9156:                             ;   in Loop: Header=BB6_9000 Depth=3
	v_mov_b32_e32 v0, v20
	v_bfe_u32 v2, v20, 23, 1
	v_mov_b32_e32 v1, v21
; %bb.9157:                             ;   in Loop: Header=BB6_9000 Depth=3
	s_or_b64 exec, exec, s[28:29]
	v_lshrrev_b64 v[0:1], 20, v[0:1]
	v_cmp_gt_i32_e64 s[28:29], 16, v2
	v_cndmask_b32_e64 v1, 0, v1, s[28:29]
	v_cndmask_b32_e64 v0, 7, v0, s[28:29]
	v_cmp_eq_u64_e64 s[40:41], 0, v[0:1]
	v_min_i32_e32 v1, 15, v2
	v_lshlrev_b32_e32 v1, 3, v1
	v_cmp_eq_u32_e64 s[28:29], 0, v2
	v_and_b32_e32 v1, 0xf8, v1
	v_and_or_b32 v0, v0, 7, v1
	s_and_b64 s[28:29], s[28:29], s[40:41]
	v_cndmask_b32_e64 v0, v0, 0, s[28:29]
	v_or_b32_e32 v6, v0, v7
.LBB6_9158:                             ;   in Loop: Header=BB6_9000 Depth=3
	s_or_b64 exec, exec, s[48:49]
                                        ; implicit-def: $vgpr7
.LBB6_9159:                             ;   in Loop: Header=BB6_9000 Depth=3
	s_andn2_saveexec_b64 s[28:29], s[38:39]
; %bb.9160:                             ;   in Loop: Header=BB6_9000 Depth=3
	v_or_b32_e32 v6, 0x7e, v7
; %bb.9161:                             ;   in Loop: Header=BB6_9000 Depth=3
	s_or_b64 exec, exec, s[28:29]
                                        ; implicit-def: $vgpr0
.LBB6_9162:                             ;   in Loop: Header=BB6_9000 Depth=3
	s_andn2_saveexec_b64 s[28:29], s[36:37]
; %bb.9163:                             ;   in Loop: Header=BB6_9000 Depth=3
	v_or_b32_sdwa v6, v0, s81 dst_sel:DWORD dst_unused:UNUSED_PAD src0_sel:BYTE_3 src1_sel:DWORD
; %bb.9164:                             ;   in Loop: Header=BB6_9000 Depth=3
	s_or_b64 exec, exec, s[28:29]
	v_lshrrev_b32_e32 v0, 16, v13
	v_cmp_ne_u16_sdwa s[28:29], v0, v21 src0_sel:BYTE_0 src1_sel:DWORD
	v_mov_b32_e32 v1, 0
	s_and_saveexec_b64 s[40:41], s[28:29]
	s_cbranch_execz .LBB6_9170
; %bb.9165:                             ;   in Loop: Header=BB6_9000 Depth=3
	v_cmp_ne_u16_sdwa s[28:29], v0, s80 src0_sel:BYTE_0 src1_sel:DWORD
	v_bfrev_b32_e32 v1, 1
	s_and_saveexec_b64 s[36:37], s[28:29]
	s_cbranch_execz .LBB6_9169
; %bb.9166:                             ;   in Loop: Header=BB6_9000 Depth=3
	v_bfe_u32 v2, v13, 16, 7
	v_cmp_ne_u32_e64 s[28:29], s81, v2
	v_mov_b32_e32 v1, 0x7f800001
	s_and_saveexec_b64 s[38:39], s[28:29]
	s_cbranch_execz .LBB6_9168
; %bb.9167:                             ;   in Loop: Header=BB6_9000 Depth=3
	v_and_b32_e32 v7, 7, v0
	v_ffbh_u32_e32 v1, v7
	v_min_u32_e32 v22, 32, v1
	v_subrev_u32_e32 v1, 28, v22
	v_lshrrev_b32_e32 v20, 3, v2
	v_cmp_gt_u32_e64 s[28:29], 8, v2
	v_lshlrev_b64 v[1:2], v1, v[0:1]
	v_sub_u32_e32 v2, 29, v22
	v_and_b32_e32 v1, 7, v1
	v_cndmask_b32_e64 v2, v20, v2, s[28:29]
	v_cndmask_b32_e64 v1, v7, v1, s[28:29]
	v_lshlrev_b32_e32 v0, 24, v0
	v_bfrev_b32_e32 v7, 60
	v_lshlrev_b32_e32 v1, 20, v1
	v_and_b32_e32 v0, 0x80000000, v0
	v_lshl_add_u32 v2, v2, 23, v7
	v_or3_b32 v1, v0, v2, v1
.LBB6_9168:                             ;   in Loop: Header=BB6_9000 Depth=3
	s_or_b64 exec, exec, s[38:39]
.LBB6_9169:                             ;   in Loop: Header=BB6_9000 Depth=3
	s_or_b64 exec, exec, s[36:37]
.LBB6_9170:                             ;   in Loop: Header=BB6_9000 Depth=3
	s_or_b64 exec, exec, s[40:41]
	v_lshrrev_b32_e32 v2, 16, v9
	v_cmp_gt_i16_sdwa s[40:41], v2, s81 src0_sel:BYTE_0 src1_sel:DWORD
	s_mov_b64 s[28:29], 0
	s_and_saveexec_b64 s[36:37], s[40:41]
	s_xor_b64 s[40:41], exec, s[36:37]
	s_cbranch_execz .LBB6_9436
; %bb.9171:                             ;   in Loop: Header=BB6_9000 Depth=3
	v_cmp_eq_u16_sdwa s[38:39], v2, s80 src0_sel:BYTE_0 src1_sel:DWORD
	s_mov_b64 s[28:29], -1
	s_and_saveexec_b64 s[36:37], s[38:39]
; %bb.9172:                             ;   in Loop: Header=BB6_9000 Depth=3
	s_xor_b64 s[28:29], exec, -1
; %bb.9173:                             ;   in Loop: Header=BB6_9000 Depth=3
	s_or_b64 exec, exec, s[36:37]
	s_and_b64 s[28:29], s[28:29], exec
	s_or_saveexec_b64 s[40:41], s[40:41]
	v_bfrev_b32_e32 v0, 1
	s_xor_b64 exec, exec, s[40:41]
	s_cbranch_execnz .LBB6_9437
.LBB6_9174:                             ;   in Loop: Header=BB6_9000 Depth=3
	s_or_b64 exec, exec, s[40:41]
	s_and_saveexec_b64 s[40:41], s[28:29]
	s_cbranch_execz .LBB6_9176
.LBB6_9175:                             ;   in Loop: Header=BB6_9000 Depth=3
	v_and_b32_e32 v0, 7, v2
	v_ffbh_u32_e32 v22, v0
	v_min_u32_e32 v34, 32, v22
	v_subrev_u32_e32 v22, 28, v34
	v_lshlrev_b64 v[22:23], v22, v[2:3]
	v_and_b32_e32 v7, 0x7f, v2
	v_bfe_u32 v20, v2, 3, 4
	v_sub_u32_e32 v23, 29, v34
	v_and_b32_e32 v22, 7, v22
	v_cmp_gt_u32_e64 s[28:29], 8, v7
	v_cndmask_b32_e64 v20, v20, v23, s[28:29]
	v_cndmask_b32_e64 v0, v0, v22, s[28:29]
	v_lshlrev_b32_e32 v2, 24, v2
	v_bfrev_b32_e32 v22, 60
	v_lshlrev_b32_e32 v0, 20, v0
	v_and_b32_e32 v2, 0x80000000, v2
	v_lshl_add_u32 v20, v20, 23, v22
	v_or3_b32 v0, v2, v20, v0
	v_cmp_ne_u32_e64 s[28:29], s81, v7
	v_mov_b32_e32 v2, 0x7f800001
	v_cndmask_b32_e64 v0, v2, v0, s[28:29]
.LBB6_9176:                             ;   in Loop: Header=BB6_9000 Depth=3
	s_or_b64 exec, exec, s[40:41]
	v_mul_f32_e32 v0, v1, v0
	v_and_b32_e32 v20, 0x7f800000, v0
	v_cmp_ne_u64_e64 s[28:29], s[62:63], v[20:21]
                                        ; implicit-def: $vgpr7
	s_and_saveexec_b64 s[40:41], s[28:29]
	s_xor_b64 s[36:37], exec, s[40:41]
	s_cbranch_execz .LBB6_9190
; %bb.9177:                             ;   in Loop: Header=BB6_9000 Depth=3
	v_and_b32_e32 v20, 0x7fffffff, v0
	v_cmp_gt_u64_e64 s[28:29], s[78:79], v[20:21]
	v_and_b32_sdwa v22, v0, s80 dst_sel:DWORD dst_unused:UNUSED_PAD src0_sel:BYTE_3 src1_sel:DWORD
                                        ; implicit-def: $vgpr7
	s_and_saveexec_b64 s[40:41], s[28:29]
	s_xor_b64 s[38:39], exec, s[40:41]
	s_cbranch_execz .LBB6_9187
; %bb.9178:                             ;   in Loop: Header=BB6_9000 Depth=3
	v_mov_b32_e32 v7, 0
	v_cmp_ne_u32_e64 s[28:29], 0, v0
	s_and_saveexec_b64 s[48:49], s[28:29]
	s_cbranch_execz .LBB6_9186
; %bb.9179:                             ;   in Loop: Header=BB6_9000 Depth=3
	v_bfe_u32 v7, v0, 23, 8
	v_and_b32_e32 v1, 0x7fffff, v0
	v_cmp_gt_u32_e64 s[40:41], s47, v7
	v_sub_u32_e32 v0, 0x79, v7
	v_cmp_eq_u32_e64 s[28:29], 0, v7
	v_cndmask_b32_e64 v0, 0, v0, s[40:41]
	v_mov_b32_e32 v20, 0x78
	v_cndmask_b32_e64 v23, v0, v20, s[28:29]
	v_or_b32_e32 v2, 0x800000, v1
	v_add_u32_e32 v0, 20, v23
	v_cndmask_b32_e64 v20, v2, v1, s[28:29]
	v_lshlrev_b64 v[0:1], v0, -1
	v_add_u32_e32 v2, 19, v23
	v_lshlrev_b64 v[34:35], v2, 1
	v_bfi_b32 v1, v1, 0, 0
	v_bfi_b32 v0, v0, 0, v20
	v_cmp_eq_u64_e64 s[40:41], v[0:1], v[34:35]
	v_lshrrev_b64 v[0:1], v23, v[20:21]
	v_mov_b32_e32 v2, v1
	v_mov_b32_e32 v1, v0
	s_and_saveexec_b64 s[50:51], s[40:41]
; %bb.9180:                             ;   in Loop: Header=BB6_9000 Depth=3
	v_bfe_u32 v1, v0, 20, 1
	v_add_co_u32_e64 v1, s[40:41], v0, v1
	v_add_co_u32_e64 v1, s[40:41], -1, v1
; %bb.9181:                             ;   in Loop: Header=BB6_9000 Depth=3
	s_or_b64 exec, exec, s[50:51]
	v_add_u32_e32 v2, 0xffffff81, v7
	v_mov_b32_e32 v7, 0xffffff82
	v_cndmask_b32_e64 v2, v2, v7, s[28:29]
	v_lshrrev_b32_e32 v7, 23, v0
	v_add3_u32 v23, v23, v2, v7
	v_add_u32_e32 v7, 6, v23
	v_and_b32_e32 v1, 0xfffff, v1
	v_add_u32_e32 v20, v1, v0
	v_cmp_ne_u32_e64 s[28:29], 0, v7
                                        ; implicit-def: $vgpr0_vgpr1
                                        ; implicit-def: $vgpr2
	s_and_saveexec_b64 s[40:41], s[28:29]
	s_xor_b64 s[40:41], exec, s[40:41]
; %bb.9182:                             ;   in Loop: Header=BB6_9000 Depth=3
	v_cmp_lt_u64_e64 s[28:29], s[88:89], v[20:21]
	v_add_u32_e32 v0, 7, v23
	v_cndmask_b32_e64 v2, v7, v0, s[28:29]
	v_cndmask_b32_e64 v0, 0, 1, s[28:29]
	v_lshrrev_b64 v[0:1], v0, v[20:21]
; %bb.9183:                             ;   in Loop: Header=BB6_9000 Depth=3
	s_andn2_saveexec_b64 s[28:29], s[40:41]
; %bb.9184:                             ;   in Loop: Header=BB6_9000 Depth=3
	v_mov_b32_e32 v0, v20
	v_bfe_u32 v2, v20, 23, 1
	v_mov_b32_e32 v1, v21
; %bb.9185:                             ;   in Loop: Header=BB6_9000 Depth=3
	s_or_b64 exec, exec, s[28:29]
	v_lshrrev_b64 v[0:1], 20, v[0:1]
	v_cmp_gt_i32_e64 s[28:29], 16, v2
	v_cndmask_b32_e64 v1, 0, v1, s[28:29]
	v_cndmask_b32_e64 v0, 7, v0, s[28:29]
	v_cmp_eq_u64_e64 s[40:41], 0, v[0:1]
	v_min_i32_e32 v1, 15, v2
	v_lshlrev_b32_e32 v1, 3, v1
	v_cmp_eq_u32_e64 s[28:29], 0, v2
	v_and_b32_e32 v1, 0xf8, v1
	v_and_or_b32 v0, v0, 7, v1
	s_and_b64 s[28:29], s[28:29], s[40:41]
	v_cndmask_b32_e64 v0, v0, 0, s[28:29]
	v_or_b32_e32 v7, v0, v22
.LBB6_9186:                             ;   in Loop: Header=BB6_9000 Depth=3
	s_or_b64 exec, exec, s[48:49]
                                        ; implicit-def: $vgpr22
.LBB6_9187:                             ;   in Loop: Header=BB6_9000 Depth=3
	s_andn2_saveexec_b64 s[28:29], s[38:39]
; %bb.9188:                             ;   in Loop: Header=BB6_9000 Depth=3
	v_or_b32_e32 v7, 0x7e, v22
; %bb.9189:                             ;   in Loop: Header=BB6_9000 Depth=3
	s_or_b64 exec, exec, s[28:29]
                                        ; implicit-def: $vgpr0
.LBB6_9190:                             ;   in Loop: Header=BB6_9000 Depth=3
	s_andn2_saveexec_b64 s[28:29], s[36:37]
; %bb.9191:                             ;   in Loop: Header=BB6_9000 Depth=3
	v_or_b32_sdwa v7, v0, s81 dst_sel:DWORD dst_unused:UNUSED_PAD src0_sel:BYTE_3 src1_sel:DWORD
; %bb.9192:                             ;   in Loop: Header=BB6_9000 Depth=3
	s_or_b64 exec, exec, s[28:29]
	v_cmp_lt_u64_e64 s[28:29], s[56:57], v[12:13]
	v_mov_b32_e32 v1, 0
	s_and_saveexec_b64 s[40:41], s[28:29]
	s_cbranch_execz .LBB6_9198
; %bb.9193:                             ;   in Loop: Header=BB6_9000 Depth=3
	v_lshrrev_b32_e32 v0, 24, v13
	v_cmp_ne_u32_e64 s[28:29], s80, v0
	v_bfrev_b32_e32 v1, 1
	s_and_saveexec_b64 s[36:37], s[28:29]
	s_cbranch_execz .LBB6_9197
; %bb.9194:                             ;   in Loop: Header=BB6_9000 Depth=3
	v_bfe_u32 v2, v13, 24, 7
	v_cmp_ne_u32_e64 s[28:29], s81, v2
	v_mov_b32_e32 v1, 0x7f800001
	s_and_saveexec_b64 s[38:39], s[28:29]
	s_cbranch_execz .LBB6_9196
; %bb.9195:                             ;   in Loop: Header=BB6_9000 Depth=3
	v_and_b32_e32 v12, 7, v0
	v_ffbh_u32_e32 v1, v12
	v_min_u32_e32 v20, 32, v1
	v_subrev_u32_e32 v1, 28, v20
	v_lshrrev_b32_e32 v13, 3, v2
	v_cmp_gt_u32_e64 s[28:29], 8, v2
	v_lshlrev_b64 v[1:2], v1, v[0:1]
	v_sub_u32_e32 v2, 29, v20
	v_and_b32_e32 v1, 7, v1
	v_cndmask_b32_e64 v2, v13, v2, s[28:29]
	v_cndmask_b32_e64 v1, v12, v1, s[28:29]
	v_lshlrev_b32_e32 v0, 24, v0
	v_bfrev_b32_e32 v12, 60
	v_lshlrev_b32_e32 v1, 20, v1
	v_and_b32_e32 v0, 0x80000000, v0
	v_lshl_add_u32 v2, v2, 23, v12
	v_or3_b32 v1, v0, v2, v1
.LBB6_9196:                             ;   in Loop: Header=BB6_9000 Depth=3
	s_or_b64 exec, exec, s[38:39]
.LBB6_9197:                             ;   in Loop: Header=BB6_9000 Depth=3
	s_or_b64 exec, exec, s[36:37]
.LBB6_9198:                             ;   in Loop: Header=BB6_9000 Depth=3
	s_or_b64 exec, exec, s[40:41]
	v_bfe_u32 v2, v9, 24, 3
	v_ffbh_u32_e32 v12, v2
	v_min_u32_e32 v23, 32, v12
	v_lshrrev_b32_e32 v0, 24, v9
	v_subrev_u32_e32 v12, 28, v23
	v_lshlrev_b64 v[12:13], v12, v[0:1]
	v_bfe_u32 v20, v9, 24, 7
	v_bfe_u32 v22, v0, 3, 4
	v_sub_u32_e32 v13, 29, v23
	v_and_b32_e32 v12, 7, v12
	v_cmp_gt_u32_e64 s[28:29], 8, v20
	v_cndmask_b32_e64 v13, v22, v13, s[28:29]
	v_cndmask_b32_e64 v2, v2, v12, s[28:29]
	v_bfrev_b32_e32 v22, 60
	v_lshlrev_b32_e32 v2, 20, v2
	v_and_b32_e32 v12, 0x80000000, v9
	v_lshl_add_u32 v13, v13, 23, v22
	v_or3_b32 v2, v12, v13, v2
	v_cmp_ne_u32_e64 s[28:29], s81, v20
	v_mov_b32_e32 v12, 0x7f800001
	v_cndmask_b32_e64 v2, v12, v2, s[28:29]
	v_cmp_ne_u32_e64 s[28:29], s80, v0
	v_bfrev_b32_e32 v0, 1
	v_cndmask_b32_e64 v0, v0, v2, s[28:29]
	v_cmp_lt_u64_e64 s[28:29], s[56:57], v[8:9]
                                        ; implicit-def: $vgpr22
	v_cndmask_b32_e64 v0, 0, v0, s[28:29]
	v_mul_f32_e32 v0, v0, v1
	v_and_b32_e32 v20, 0x7f800000, v0
	v_cmp_ne_u64_e64 s[28:29], s[62:63], v[20:21]
	s_and_saveexec_b64 s[40:41], s[28:29]
	s_xor_b64 s[36:37], exec, s[40:41]
	s_cbranch_execz .LBB6_9212
; %bb.9199:                             ;   in Loop: Header=BB6_9000 Depth=3
	v_and_b32_e32 v20, 0x7fffffff, v0
	v_cmp_gt_u64_e64 s[28:29], s[78:79], v[20:21]
	v_and_b32_sdwa v8, v0, s80 dst_sel:DWORD dst_unused:UNUSED_PAD src0_sel:BYTE_3 src1_sel:DWORD
                                        ; implicit-def: $vgpr22
	s_and_saveexec_b64 s[40:41], s[28:29]
	s_xor_b64 s[38:39], exec, s[40:41]
	s_cbranch_execz .LBB6_9209
; %bb.9200:                             ;   in Loop: Header=BB6_9000 Depth=3
	v_mov_b32_e32 v22, 0
	v_cmp_ne_u32_e64 s[28:29], 0, v0
	s_and_saveexec_b64 s[48:49], s[28:29]
	s_cbranch_execz .LBB6_9208
; %bb.9201:                             ;   in Loop: Header=BB6_9000 Depth=3
	v_bfe_u32 v9, v0, 23, 8
	v_and_b32_e32 v1, 0x7fffff, v0
	v_cmp_gt_u32_e64 s[40:41], s47, v9
	v_sub_u32_e32 v0, 0x79, v9
	v_cmp_eq_u32_e64 s[28:29], 0, v9
	v_cndmask_b32_e64 v0, 0, v0, s[40:41]
	v_mov_b32_e32 v12, 0x78
	v_cndmask_b32_e64 v12, v0, v12, s[28:29]
	v_or_b32_e32 v2, 0x800000, v1
	v_add_u32_e32 v0, 20, v12
	v_cndmask_b32_e64 v20, v2, v1, s[28:29]
	v_lshlrev_b64 v[0:1], v0, -1
	v_add_u32_e32 v2, 19, v12
	v_lshlrev_b64 v[22:23], v2, 1
	v_bfi_b32 v1, v1, 0, 0
	v_bfi_b32 v0, v0, 0, v20
	v_cmp_eq_u64_e64 s[40:41], v[0:1], v[22:23]
	v_lshrrev_b64 v[0:1], v12, v[20:21]
	v_mov_b32_e32 v2, v1
	v_mov_b32_e32 v1, v0
	s_and_saveexec_b64 s[50:51], s[40:41]
; %bb.9202:                             ;   in Loop: Header=BB6_9000 Depth=3
	v_bfe_u32 v1, v0, 20, 1
	v_add_co_u32_e64 v1, s[40:41], v0, v1
	v_add_co_u32_e64 v1, s[40:41], -1, v1
; %bb.9203:                             ;   in Loop: Header=BB6_9000 Depth=3
	s_or_b64 exec, exec, s[50:51]
	v_add_u32_e32 v2, 0xffffff81, v9
	v_mov_b32_e32 v9, 0xffffff82
	v_cndmask_b32_e64 v2, v2, v9, s[28:29]
	v_lshrrev_b32_e32 v9, 23, v0
	v_add3_u32 v12, v12, v2, v9
	v_add_u32_e32 v9, 6, v12
	v_and_b32_e32 v1, 0xfffff, v1
	v_add_u32_e32 v20, v1, v0
	v_cmp_ne_u32_e64 s[28:29], 0, v9
                                        ; implicit-def: $vgpr0_vgpr1
                                        ; implicit-def: $vgpr2
	s_and_saveexec_b64 s[40:41], s[28:29]
	s_xor_b64 s[40:41], exec, s[40:41]
; %bb.9204:                             ;   in Loop: Header=BB6_9000 Depth=3
	v_cmp_lt_u64_e64 s[28:29], s[88:89], v[20:21]
	v_add_u32_e32 v0, 7, v12
	v_cndmask_b32_e64 v2, v9, v0, s[28:29]
	v_cndmask_b32_e64 v0, 0, 1, s[28:29]
	v_lshrrev_b64 v[0:1], v0, v[20:21]
; %bb.9205:                             ;   in Loop: Header=BB6_9000 Depth=3
	s_andn2_saveexec_b64 s[28:29], s[40:41]
; %bb.9206:                             ;   in Loop: Header=BB6_9000 Depth=3
	v_mov_b32_e32 v0, v20
	v_bfe_u32 v2, v20, 23, 1
	v_mov_b32_e32 v1, v21
; %bb.9207:                             ;   in Loop: Header=BB6_9000 Depth=3
	s_or_b64 exec, exec, s[28:29]
	v_lshrrev_b64 v[0:1], 20, v[0:1]
	v_cmp_gt_i32_e64 s[28:29], 16, v2
	v_cndmask_b32_e64 v1, 0, v1, s[28:29]
	v_cndmask_b32_e64 v0, 7, v0, s[28:29]
	v_cmp_eq_u64_e64 s[40:41], 0, v[0:1]
	v_min_i32_e32 v1, 15, v2
	v_lshlrev_b32_e32 v1, 3, v1
	v_cmp_eq_u32_e64 s[28:29], 0, v2
	v_and_b32_e32 v1, 0xf8, v1
	v_and_or_b32 v0, v0, 7, v1
	s_and_b64 s[28:29], s[28:29], s[40:41]
	v_cndmask_b32_e64 v0, v0, 0, s[28:29]
	v_or_b32_e32 v22, v0, v8
.LBB6_9208:                             ;   in Loop: Header=BB6_9000 Depth=3
	s_or_b64 exec, exec, s[48:49]
                                        ; implicit-def: $vgpr8
.LBB6_9209:                             ;   in Loop: Header=BB6_9000 Depth=3
	s_andn2_saveexec_b64 s[28:29], s[38:39]
; %bb.9210:                             ;   in Loop: Header=BB6_9000 Depth=3
	v_or_b32_e32 v22, 0x7e, v8
; %bb.9211:                             ;   in Loop: Header=BB6_9000 Depth=3
	s_or_b64 exec, exec, s[28:29]
                                        ; implicit-def: $vgpr0
.LBB6_9212:                             ;   in Loop: Header=BB6_9000 Depth=3
	s_andn2_saveexec_b64 s[28:29], s[36:37]
; %bb.9213:                             ;   in Loop: Header=BB6_9000 Depth=3
	v_or_b32_sdwa v22, v0, s81 dst_sel:DWORD dst_unused:UNUSED_PAD src0_sel:BYTE_3 src1_sel:DWORD
; %bb.9214:                             ;   in Loop: Header=BB6_9000 Depth=3
	s_or_b64 exec, exec, s[28:29]
	v_cmp_ne_u16_sdwa s[28:29], v14, v21 src0_sel:BYTE_0 src1_sel:DWORD
	v_mov_b32_e32 v0, 0
	s_and_saveexec_b64 s[40:41], s[28:29]
	s_cbranch_execz .LBB6_9220
; %bb.9215:                             ;   in Loop: Header=BB6_9000 Depth=3
	v_cmp_ne_u16_sdwa s[28:29], v14, s80 src0_sel:BYTE_0 src1_sel:DWORD
	v_bfrev_b32_e32 v0, 1
	s_and_saveexec_b64 s[36:37], s[28:29]
	s_cbranch_execz .LBB6_9219
; %bb.9216:                             ;   in Loop: Header=BB6_9000 Depth=3
	v_and_b32_e32 v1, 0x7f, v14
	v_cmp_ne_u32_e64 s[28:29], s81, v1
	v_mov_b32_e32 v0, 0x7f800001
	s_and_saveexec_b64 s[38:39], s[28:29]
	s_cbranch_execz .LBB6_9218
; %bb.9217:                             ;   in Loop: Header=BB6_9000 Depth=3
	v_and_b32_e32 v0, 7, v14
	v_ffbh_u32_e32 v0, v0
	v_min_u32_e32 v0, 32, v0
	v_lshrrev_b32_e32 v2, 3, v1
	v_cmp_gt_u32_e64 s[28:29], 8, v1
	v_subrev_u32_e32 v1, 28, v0
	v_sub_u32_e32 v0, 29, v0
	v_cndmask_b32_e64 v2, v2, v0, s[28:29]
	v_cndmask_b32_e64 v0, 0, v1, s[28:29]
	v_lshlrev_b64 v[0:1], v0, v[14:15]
	v_lshlrev_b32_e32 v1, 24, v14
	v_lshlrev_b32_e32 v0, 20, v0
	v_bfrev_b32_e32 v8, 60
	v_and_b32_e32 v0, 0x700000, v0
	v_and_b32_e32 v1, 0x80000000, v1
	v_lshl_add_u32 v2, v2, 23, v8
	v_or3_b32 v0, v1, v2, v0
.LBB6_9218:                             ;   in Loop: Header=BB6_9000 Depth=3
	s_or_b64 exec, exec, s[38:39]
.LBB6_9219:                             ;   in Loop: Header=BB6_9000 Depth=3
	s_or_b64 exec, exec, s[36:37]
.LBB6_9220:                             ;   in Loop: Header=BB6_9000 Depth=3
	s_or_b64 exec, exec, s[40:41]
	v_cmp_gt_i16_sdwa s[40:41], v10, s81 src0_sel:BYTE_0 src1_sel:DWORD
	s_mov_b64 s[28:29], 0
	s_and_saveexec_b64 s[36:37], s[40:41]
	s_xor_b64 s[40:41], exec, s[36:37]
	s_cbranch_execz .LBB6_9438
; %bb.9221:                             ;   in Loop: Header=BB6_9000 Depth=3
	v_cmp_eq_u16_sdwa s[38:39], v10, s80 src0_sel:BYTE_0 src1_sel:DWORD
	s_mov_b64 s[28:29], -1
	s_and_saveexec_b64 s[36:37], s[38:39]
; %bb.9222:                             ;   in Loop: Header=BB6_9000 Depth=3
	s_xor_b64 s[28:29], exec, -1
; %bb.9223:                             ;   in Loop: Header=BB6_9000 Depth=3
	s_or_b64 exec, exec, s[36:37]
	s_and_b64 s[28:29], s[28:29], exec
	s_or_saveexec_b64 s[40:41], s[40:41]
	v_bfrev_b32_e32 v1, 1
	s_xor_b64 exec, exec, s[40:41]
	s_cbranch_execnz .LBB6_9439
.LBB6_9224:                             ;   in Loop: Header=BB6_9000 Depth=3
	s_or_b64 exec, exec, s[40:41]
	s_and_saveexec_b64 s[40:41], s[28:29]
	s_cbranch_execz .LBB6_9226
.LBB6_9225:                             ;   in Loop: Header=BB6_9000 Depth=3
	v_and_b32_e32 v1, 7, v10
	v_ffbh_u32_e32 v1, v1
	v_and_b32_e32 v8, 0x7f, v10
	v_min_u32_e32 v1, 32, v1
	v_bfe_u32 v2, v10, 3, 4
	v_subrev_u32_e32 v9, 28, v1
	v_sub_u32_e32 v1, 29, v1
	v_cmp_gt_u32_e64 s[28:29], 8, v8
	v_cndmask_b32_e64 v12, v2, v1, s[28:29]
	v_cndmask_b32_e64 v1, 0, v9, s[28:29]
	v_lshlrev_b64 v[1:2], v1, v[10:11]
	v_lshlrev_b32_e32 v2, 24, v10
	v_lshlrev_b32_e32 v1, 20, v1
	v_bfrev_b32_e32 v9, 60
	v_and_b32_e32 v1, 0x700000, v1
	v_and_b32_e32 v2, 0x80000000, v2
	v_lshl_add_u32 v9, v12, 23, v9
	v_or3_b32 v1, v2, v9, v1
	v_cmp_ne_u32_e64 s[28:29], s81, v8
	v_mov_b32_e32 v2, 0x7f800001
	v_cndmask_b32_e64 v1, v2, v1, s[28:29]
.LBB6_9226:                             ;   in Loop: Header=BB6_9000 Depth=3
	s_or_b64 exec, exec, s[40:41]
	v_mul_f32_e32 v0, v0, v1
	v_and_b32_e32 v20, 0x7f800000, v0
	v_cmp_ne_u64_e64 s[28:29], s[62:63], v[20:21]
                                        ; implicit-def: $vgpr23
	s_and_saveexec_b64 s[40:41], s[28:29]
	s_xor_b64 s[36:37], exec, s[40:41]
	s_cbranch_execz .LBB6_9240
; %bb.9227:                             ;   in Loop: Header=BB6_9000 Depth=3
	v_and_b32_e32 v20, 0x7fffffff, v0
	v_cmp_gt_u64_e64 s[28:29], s[78:79], v[20:21]
	v_and_b32_sdwa v8, v0, s80 dst_sel:DWORD dst_unused:UNUSED_PAD src0_sel:BYTE_3 src1_sel:DWORD
                                        ; implicit-def: $vgpr23
	s_and_saveexec_b64 s[40:41], s[28:29]
	s_xor_b64 s[38:39], exec, s[40:41]
	s_cbranch_execz .LBB6_9237
; %bb.9228:                             ;   in Loop: Header=BB6_9000 Depth=3
	v_mov_b32_e32 v23, 0
	v_cmp_ne_u32_e64 s[28:29], 0, v0
	s_and_saveexec_b64 s[48:49], s[28:29]
	s_cbranch_execz .LBB6_9236
; %bb.9229:                             ;   in Loop: Header=BB6_9000 Depth=3
	v_bfe_u32 v9, v0, 23, 8
	v_and_b32_e32 v1, 0x7fffff, v0
	v_cmp_gt_u32_e64 s[40:41], s47, v9
	v_sub_u32_e32 v0, 0x79, v9
	v_cmp_eq_u32_e64 s[28:29], 0, v9
	v_cndmask_b32_e64 v0, 0, v0, s[40:41]
	v_mov_b32_e32 v12, 0x78
	v_cndmask_b32_e64 v12, v0, v12, s[28:29]
	v_or_b32_e32 v2, 0x800000, v1
	v_add_u32_e32 v0, 20, v12
	v_cndmask_b32_e64 v20, v2, v1, s[28:29]
	v_lshlrev_b64 v[0:1], v0, -1
	v_add_u32_e32 v2, 19, v12
	v_lshlrev_b64 v[34:35], v2, 1
	v_bfi_b32 v1, v1, 0, 0
	v_bfi_b32 v0, v0, 0, v20
	v_cmp_eq_u64_e64 s[40:41], v[0:1], v[34:35]
	v_lshrrev_b64 v[0:1], v12, v[20:21]
	v_mov_b32_e32 v2, v1
	v_mov_b32_e32 v1, v0
	s_and_saveexec_b64 s[50:51], s[40:41]
; %bb.9230:                             ;   in Loop: Header=BB6_9000 Depth=3
	v_bfe_u32 v1, v0, 20, 1
	v_add_co_u32_e64 v1, s[40:41], v0, v1
	v_add_co_u32_e64 v1, s[40:41], -1, v1
; %bb.9231:                             ;   in Loop: Header=BB6_9000 Depth=3
	s_or_b64 exec, exec, s[50:51]
	v_add_u32_e32 v2, 0xffffff81, v9
	v_mov_b32_e32 v9, 0xffffff82
	v_cndmask_b32_e64 v2, v2, v9, s[28:29]
	v_lshrrev_b32_e32 v9, 23, v0
	v_add3_u32 v12, v12, v2, v9
	v_add_u32_e32 v9, 6, v12
	v_and_b32_e32 v1, 0xfffff, v1
	v_add_u32_e32 v20, v1, v0
	v_cmp_ne_u32_e64 s[28:29], 0, v9
                                        ; implicit-def: $vgpr0_vgpr1
                                        ; implicit-def: $vgpr2
	s_and_saveexec_b64 s[40:41], s[28:29]
	s_xor_b64 s[40:41], exec, s[40:41]
; %bb.9232:                             ;   in Loop: Header=BB6_9000 Depth=3
	v_cmp_lt_u64_e64 s[28:29], s[88:89], v[20:21]
	v_add_u32_e32 v0, 7, v12
	v_cndmask_b32_e64 v2, v9, v0, s[28:29]
	v_cndmask_b32_e64 v0, 0, 1, s[28:29]
	v_lshrrev_b64 v[0:1], v0, v[20:21]
; %bb.9233:                             ;   in Loop: Header=BB6_9000 Depth=3
	s_andn2_saveexec_b64 s[28:29], s[40:41]
; %bb.9234:                             ;   in Loop: Header=BB6_9000 Depth=3
	v_mov_b32_e32 v0, v20
	v_bfe_u32 v2, v20, 23, 1
	v_mov_b32_e32 v1, v21
; %bb.9235:                             ;   in Loop: Header=BB6_9000 Depth=3
	s_or_b64 exec, exec, s[28:29]
	v_lshrrev_b64 v[0:1], 20, v[0:1]
	v_cmp_gt_i32_e64 s[28:29], 16, v2
	v_cndmask_b32_e64 v1, 0, v1, s[28:29]
	v_cndmask_b32_e64 v0, 7, v0, s[28:29]
	v_cmp_eq_u64_e64 s[40:41], 0, v[0:1]
	v_min_i32_e32 v1, 15, v2
	v_lshlrev_b32_e32 v1, 3, v1
	v_cmp_eq_u32_e64 s[28:29], 0, v2
	v_and_b32_e32 v1, 0xf8, v1
	v_and_or_b32 v0, v0, 7, v1
	s_and_b64 s[28:29], s[28:29], s[40:41]
	v_cndmask_b32_e64 v0, v0, 0, s[28:29]
	v_or_b32_e32 v23, v0, v8
.LBB6_9236:                             ;   in Loop: Header=BB6_9000 Depth=3
	s_or_b64 exec, exec, s[48:49]
                                        ; implicit-def: $vgpr8
.LBB6_9237:                             ;   in Loop: Header=BB6_9000 Depth=3
	s_andn2_saveexec_b64 s[28:29], s[38:39]
; %bb.9238:                             ;   in Loop: Header=BB6_9000 Depth=3
	v_or_b32_e32 v23, 0x7e, v8
; %bb.9239:                             ;   in Loop: Header=BB6_9000 Depth=3
	s_or_b64 exec, exec, s[28:29]
                                        ; implicit-def: $vgpr0
.LBB6_9240:                             ;   in Loop: Header=BB6_9000 Depth=3
	s_andn2_saveexec_b64 s[28:29], s[36:37]
; %bb.9241:                             ;   in Loop: Header=BB6_9000 Depth=3
	v_or_b32_sdwa v23, v0, s81 dst_sel:DWORD dst_unused:UNUSED_PAD src0_sel:BYTE_3 src1_sel:DWORD
; %bb.9242:                             ;   in Loop: Header=BB6_9000 Depth=3
	s_or_b64 exec, exec, s[28:29]
	v_lshrrev_b16_e32 v0, 8, v14
	v_cmp_ne_u16_e64 s[28:29], 0, v0
	v_mov_b32_e32 v1, 0
	s_and_saveexec_b64 s[40:41], s[28:29]
	s_cbranch_execz .LBB6_9248
; %bb.9243:                             ;   in Loop: Header=BB6_9000 Depth=3
	v_cmp_ne_u16_e64 s[28:29], s80, v0
	v_bfrev_b32_e32 v1, 1
	s_and_saveexec_b64 s[36:37], s[28:29]
	s_cbranch_execz .LBB6_9247
; %bb.9244:                             ;   in Loop: Header=BB6_9000 Depth=3
	v_and_b32_e32 v2, 0x7f, v0
	v_cmp_ne_u32_e64 s[28:29], s81, v2
	v_mov_b32_e32 v1, 0x7f800001
	s_and_saveexec_b64 s[38:39], s[28:29]
	s_cbranch_execz .LBB6_9246
; %bb.9245:                             ;   in Loop: Header=BB6_9000 Depth=3
	v_and_b32_e32 v8, 7, v0
	v_ffbh_u32_e32 v1, v8
	v_lshrrev_b32_e32 v9, 3, v2
	v_cmp_gt_u32_e64 s[28:29], 8, v2
	v_min_u32_e32 v2, 32, v1
	v_subrev_u32_e32 v1, 28, v2
	v_lshlrev_b64 v[0:1], v1, v[0:1]
	v_sub_u32_e32 v1, 29, v2
	v_and_b32_e32 v0, 7, v0
	v_cndmask_b32_e64 v1, v9, v1, s[28:29]
	v_cndmask_b32_e64 v0, v8, v0, s[28:29]
	v_lshlrev_b32_e32 v2, 16, v14
	v_bfrev_b32_e32 v8, 60
	v_lshlrev_b32_e32 v0, 20, v0
	v_and_b32_e32 v2, 0x80000000, v2
	v_lshl_add_u32 v1, v1, 23, v8
	v_or3_b32 v1, v2, v1, v0
.LBB6_9246:                             ;   in Loop: Header=BB6_9000 Depth=3
	s_or_b64 exec, exec, s[38:39]
.LBB6_9247:                             ;   in Loop: Header=BB6_9000 Depth=3
	s_or_b64 exec, exec, s[36:37]
.LBB6_9248:                             ;   in Loop: Header=BB6_9000 Depth=3
	s_or_b64 exec, exec, s[40:41]
	v_lshrrev_b16_e32 v20, 8, v10
	v_cmp_lt_i16_e64 s[28:29], s81, v20
	s_mov_b64 s[40:41], 0
	s_and_saveexec_b64 s[36:37], s[28:29]
	s_xor_b64 s[36:37], exec, s[36:37]
	s_cbranch_execz .LBB6_9440
; %bb.9249:                             ;   in Loop: Header=BB6_9000 Depth=3
	v_cmp_eq_u16_e64 s[28:29], s80, v20
	s_mov_b64 s[40:41], -1
	s_and_saveexec_b64 s[38:39], s[28:29]
; %bb.9250:                             ;   in Loop: Header=BB6_9000 Depth=3
	s_xor_b64 s[40:41], exec, -1
; %bb.9251:                             ;   in Loop: Header=BB6_9000 Depth=3
	s_or_b64 exec, exec, s[38:39]
	s_and_b64 s[40:41], s[40:41], exec
	s_or_saveexec_b64 s[36:37], s[36:37]
	v_bfrev_b32_e32 v0, 1
	s_xor_b64 exec, exec, s[36:37]
	s_cbranch_execnz .LBB6_9441
.LBB6_9252:                             ;   in Loop: Header=BB6_9000 Depth=3
	s_or_b64 exec, exec, s[36:37]
	s_and_saveexec_b64 s[36:37], s[40:41]
	s_cbranch_execz .LBB6_9254
.LBB6_9253:                             ;   in Loop: Header=BB6_9000 Depth=3
	v_and_b32_e32 v0, 7, v20
	v_ffbh_u32_e32 v8, v0
	v_min_u32_e32 v13, 32, v8
	v_subrev_u32_e32 v8, 28, v13
	v_lshlrev_b64 v[8:9], v8, v[20:21]
	v_and_b32_e32 v2, 0x7f, v20
	v_bfe_u32 v12, v20, 3, 4
	v_sub_u32_e32 v9, 29, v13
	v_and_b32_e32 v8, 7, v8
	v_cmp_gt_u32_e64 s[28:29], 8, v2
	v_cndmask_b32_e64 v9, v12, v9, s[28:29]
	v_cndmask_b32_e64 v0, v0, v8, s[28:29]
	v_lshlrev_b32_e32 v8, 24, v20
	v_bfrev_b32_e32 v12, 60
	v_lshlrev_b32_e32 v0, 20, v0
	v_and_b32_e32 v8, 0x80000000, v8
	v_lshl_add_u32 v9, v9, 23, v12
	v_or3_b32 v0, v8, v9, v0
	v_cmp_ne_u32_e64 s[28:29], s81, v2
	v_mov_b32_e32 v2, 0x7f800001
	v_cndmask_b32_e64 v0, v2, v0, s[28:29]
.LBB6_9254:                             ;   in Loop: Header=BB6_9000 Depth=3
	s_or_b64 exec, exec, s[36:37]
	v_mul_f32_e32 v0, v1, v0
	v_and_b32_e32 v20, 0x7f800000, v0
	v_cmp_ne_u64_e64 s[28:29], s[62:63], v[20:21]
                                        ; implicit-def: $vgpr34
	s_and_saveexec_b64 s[40:41], s[28:29]
	s_xor_b64 s[36:37], exec, s[40:41]
	s_cbranch_execz .LBB6_9268
; %bb.9255:                             ;   in Loop: Header=BB6_9000 Depth=3
	v_and_b32_e32 v20, 0x7fffffff, v0
	v_cmp_gt_u64_e64 s[28:29], s[78:79], v[20:21]
	v_and_b32_sdwa v8, v0, s80 dst_sel:DWORD dst_unused:UNUSED_PAD src0_sel:BYTE_3 src1_sel:DWORD
                                        ; implicit-def: $vgpr34
	s_and_saveexec_b64 s[40:41], s[28:29]
	s_xor_b64 s[38:39], exec, s[40:41]
	s_cbranch_execz .LBB6_9265
; %bb.9256:                             ;   in Loop: Header=BB6_9000 Depth=3
	v_mov_b32_e32 v34, 0
	v_cmp_ne_u32_e64 s[28:29], 0, v0
	s_and_saveexec_b64 s[48:49], s[28:29]
	s_cbranch_execz .LBB6_9264
; %bb.9257:                             ;   in Loop: Header=BB6_9000 Depth=3
	v_bfe_u32 v9, v0, 23, 8
	v_and_b32_e32 v1, 0x7fffff, v0
	v_cmp_gt_u32_e64 s[40:41], s47, v9
	v_sub_u32_e32 v0, 0x79, v9
	v_cmp_eq_u32_e64 s[28:29], 0, v9
	v_cndmask_b32_e64 v0, 0, v0, s[40:41]
	v_mov_b32_e32 v12, 0x78
	v_cndmask_b32_e64 v12, v0, v12, s[28:29]
	v_or_b32_e32 v2, 0x800000, v1
	v_add_u32_e32 v0, 20, v12
	v_cndmask_b32_e64 v20, v2, v1, s[28:29]
	v_lshlrev_b64 v[0:1], v0, -1
	v_add_u32_e32 v2, 19, v12
	v_lshlrev_b64 v[34:35], v2, 1
	v_bfi_b32 v1, v1, 0, 0
	v_bfi_b32 v0, v0, 0, v20
	v_cmp_eq_u64_e64 s[40:41], v[0:1], v[34:35]
	v_lshrrev_b64 v[0:1], v12, v[20:21]
	v_mov_b32_e32 v2, v1
	v_mov_b32_e32 v1, v0
	s_and_saveexec_b64 s[50:51], s[40:41]
; %bb.9258:                             ;   in Loop: Header=BB6_9000 Depth=3
	v_bfe_u32 v1, v0, 20, 1
	v_add_co_u32_e64 v1, s[40:41], v0, v1
	v_add_co_u32_e64 v1, s[40:41], -1, v1
; %bb.9259:                             ;   in Loop: Header=BB6_9000 Depth=3
	s_or_b64 exec, exec, s[50:51]
	v_add_u32_e32 v2, 0xffffff81, v9
	v_mov_b32_e32 v9, 0xffffff82
	v_cndmask_b32_e64 v2, v2, v9, s[28:29]
	v_lshrrev_b32_e32 v9, 23, v0
	v_add3_u32 v12, v12, v2, v9
	v_add_u32_e32 v9, 6, v12
	v_and_b32_e32 v1, 0xfffff, v1
	v_add_u32_e32 v20, v1, v0
	v_cmp_ne_u32_e64 s[28:29], 0, v9
                                        ; implicit-def: $vgpr0_vgpr1
                                        ; implicit-def: $vgpr2
	s_and_saveexec_b64 s[40:41], s[28:29]
	s_xor_b64 s[40:41], exec, s[40:41]
; %bb.9260:                             ;   in Loop: Header=BB6_9000 Depth=3
	v_cmp_lt_u64_e64 s[28:29], s[88:89], v[20:21]
	v_add_u32_e32 v0, 7, v12
	v_cndmask_b32_e64 v2, v9, v0, s[28:29]
	v_cndmask_b32_e64 v0, 0, 1, s[28:29]
	v_lshrrev_b64 v[0:1], v0, v[20:21]
; %bb.9261:                             ;   in Loop: Header=BB6_9000 Depth=3
	s_andn2_saveexec_b64 s[28:29], s[40:41]
; %bb.9262:                             ;   in Loop: Header=BB6_9000 Depth=3
	v_mov_b32_e32 v0, v20
	v_bfe_u32 v2, v20, 23, 1
	v_mov_b32_e32 v1, v21
; %bb.9263:                             ;   in Loop: Header=BB6_9000 Depth=3
	s_or_b64 exec, exec, s[28:29]
	v_lshrrev_b64 v[0:1], 20, v[0:1]
	v_cmp_gt_i32_e64 s[28:29], 16, v2
	v_cndmask_b32_e64 v1, 0, v1, s[28:29]
	v_cndmask_b32_e64 v0, 7, v0, s[28:29]
	v_cmp_eq_u64_e64 s[40:41], 0, v[0:1]
	v_min_i32_e32 v1, 15, v2
	v_lshlrev_b32_e32 v1, 3, v1
	v_cmp_eq_u32_e64 s[28:29], 0, v2
	v_and_b32_e32 v1, 0xf8, v1
	v_and_or_b32 v0, v0, 7, v1
	s_and_b64 s[28:29], s[28:29], s[40:41]
	v_cndmask_b32_e64 v0, v0, 0, s[28:29]
	v_or_b32_e32 v34, v0, v8
.LBB6_9264:                             ;   in Loop: Header=BB6_9000 Depth=3
	s_or_b64 exec, exec, s[48:49]
                                        ; implicit-def: $vgpr8
.LBB6_9265:                             ;   in Loop: Header=BB6_9000 Depth=3
	s_andn2_saveexec_b64 s[28:29], s[38:39]
; %bb.9266:                             ;   in Loop: Header=BB6_9000 Depth=3
	v_or_b32_e32 v34, 0x7e, v8
; %bb.9267:                             ;   in Loop: Header=BB6_9000 Depth=3
	s_or_b64 exec, exec, s[28:29]
                                        ; implicit-def: $vgpr0
.LBB6_9268:                             ;   in Loop: Header=BB6_9000 Depth=3
	s_andn2_saveexec_b64 s[28:29], s[36:37]
; %bb.9269:                             ;   in Loop: Header=BB6_9000 Depth=3
	v_or_b32_sdwa v34, v0, s81 dst_sel:DWORD dst_unused:UNUSED_PAD src0_sel:BYTE_3 src1_sel:DWORD
; %bb.9270:                             ;   in Loop: Header=BB6_9000 Depth=3
	s_or_b64 exec, exec, s[28:29]
	v_lshrrev_b32_e32 v0, 16, v14
	v_cmp_ne_u16_sdwa s[28:29], v0, v21 src0_sel:BYTE_0 src1_sel:DWORD
	v_mov_b32_e32 v1, 0
	s_and_saveexec_b64 s[40:41], s[28:29]
	s_cbranch_execz .LBB6_9276
; %bb.9271:                             ;   in Loop: Header=BB6_9000 Depth=3
	v_cmp_ne_u16_sdwa s[28:29], v0, s80 src0_sel:BYTE_0 src1_sel:DWORD
	v_bfrev_b32_e32 v1, 1
	s_and_saveexec_b64 s[36:37], s[28:29]
	s_cbranch_execz .LBB6_9275
; %bb.9272:                             ;   in Loop: Header=BB6_9000 Depth=3
	v_bfe_u32 v2, v14, 16, 7
	v_cmp_ne_u32_e64 s[28:29], s81, v2
	v_mov_b32_e32 v1, 0x7f800001
	s_and_saveexec_b64 s[38:39], s[28:29]
	s_cbranch_execz .LBB6_9274
; %bb.9273:                             ;   in Loop: Header=BB6_9000 Depth=3
	v_and_b32_e32 v8, 7, v0
	v_ffbh_u32_e32 v1, v8
	v_min_u32_e32 v12, 32, v1
	v_subrev_u32_e32 v1, 28, v12
	v_lshrrev_b32_e32 v9, 3, v2
	v_cmp_gt_u32_e64 s[28:29], 8, v2
	v_lshlrev_b64 v[1:2], v1, v[0:1]
	v_sub_u32_e32 v2, 29, v12
	v_and_b32_e32 v1, 7, v1
	v_cndmask_b32_e64 v2, v9, v2, s[28:29]
	v_cndmask_b32_e64 v1, v8, v1, s[28:29]
	v_lshlrev_b32_e32 v0, 24, v0
	v_bfrev_b32_e32 v8, 60
	v_lshlrev_b32_e32 v1, 20, v1
	v_and_b32_e32 v0, 0x80000000, v0
	v_lshl_add_u32 v2, v2, 23, v8
	v_or3_b32 v1, v0, v2, v1
.LBB6_9274:                             ;   in Loop: Header=BB6_9000 Depth=3
	s_or_b64 exec, exec, s[38:39]
.LBB6_9275:                             ;   in Loop: Header=BB6_9000 Depth=3
	s_or_b64 exec, exec, s[36:37]
.LBB6_9276:                             ;   in Loop: Header=BB6_9000 Depth=3
	s_or_b64 exec, exec, s[40:41]
	v_lshrrev_b32_e32 v2, 16, v10
	v_cmp_gt_i16_sdwa s[40:41], v2, s81 src0_sel:BYTE_0 src1_sel:DWORD
	s_mov_b64 s[28:29], 0
	s_and_saveexec_b64 s[36:37], s[40:41]
	s_xor_b64 s[40:41], exec, s[36:37]
	s_cbranch_execz .LBB6_9442
; %bb.9277:                             ;   in Loop: Header=BB6_9000 Depth=3
	v_cmp_eq_u16_sdwa s[38:39], v2, s80 src0_sel:BYTE_0 src1_sel:DWORD
	s_mov_b64 s[28:29], -1
	s_and_saveexec_b64 s[36:37], s[38:39]
; %bb.9278:                             ;   in Loop: Header=BB6_9000 Depth=3
	s_xor_b64 s[28:29], exec, -1
; %bb.9279:                             ;   in Loop: Header=BB6_9000 Depth=3
	s_or_b64 exec, exec, s[36:37]
	s_and_b64 s[28:29], s[28:29], exec
	s_or_saveexec_b64 s[40:41], s[40:41]
	v_bfrev_b32_e32 v0, 1
	s_xor_b64 exec, exec, s[40:41]
	s_cbranch_execnz .LBB6_9443
.LBB6_9280:                             ;   in Loop: Header=BB6_9000 Depth=3
	s_or_b64 exec, exec, s[40:41]
	s_and_saveexec_b64 s[40:41], s[28:29]
	s_cbranch_execz .LBB6_9282
.LBB6_9281:                             ;   in Loop: Header=BB6_9000 Depth=3
	v_and_b32_e32 v0, 7, v2
	v_ffbh_u32_e32 v8, v0
	v_min_u32_e32 v20, 32, v8
	v_subrev_u32_e32 v8, 28, v20
	v_lshlrev_b64 v[8:9], v8, v[2:3]
	v_and_b32_e32 v12, 0x7f, v2
	v_bfe_u32 v13, v2, 3, 4
	v_sub_u32_e32 v9, 29, v20
	v_and_b32_e32 v8, 7, v8
	v_cmp_gt_u32_e64 s[28:29], 8, v12
	v_cndmask_b32_e64 v9, v13, v9, s[28:29]
	v_cndmask_b32_e64 v0, v0, v8, s[28:29]
	v_lshlrev_b32_e32 v2, 24, v2
	v_bfrev_b32_e32 v8, 60
	v_lshlrev_b32_e32 v0, 20, v0
	v_and_b32_e32 v2, 0x80000000, v2
	v_lshl_add_u32 v8, v9, 23, v8
	v_or3_b32 v0, v2, v8, v0
	v_cmp_ne_u32_e64 s[28:29], s81, v12
	v_mov_b32_e32 v2, 0x7f800001
	v_cndmask_b32_e64 v0, v2, v0, s[28:29]
.LBB6_9282:                             ;   in Loop: Header=BB6_9000 Depth=3
	s_or_b64 exec, exec, s[40:41]
	v_mul_f32_e32 v0, v1, v0
	v_and_b32_e32 v20, 0x7f800000, v0
	v_cmp_ne_u64_e64 s[28:29], s[62:63], v[20:21]
                                        ; implicit-def: $vgpr35
	s_and_saveexec_b64 s[40:41], s[28:29]
	s_xor_b64 s[36:37], exec, s[40:41]
	s_cbranch_execz .LBB6_9296
; %bb.9283:                             ;   in Loop: Header=BB6_9000 Depth=3
	v_and_b32_e32 v20, 0x7fffffff, v0
	v_cmp_gt_u64_e64 s[28:29], s[78:79], v[20:21]
	v_and_b32_sdwa v8, v0, s80 dst_sel:DWORD dst_unused:UNUSED_PAD src0_sel:BYTE_3 src1_sel:DWORD
                                        ; implicit-def: $vgpr35
	s_and_saveexec_b64 s[40:41], s[28:29]
	s_xor_b64 s[38:39], exec, s[40:41]
	s_cbranch_execz .LBB6_9293
; %bb.9284:                             ;   in Loop: Header=BB6_9000 Depth=3
	v_mov_b32_e32 v35, 0
	v_cmp_ne_u32_e64 s[28:29], 0, v0
	s_and_saveexec_b64 s[48:49], s[28:29]
	s_cbranch_execz .LBB6_9292
; %bb.9285:                             ;   in Loop: Header=BB6_9000 Depth=3
	v_bfe_u32 v9, v0, 23, 8
	v_and_b32_e32 v1, 0x7fffff, v0
	v_cmp_gt_u32_e64 s[40:41], s47, v9
	v_sub_u32_e32 v0, 0x79, v9
	v_cmp_eq_u32_e64 s[28:29], 0, v9
	v_cndmask_b32_e64 v0, 0, v0, s[40:41]
	v_mov_b32_e32 v12, 0x78
	v_cndmask_b32_e64 v12, v0, v12, s[28:29]
	v_or_b32_e32 v2, 0x800000, v1
	v_add_u32_e32 v0, 20, v12
	v_cndmask_b32_e64 v20, v2, v1, s[28:29]
	v_lshlrev_b64 v[0:1], v0, -1
	v_add_u32_e32 v2, 19, v12
	v_lshlrev_b64 v[35:36], v2, 1
	v_bfi_b32 v1, v1, 0, 0
	v_bfi_b32 v0, v0, 0, v20
	v_cmp_eq_u64_e64 s[40:41], v[0:1], v[35:36]
	v_lshrrev_b64 v[0:1], v12, v[20:21]
	v_mov_b32_e32 v2, v1
	v_mov_b32_e32 v1, v0
	s_and_saveexec_b64 s[50:51], s[40:41]
; %bb.9286:                             ;   in Loop: Header=BB6_9000 Depth=3
	v_bfe_u32 v1, v0, 20, 1
	v_add_co_u32_e64 v1, s[40:41], v0, v1
	v_add_co_u32_e64 v1, s[40:41], -1, v1
; %bb.9287:                             ;   in Loop: Header=BB6_9000 Depth=3
	s_or_b64 exec, exec, s[50:51]
	v_add_u32_e32 v2, 0xffffff81, v9
	v_mov_b32_e32 v9, 0xffffff82
	v_cndmask_b32_e64 v2, v2, v9, s[28:29]
	v_lshrrev_b32_e32 v9, 23, v0
	v_add3_u32 v12, v12, v2, v9
	v_add_u32_e32 v9, 6, v12
	v_and_b32_e32 v1, 0xfffff, v1
	v_add_u32_e32 v20, v1, v0
	v_cmp_ne_u32_e64 s[28:29], 0, v9
                                        ; implicit-def: $vgpr0_vgpr1
                                        ; implicit-def: $vgpr2
	s_and_saveexec_b64 s[40:41], s[28:29]
	s_xor_b64 s[40:41], exec, s[40:41]
; %bb.9288:                             ;   in Loop: Header=BB6_9000 Depth=3
	v_cmp_lt_u64_e64 s[28:29], s[88:89], v[20:21]
	v_add_u32_e32 v0, 7, v12
	v_cndmask_b32_e64 v2, v9, v0, s[28:29]
	v_cndmask_b32_e64 v0, 0, 1, s[28:29]
	v_lshrrev_b64 v[0:1], v0, v[20:21]
; %bb.9289:                             ;   in Loop: Header=BB6_9000 Depth=3
	s_andn2_saveexec_b64 s[28:29], s[40:41]
; %bb.9290:                             ;   in Loop: Header=BB6_9000 Depth=3
	v_mov_b32_e32 v0, v20
	v_bfe_u32 v2, v20, 23, 1
	v_mov_b32_e32 v1, v21
; %bb.9291:                             ;   in Loop: Header=BB6_9000 Depth=3
	s_or_b64 exec, exec, s[28:29]
	v_lshrrev_b64 v[0:1], 20, v[0:1]
	v_cmp_gt_i32_e64 s[28:29], 16, v2
	v_cndmask_b32_e64 v1, 0, v1, s[28:29]
	v_cndmask_b32_e64 v0, 7, v0, s[28:29]
	v_cmp_eq_u64_e64 s[40:41], 0, v[0:1]
	v_min_i32_e32 v1, 15, v2
	v_lshlrev_b32_e32 v1, 3, v1
	v_cmp_eq_u32_e64 s[28:29], 0, v2
	v_and_b32_e32 v1, 0xf8, v1
	v_and_or_b32 v0, v0, 7, v1
	s_and_b64 s[28:29], s[28:29], s[40:41]
	v_cndmask_b32_e64 v0, v0, 0, s[28:29]
	v_or_b32_e32 v35, v0, v8
.LBB6_9292:                             ;   in Loop: Header=BB6_9000 Depth=3
	s_or_b64 exec, exec, s[48:49]
                                        ; implicit-def: $vgpr8
.LBB6_9293:                             ;   in Loop: Header=BB6_9000 Depth=3
	s_andn2_saveexec_b64 s[28:29], s[38:39]
; %bb.9294:                             ;   in Loop: Header=BB6_9000 Depth=3
	v_or_b32_e32 v35, 0x7e, v8
; %bb.9295:                             ;   in Loop: Header=BB6_9000 Depth=3
	s_or_b64 exec, exec, s[28:29]
                                        ; implicit-def: $vgpr0
.LBB6_9296:                             ;   in Loop: Header=BB6_9000 Depth=3
	s_andn2_saveexec_b64 s[28:29], s[36:37]
; %bb.9297:                             ;   in Loop: Header=BB6_9000 Depth=3
	v_or_b32_sdwa v35, v0, s81 dst_sel:DWORD dst_unused:UNUSED_PAD src0_sel:BYTE_3 src1_sel:DWORD
; %bb.9298:                             ;   in Loop: Header=BB6_9000 Depth=3
	s_or_b64 exec, exec, s[28:29]
	v_cmp_lt_u32_e64 s[28:29], s57, v14
	v_mov_b32_e32 v1, 0
	s_and_saveexec_b64 s[40:41], s[28:29]
	s_cbranch_execz .LBB6_9304
; %bb.9299:                             ;   in Loop: Header=BB6_9000 Depth=3
	v_lshrrev_b32_e32 v0, 24, v14
	v_cmp_ne_u32_e64 s[28:29], s80, v0
	v_bfrev_b32_e32 v1, 1
	s_and_saveexec_b64 s[36:37], s[28:29]
	s_cbranch_execz .LBB6_9303
; %bb.9300:                             ;   in Loop: Header=BB6_9000 Depth=3
	v_bfe_u32 v2, v14, 24, 7
	v_cmp_ne_u32_e64 s[28:29], s81, v2
	v_mov_b32_e32 v1, 0x7f800001
	s_and_saveexec_b64 s[38:39], s[28:29]
	s_cbranch_execz .LBB6_9302
; %bb.9301:                             ;   in Loop: Header=BB6_9000 Depth=3
	v_and_b32_e32 v8, 7, v0
	v_ffbh_u32_e32 v1, v8
	v_min_u32_e32 v12, 32, v1
	v_subrev_u32_e32 v1, 28, v12
	v_lshrrev_b32_e32 v9, 3, v2
	v_cmp_gt_u32_e64 s[28:29], 8, v2
	v_lshlrev_b64 v[1:2], v1, v[0:1]
	v_sub_u32_e32 v2, 29, v12
	v_and_b32_e32 v1, 7, v1
	v_cndmask_b32_e64 v2, v9, v2, s[28:29]
	v_cndmask_b32_e64 v1, v8, v1, s[28:29]
	v_lshlrev_b32_e32 v0, 24, v0
	v_bfrev_b32_e32 v8, 60
	v_lshlrev_b32_e32 v1, 20, v1
	v_and_b32_e32 v0, 0x80000000, v0
	v_lshl_add_u32 v2, v2, 23, v8
	v_or3_b32 v1, v0, v2, v1
.LBB6_9302:                             ;   in Loop: Header=BB6_9000 Depth=3
	s_or_b64 exec, exec, s[38:39]
.LBB6_9303:                             ;   in Loop: Header=BB6_9000 Depth=3
	s_or_b64 exec, exec, s[36:37]
.LBB6_9304:                             ;   in Loop: Header=BB6_9000 Depth=3
	s_or_b64 exec, exec, s[40:41]
	v_bfe_u32 v2, v10, 24, 3
	v_ffbh_u32_e32 v8, v2
	v_min_u32_e32 v20, 32, v8
	v_lshrrev_b32_e32 v0, 24, v10
	v_subrev_u32_e32 v8, 28, v20
	v_lshlrev_b64 v[8:9], v8, v[0:1]
	v_bfe_u32 v12, v10, 24, 7
	v_bfe_u32 v13, v0, 3, 4
	v_sub_u32_e32 v9, 29, v20
	v_and_b32_e32 v8, 7, v8
	v_cmp_gt_u32_e64 s[28:29], 8, v12
	v_cndmask_b32_e64 v9, v13, v9, s[28:29]
	v_cndmask_b32_e64 v2, v2, v8, s[28:29]
	v_bfrev_b32_e32 v13, 60
	v_lshlrev_b32_e32 v2, 20, v2
	v_and_b32_e32 v8, 0x80000000, v10
	v_lshl_add_u32 v9, v9, 23, v13
	v_or3_b32 v2, v8, v9, v2
	v_cmp_ne_u32_e64 s[28:29], s81, v12
	v_mov_b32_e32 v8, 0x7f800001
	v_cndmask_b32_e64 v2, v8, v2, s[28:29]
	v_cmp_ne_u32_e64 s[28:29], s80, v0
	v_bfrev_b32_e32 v0, 1
	v_cndmask_b32_e64 v0, v0, v2, s[28:29]
	v_cmp_lt_u32_e64 s[28:29], s57, v10
	v_cndmask_b32_e64 v0, 0, v0, s[28:29]
	v_mul_f32_e32 v0, v0, v1
	v_and_b32_e32 v20, 0x7f800000, v0
	v_cmp_ne_u64_e64 s[28:29], s[62:63], v[20:21]
                                        ; implicit-def: $vgpr36
	s_and_saveexec_b64 s[40:41], s[28:29]
	s_xor_b64 s[36:37], exec, s[40:41]
	s_cbranch_execz .LBB6_9318
; %bb.9305:                             ;   in Loop: Header=BB6_9000 Depth=3
	v_and_b32_e32 v20, 0x7fffffff, v0
	v_cmp_gt_u64_e64 s[28:29], s[78:79], v[20:21]
	v_and_b32_sdwa v8, v0, s80 dst_sel:DWORD dst_unused:UNUSED_PAD src0_sel:BYTE_3 src1_sel:DWORD
                                        ; implicit-def: $vgpr36
	s_and_saveexec_b64 s[40:41], s[28:29]
	s_xor_b64 s[38:39], exec, s[40:41]
	s_cbranch_execz .LBB6_9315
; %bb.9306:                             ;   in Loop: Header=BB6_9000 Depth=3
	v_mov_b32_e32 v36, 0
	v_cmp_ne_u32_e64 s[28:29], 0, v0
	s_and_saveexec_b64 s[48:49], s[28:29]
	s_cbranch_execz .LBB6_9314
; %bb.9307:                             ;   in Loop: Header=BB6_9000 Depth=3
	v_bfe_u32 v9, v0, 23, 8
	v_and_b32_e32 v1, 0x7fffff, v0
	v_cmp_gt_u32_e64 s[40:41], s47, v9
	v_sub_u32_e32 v0, 0x79, v9
	v_cmp_eq_u32_e64 s[28:29], 0, v9
	v_cndmask_b32_e64 v0, 0, v0, s[40:41]
	v_mov_b32_e32 v12, 0x78
	v_cndmask_b32_e64 v12, v0, v12, s[28:29]
	v_or_b32_e32 v2, 0x800000, v1
	v_add_u32_e32 v0, 20, v12
	v_cndmask_b32_e64 v20, v2, v1, s[28:29]
	v_lshlrev_b64 v[0:1], v0, -1
	v_add_u32_e32 v2, 19, v12
	v_lshlrev_b64 v[36:37], v2, 1
	v_bfi_b32 v1, v1, 0, 0
	v_bfi_b32 v0, v0, 0, v20
	v_cmp_eq_u64_e64 s[40:41], v[0:1], v[36:37]
	v_lshrrev_b64 v[0:1], v12, v[20:21]
	v_mov_b32_e32 v2, v1
	v_mov_b32_e32 v1, v0
	s_and_saveexec_b64 s[50:51], s[40:41]
; %bb.9308:                             ;   in Loop: Header=BB6_9000 Depth=3
	v_bfe_u32 v1, v0, 20, 1
	v_add_co_u32_e64 v1, s[40:41], v0, v1
	v_add_co_u32_e64 v1, s[40:41], -1, v1
; %bb.9309:                             ;   in Loop: Header=BB6_9000 Depth=3
	s_or_b64 exec, exec, s[50:51]
	v_add_u32_e32 v2, 0xffffff81, v9
	v_mov_b32_e32 v9, 0xffffff82
	v_cndmask_b32_e64 v2, v2, v9, s[28:29]
	v_lshrrev_b32_e32 v9, 23, v0
	v_add3_u32 v12, v12, v2, v9
	v_add_u32_e32 v9, 6, v12
	v_and_b32_e32 v1, 0xfffff, v1
	v_add_u32_e32 v20, v1, v0
	v_cmp_ne_u32_e64 s[28:29], 0, v9
                                        ; implicit-def: $vgpr0_vgpr1
                                        ; implicit-def: $vgpr2
	s_and_saveexec_b64 s[40:41], s[28:29]
	s_xor_b64 s[40:41], exec, s[40:41]
; %bb.9310:                             ;   in Loop: Header=BB6_9000 Depth=3
	v_cmp_lt_u64_e64 s[28:29], s[88:89], v[20:21]
	v_add_u32_e32 v0, 7, v12
	v_cndmask_b32_e64 v2, v9, v0, s[28:29]
	v_cndmask_b32_e64 v0, 0, 1, s[28:29]
	v_lshrrev_b64 v[0:1], v0, v[20:21]
; %bb.9311:                             ;   in Loop: Header=BB6_9000 Depth=3
	s_andn2_saveexec_b64 s[28:29], s[40:41]
; %bb.9312:                             ;   in Loop: Header=BB6_9000 Depth=3
	v_mov_b32_e32 v0, v20
	v_bfe_u32 v2, v20, 23, 1
	v_mov_b32_e32 v1, v21
; %bb.9313:                             ;   in Loop: Header=BB6_9000 Depth=3
	s_or_b64 exec, exec, s[28:29]
	v_lshrrev_b64 v[0:1], 20, v[0:1]
	v_cmp_gt_i32_e64 s[28:29], 16, v2
	v_cndmask_b32_e64 v1, 0, v1, s[28:29]
	v_cndmask_b32_e64 v0, 7, v0, s[28:29]
	v_cmp_eq_u64_e64 s[40:41], 0, v[0:1]
	v_min_i32_e32 v1, 15, v2
	v_lshlrev_b32_e32 v1, 3, v1
	v_cmp_eq_u32_e64 s[28:29], 0, v2
	v_and_b32_e32 v1, 0xf8, v1
	v_and_or_b32 v0, v0, 7, v1
	s_and_b64 s[28:29], s[28:29], s[40:41]
	v_cndmask_b32_e64 v0, v0, 0, s[28:29]
	v_or_b32_e32 v36, v0, v8
.LBB6_9314:                             ;   in Loop: Header=BB6_9000 Depth=3
	s_or_b64 exec, exec, s[48:49]
                                        ; implicit-def: $vgpr8
.LBB6_9315:                             ;   in Loop: Header=BB6_9000 Depth=3
	s_andn2_saveexec_b64 s[28:29], s[38:39]
; %bb.9316:                             ;   in Loop: Header=BB6_9000 Depth=3
	v_or_b32_e32 v36, 0x7e, v8
; %bb.9317:                             ;   in Loop: Header=BB6_9000 Depth=3
	s_or_b64 exec, exec, s[28:29]
                                        ; implicit-def: $vgpr0
.LBB6_9318:                             ;   in Loop: Header=BB6_9000 Depth=3
	s_andn2_saveexec_b64 s[28:29], s[36:37]
; %bb.9319:                             ;   in Loop: Header=BB6_9000 Depth=3
	v_or_b32_sdwa v36, v0, s81 dst_sel:DWORD dst_unused:UNUSED_PAD src0_sel:BYTE_3 src1_sel:DWORD
; %bb.9320:                             ;   in Loop: Header=BB6_9000 Depth=3
	s_or_b64 exec, exec, s[28:29]
	v_mov_b32_e32 v20, v15
	v_cmp_ne_u16_sdwa s[28:29], v15, v21 src0_sel:BYTE_0 src1_sel:DWORD
	v_mov_b32_e32 v0, 0
	s_and_saveexec_b64 s[40:41], s[28:29]
	s_cbranch_execz .LBB6_9326
; %bb.9321:                             ;   in Loop: Header=BB6_9000 Depth=3
	v_cmp_ne_u16_sdwa s[28:29], v15, s80 src0_sel:BYTE_0 src1_sel:DWORD
	v_bfrev_b32_e32 v0, 1
	s_and_saveexec_b64 s[36:37], s[28:29]
	s_cbranch_execz .LBB6_9325
; %bb.9322:                             ;   in Loop: Header=BB6_9000 Depth=3
	v_and_b32_e32 v1, 0x7f, v15
	v_cmp_ne_u32_e64 s[28:29], s81, v1
	v_mov_b32_e32 v0, 0x7f800001
	s_and_saveexec_b64 s[38:39], s[28:29]
	s_cbranch_execz .LBB6_9324
; %bb.9323:                             ;   in Loop: Header=BB6_9000 Depth=3
	v_and_b32_e32 v0, 7, v15
	v_ffbh_u32_e32 v0, v0
	v_min_u32_e32 v0, 32, v0
	v_lshrrev_b32_e32 v2, 3, v1
	v_cmp_gt_u32_e64 s[28:29], 8, v1
	v_subrev_u32_e32 v1, 28, v0
	v_sub_u32_e32 v0, 29, v0
	v_cndmask_b32_e64 v2, v2, v0, s[28:29]
	v_cndmask_b32_e64 v0, 0, v1, s[28:29]
	v_lshlrev_b64 v[0:1], v0, v[20:21]
	v_lshlrev_b32_e32 v1, 24, v20
	v_lshlrev_b32_e32 v0, 20, v0
	v_bfrev_b32_e32 v8, 60
	v_and_b32_e32 v0, 0x700000, v0
	v_and_b32_e32 v1, 0x80000000, v1
	v_lshl_add_u32 v2, v2, 23, v8
	v_or3_b32 v0, v1, v2, v0
.LBB6_9324:                             ;   in Loop: Header=BB6_9000 Depth=3
	s_or_b64 exec, exec, s[38:39]
.LBB6_9325:                             ;   in Loop: Header=BB6_9000 Depth=3
	s_or_b64 exec, exec, s[36:37]
.LBB6_9326:                             ;   in Loop: Header=BB6_9000 Depth=3
	s_or_b64 exec, exec, s[40:41]
	v_cmp_gt_i16_sdwa s[40:41], v11, s81 src0_sel:BYTE_0 src1_sel:DWORD
	s_mov_b64 s[28:29], 0
	s_and_saveexec_b64 s[36:37], s[40:41]
	s_xor_b64 s[40:41], exec, s[36:37]
	s_cbranch_execz .LBB6_9330
; %bb.9327:                             ;   in Loop: Header=BB6_9000 Depth=3
	v_cmp_eq_u16_sdwa s[38:39], v11, s80 src0_sel:BYTE_0 src1_sel:DWORD
	s_mov_b64 s[28:29], -1
	s_and_saveexec_b64 s[36:37], s[38:39]
; %bb.9328:                             ;   in Loop: Header=BB6_9000 Depth=3
	s_xor_b64 s[28:29], exec, -1
; %bb.9329:                             ;   in Loop: Header=BB6_9000 Depth=3
	s_or_b64 exec, exec, s[36:37]
	s_and_b64 s[28:29], s[28:29], exec
.LBB6_9330:                             ;   in Loop: Header=BB6_9000 Depth=3
	s_or_saveexec_b64 s[40:41], s[40:41]
	v_bfrev_b32_e32 v1, 1
	s_xor_b64 exec, exec, s[40:41]
; %bb.9331:                             ;   in Loop: Header=BB6_9000 Depth=3
	v_cmp_ne_u16_sdwa s[36:37], v11, v21 src0_sel:BYTE_0 src1_sel:DWORD
	s_andn2_b64 s[28:29], s[28:29], exec
	s_and_b64 s[36:37], s[36:37], exec
	v_mov_b32_e32 v1, 0
	s_or_b64 s[28:29], s[28:29], s[36:37]
; %bb.9332:                             ;   in Loop: Header=BB6_9000 Depth=3
	s_or_b64 exec, exec, s[40:41]
	v_mov_b32_e32 v8, v11
	v_mov_b32_e32 v9, v21
	s_and_saveexec_b64 s[40:41], s[28:29]
	s_cbranch_execz .LBB6_9334
; %bb.9333:                             ;   in Loop: Header=BB6_9000 Depth=3
	v_and_b32_e32 v1, 7, v11
	v_ffbh_u32_e32 v1, v1
	v_and_b32_e32 v12, 0x7f, v11
	v_min_u32_e32 v1, 32, v1
	v_bfe_u32 v2, v11, 3, 4
	v_subrev_u32_e32 v13, 28, v1
	v_sub_u32_e32 v1, 29, v1
	v_cmp_gt_u32_e64 s[28:29], 8, v12
	v_cndmask_b32_e64 v37, v2, v1, s[28:29]
	v_cndmask_b32_e64 v1, 0, v13, s[28:29]
	v_lshlrev_b64 v[1:2], v1, v[8:9]
	v_lshlrev_b32_e32 v2, 24, v8
	v_lshlrev_b32_e32 v1, 20, v1
	v_bfrev_b32_e32 v9, 60
	v_and_b32_e32 v1, 0x700000, v1
	v_and_b32_e32 v2, 0x80000000, v2
	v_lshl_add_u32 v9, v37, 23, v9
	v_or3_b32 v1, v2, v9, v1
	v_cmp_ne_u32_e64 s[28:29], s81, v12
	v_mov_b32_e32 v2, 0x7f800001
	v_cndmask_b32_e64 v1, v2, v1, s[28:29]
.LBB6_9334:                             ;   in Loop: Header=BB6_9000 Depth=3
	s_or_b64 exec, exec, s[40:41]
	v_mul_f32_e32 v0, v0, v1
	v_and_b32_e32 v1, 0x7f800000, v0
	v_mov_b32_e32 v2, v21
	v_cmp_ne_u64_e64 s[28:29], s[62:63], v[1:2]
                                        ; implicit-def: $vgpr9
	s_and_saveexec_b64 s[40:41], s[28:29]
	s_xor_b64 s[36:37], exec, s[40:41]
	s_cbranch_execz .LBB6_9348
; %bb.9335:                             ;   in Loop: Header=BB6_9000 Depth=3
	v_and_b32_e32 v1, 0x7fffffff, v0
	v_mov_b32_e32 v2, v21
	v_cmp_gt_u64_e64 s[28:29], s[78:79], v[1:2]
	v_and_b32_sdwa v37, v0, s80 dst_sel:DWORD dst_unused:UNUSED_PAD src0_sel:BYTE_3 src1_sel:DWORD
                                        ; implicit-def: $vgpr9
	s_and_saveexec_b64 s[40:41], s[28:29]
	s_xor_b64 s[38:39], exec, s[40:41]
	s_cbranch_execz .LBB6_9345
; %bb.9336:                             ;   in Loop: Header=BB6_9000 Depth=3
	v_mov_b32_e32 v9, 0
	v_cmp_ne_u32_e64 s[28:29], 0, v0
	s_and_saveexec_b64 s[48:49], s[28:29]
	s_cbranch_execz .LBB6_9344
; %bb.9337:                             ;   in Loop: Header=BB6_9000 Depth=3
	v_bfe_u32 v9, v0, 23, 8
	v_and_b32_e32 v1, 0x7fffff, v0
	v_cmp_gt_u32_e64 s[40:41], s47, v9
	v_sub_u32_e32 v0, 0x79, v9
	v_cmp_eq_u32_e64 s[28:29], 0, v9
	v_cndmask_b32_e64 v0, 0, v0, s[40:41]
	v_mov_b32_e32 v12, 0x78
	v_or_b32_e32 v2, 0x800000, v1
	v_cndmask_b32_e64 v12, v0, v12, s[28:29]
	v_cndmask_b32_e64 v0, v2, v1, s[28:29]
	v_add_u32_e32 v2, 20, v12
	v_lshlrev_b64 v[38:39], v2, -1
	v_mov_b32_e32 v1, v21
	v_add_u32_e32 v2, 19, v12
	v_bfi_b32 v38, v38, 0, v0
	v_lshlrev_b64 v[48:49], v2, 1
	v_lshrrev_b64 v[0:1], v12, v[0:1]
	v_bfi_b32 v39, v39, 0, 0
	v_cmp_eq_u64_e64 s[40:41], v[38:39], v[48:49]
	v_mov_b32_e32 v2, v1
	v_mov_b32_e32 v1, v0
	s_and_saveexec_b64 s[50:51], s[40:41]
; %bb.9338:                             ;   in Loop: Header=BB6_9000 Depth=3
	v_bfe_u32 v1, v0, 20, 1
	v_add_co_u32_e64 v1, s[40:41], v0, v1
	v_add_co_u32_e64 v1, s[40:41], -1, v1
; %bb.9339:                             ;   in Loop: Header=BB6_9000 Depth=3
	s_or_b64 exec, exec, s[50:51]
	v_add_u32_e32 v2, 0xffffff81, v9
	v_mov_b32_e32 v9, 0xffffff82
	v_cndmask_b32_e64 v2, v2, v9, s[28:29]
	v_lshrrev_b32_e32 v9, 23, v0
	v_add3_u32 v9, v12, v2, v9
	v_add_u32_e32 v2, 6, v9
	v_and_b32_e32 v1, 0xfffff, v1
	v_add_u32_e32 v12, v1, v0
	v_mov_b32_e32 v13, v21
	v_cmp_ne_u32_e64 s[28:29], 0, v2
                                        ; implicit-def: $vgpr0
	s_and_saveexec_b64 s[40:41], s[28:29]
	s_xor_b64 s[40:41], exec, s[40:41]
; %bb.9340:                             ;   in Loop: Header=BB6_9000 Depth=3
	v_cmp_lt_u64_e64 s[28:29], s[88:89], v[12:13]
	v_add_u32_e32 v0, 7, v9
	v_cndmask_b32_e64 v1, 0, 1, s[28:29]
	v_cndmask_b32_e64 v0, v2, v0, s[28:29]
	v_lshrrev_b64 v[12:13], v1, v[12:13]
; %bb.9341:                             ;   in Loop: Header=BB6_9000 Depth=3
	s_andn2_saveexec_b64 s[28:29], s[40:41]
; %bb.9342:                             ;   in Loop: Header=BB6_9000 Depth=3
	v_bfe_u32 v0, v12, 23, 1
; %bb.9343:                             ;   in Loop: Header=BB6_9000 Depth=3
	s_or_b64 exec, exec, s[28:29]
	v_lshrrev_b64 v[1:2], 20, v[12:13]
	v_cmp_gt_i32_e64 s[28:29], 16, v0
	v_cndmask_b32_e64 v2, 0, v2, s[28:29]
	v_cndmask_b32_e64 v1, 7, v1, s[28:29]
	v_cmp_eq_u32_e64 s[28:29], 0, v0
	v_min_i32_e32 v0, 15, v0
	v_cmp_eq_u64_e64 s[40:41], 0, v[1:2]
	v_lshlrev_b32_e32 v0, 3, v0
	v_and_b32_e32 v0, 0xf8, v0
	v_and_or_b32 v0, v1, 7, v0
	s_and_b64 s[28:29], s[28:29], s[40:41]
	v_cndmask_b32_e64 v0, v0, 0, s[28:29]
	v_or_b32_e32 v9, v0, v37
.LBB6_9344:                             ;   in Loop: Header=BB6_9000 Depth=3
	s_or_b64 exec, exec, s[48:49]
                                        ; implicit-def: $vgpr37
.LBB6_9345:                             ;   in Loop: Header=BB6_9000 Depth=3
	s_andn2_saveexec_b64 s[28:29], s[38:39]
; %bb.9346:                             ;   in Loop: Header=BB6_9000 Depth=3
	v_or_b32_e32 v9, 0x7e, v37
; %bb.9347:                             ;   in Loop: Header=BB6_9000 Depth=3
	s_or_b64 exec, exec, s[28:29]
                                        ; implicit-def: $vgpr0
.LBB6_9348:                             ;   in Loop: Header=BB6_9000 Depth=3
	s_andn2_saveexec_b64 s[28:29], s[36:37]
; %bb.9349:                             ;   in Loop: Header=BB6_9000 Depth=3
	v_or_b32_sdwa v9, v0, s81 dst_sel:DWORD dst_unused:UNUSED_PAD src0_sel:BYTE_3 src1_sel:DWORD
; %bb.9350:                             ;   in Loop: Header=BB6_9000 Depth=3
	s_or_b64 exec, exec, s[28:29]
	v_lshrrev_b16_e32 v0, 8, v20
	v_cmp_ne_u16_e64 s[28:29], 0, v0
	v_mov_b32_e32 v1, 0
	s_and_saveexec_b64 s[40:41], s[28:29]
	s_cbranch_execz .LBB6_9356
; %bb.9351:                             ;   in Loop: Header=BB6_9000 Depth=3
	v_cmp_ne_u16_e64 s[28:29], s80, v0
	v_bfrev_b32_e32 v1, 1
	s_and_saveexec_b64 s[36:37], s[28:29]
	s_cbranch_execz .LBB6_9355
; %bb.9352:                             ;   in Loop: Header=BB6_9000 Depth=3
	v_and_b32_e32 v2, 0x7f, v0
	v_cmp_ne_u32_e64 s[28:29], s81, v2
	v_mov_b32_e32 v1, 0x7f800001
	s_and_saveexec_b64 s[38:39], s[28:29]
	s_cbranch_execz .LBB6_9354
; %bb.9353:                             ;   in Loop: Header=BB6_9000 Depth=3
	v_and_b32_e32 v12, 7, v0
	v_ffbh_u32_e32 v1, v12
	v_lshrrev_b32_e32 v13, 3, v2
	v_cmp_gt_u32_e64 s[28:29], 8, v2
	v_min_u32_e32 v2, 32, v1
	v_subrev_u32_e32 v1, 28, v2
	v_lshlrev_b64 v[0:1], v1, v[0:1]
	v_sub_u32_e32 v1, 29, v2
	v_and_b32_e32 v0, 7, v0
	v_cndmask_b32_e64 v1, v13, v1, s[28:29]
	v_cndmask_b32_e64 v0, v12, v0, s[28:29]
	v_lshlrev_b32_e32 v2, 16, v20
	v_bfrev_b32_e32 v12, 60
	v_lshlrev_b32_e32 v0, 20, v0
	v_and_b32_e32 v2, 0x80000000, v2
	v_lshl_add_u32 v1, v1, 23, v12
	v_or3_b32 v1, v2, v1, v0
.LBB6_9354:                             ;   in Loop: Header=BB6_9000 Depth=3
	s_or_b64 exec, exec, s[38:39]
.LBB6_9355:                             ;   in Loop: Header=BB6_9000 Depth=3
	s_or_b64 exec, exec, s[36:37]
.LBB6_9356:                             ;   in Loop: Header=BB6_9000 Depth=3
	s_or_b64 exec, exec, s[40:41]
	v_lshrrev_b16_e32 v20, 8, v8
	v_cmp_lt_i16_e64 s[28:29], s81, v20
	s_mov_b64 s[40:41], 0
	s_and_saveexec_b64 s[36:37], s[28:29]
	s_xor_b64 s[36:37], exec, s[36:37]
	s_cbranch_execz .LBB6_9444
; %bb.9357:                             ;   in Loop: Header=BB6_9000 Depth=3
	v_cmp_eq_u16_e64 s[28:29], s80, v20
	s_mov_b64 s[40:41], -1
	s_and_saveexec_b64 s[38:39], s[28:29]
; %bb.9358:                             ;   in Loop: Header=BB6_9000 Depth=3
	s_xor_b64 s[40:41], exec, -1
; %bb.9359:                             ;   in Loop: Header=BB6_9000 Depth=3
	s_or_b64 exec, exec, s[38:39]
	s_and_b64 s[40:41], s[40:41], exec
	s_or_saveexec_b64 s[36:37], s[36:37]
	v_bfrev_b32_e32 v0, 1
	s_xor_b64 exec, exec, s[36:37]
	s_cbranch_execnz .LBB6_9445
.LBB6_9360:                             ;   in Loop: Header=BB6_9000 Depth=3
	s_or_b64 exec, exec, s[36:37]
	s_and_saveexec_b64 s[36:37], s[40:41]
	s_cbranch_execz .LBB6_9362
.LBB6_9361:                             ;   in Loop: Header=BB6_9000 Depth=3
	v_and_b32_e32 v0, 7, v20
	v_ffbh_u32_e32 v12, v0
	v_min_u32_e32 v37, 32, v12
	v_subrev_u32_e32 v12, 28, v37
	v_lshlrev_b64 v[12:13], v12, v[20:21]
	v_and_b32_e32 v2, 0x7f, v20
	v_bfe_u32 v8, v20, 3, 4
	v_sub_u32_e32 v13, 29, v37
	v_and_b32_e32 v12, 7, v12
	v_cmp_gt_u32_e64 s[28:29], 8, v2
	v_cndmask_b32_e64 v8, v8, v13, s[28:29]
	v_cndmask_b32_e64 v0, v0, v12, s[28:29]
	v_lshlrev_b32_e32 v12, 24, v20
	v_bfrev_b32_e32 v13, 60
	v_lshlrev_b32_e32 v0, 20, v0
	v_and_b32_e32 v12, 0x80000000, v12
	v_lshl_add_u32 v8, v8, 23, v13
	v_or3_b32 v0, v12, v8, v0
	v_cmp_ne_u32_e64 s[28:29], s81, v2
	v_mov_b32_e32 v2, 0x7f800001
	v_cndmask_b32_e64 v0, v2, v0, s[28:29]
.LBB6_9362:                             ;   in Loop: Header=BB6_9000 Depth=3
	s_or_b64 exec, exec, s[36:37]
	v_mul_f32_e32 v0, v1, v0
	v_and_b32_e32 v20, 0x7f800000, v0
	v_cmp_ne_u64_e64 s[28:29], s[62:63], v[20:21]
                                        ; implicit-def: $vgpr8
	s_and_saveexec_b64 s[40:41], s[28:29]
	s_xor_b64 s[36:37], exec, s[40:41]
	s_cbranch_execz .LBB6_9376
; %bb.9363:                             ;   in Loop: Header=BB6_9000 Depth=3
	v_and_b32_e32 v20, 0x7fffffff, v0
	v_cmp_gt_u64_e64 s[28:29], s[78:79], v[20:21]
	v_and_b32_sdwa v12, v0, s80 dst_sel:DWORD dst_unused:UNUSED_PAD src0_sel:BYTE_3 src1_sel:DWORD
                                        ; implicit-def: $vgpr8
	s_and_saveexec_b64 s[40:41], s[28:29]
	s_xor_b64 s[38:39], exec, s[40:41]
	s_cbranch_execz .LBB6_9373
; %bb.9364:                             ;   in Loop: Header=BB6_9000 Depth=3
	v_mov_b32_e32 v8, 0
	v_cmp_ne_u32_e64 s[28:29], 0, v0
	s_and_saveexec_b64 s[48:49], s[28:29]
	s_cbranch_execz .LBB6_9372
; %bb.9365:                             ;   in Loop: Header=BB6_9000 Depth=3
	v_bfe_u32 v8, v0, 23, 8
	v_and_b32_e32 v1, 0x7fffff, v0
	v_cmp_gt_u32_e64 s[40:41], s47, v8
	v_sub_u32_e32 v0, 0x79, v8
	v_cmp_eq_u32_e64 s[28:29], 0, v8
	v_cndmask_b32_e64 v0, 0, v0, s[40:41]
	v_mov_b32_e32 v13, 0x78
	v_cndmask_b32_e64 v13, v0, v13, s[28:29]
	v_or_b32_e32 v2, 0x800000, v1
	v_add_u32_e32 v0, 20, v13
	v_cndmask_b32_e64 v20, v2, v1, s[28:29]
	v_lshlrev_b64 v[0:1], v0, -1
	v_add_u32_e32 v2, 19, v13
	v_lshlrev_b64 v[37:38], v2, 1
	v_bfi_b32 v1, v1, 0, 0
	v_bfi_b32 v0, v0, 0, v20
	v_cmp_eq_u64_e64 s[40:41], v[0:1], v[37:38]
	v_lshrrev_b64 v[0:1], v13, v[20:21]
	v_mov_b32_e32 v2, v1
	v_mov_b32_e32 v1, v0
	s_and_saveexec_b64 s[50:51], s[40:41]
; %bb.9366:                             ;   in Loop: Header=BB6_9000 Depth=3
	v_bfe_u32 v1, v0, 20, 1
	v_add_co_u32_e64 v1, s[40:41], v0, v1
	v_add_co_u32_e64 v1, s[40:41], -1, v1
; %bb.9367:                             ;   in Loop: Header=BB6_9000 Depth=3
	s_or_b64 exec, exec, s[50:51]
	v_add_u32_e32 v2, 0xffffff81, v8
	v_mov_b32_e32 v8, 0xffffff82
	v_cndmask_b32_e64 v2, v2, v8, s[28:29]
	v_lshrrev_b32_e32 v8, 23, v0
	v_add3_u32 v13, v13, v2, v8
	v_add_u32_e32 v8, 6, v13
	v_and_b32_e32 v1, 0xfffff, v1
	v_add_u32_e32 v20, v1, v0
	v_cmp_ne_u32_e64 s[28:29], 0, v8
                                        ; implicit-def: $vgpr0_vgpr1
                                        ; implicit-def: $vgpr2
	s_and_saveexec_b64 s[40:41], s[28:29]
	s_xor_b64 s[40:41], exec, s[40:41]
; %bb.9368:                             ;   in Loop: Header=BB6_9000 Depth=3
	v_cmp_lt_u64_e64 s[28:29], s[88:89], v[20:21]
	v_add_u32_e32 v0, 7, v13
	v_cndmask_b32_e64 v2, v8, v0, s[28:29]
	v_cndmask_b32_e64 v0, 0, 1, s[28:29]
	v_lshrrev_b64 v[0:1], v0, v[20:21]
; %bb.9369:                             ;   in Loop: Header=BB6_9000 Depth=3
	s_andn2_saveexec_b64 s[28:29], s[40:41]
; %bb.9370:                             ;   in Loop: Header=BB6_9000 Depth=3
	v_mov_b32_e32 v0, v20
	v_bfe_u32 v2, v20, 23, 1
	v_mov_b32_e32 v1, v21
; %bb.9371:                             ;   in Loop: Header=BB6_9000 Depth=3
	s_or_b64 exec, exec, s[28:29]
	v_lshrrev_b64 v[0:1], 20, v[0:1]
	v_cmp_gt_i32_e64 s[28:29], 16, v2
	v_cndmask_b32_e64 v1, 0, v1, s[28:29]
	v_cndmask_b32_e64 v0, 7, v0, s[28:29]
	v_cmp_eq_u64_e64 s[40:41], 0, v[0:1]
	v_min_i32_e32 v1, 15, v2
	v_lshlrev_b32_e32 v1, 3, v1
	v_cmp_eq_u32_e64 s[28:29], 0, v2
	v_and_b32_e32 v1, 0xf8, v1
	v_and_or_b32 v0, v0, 7, v1
	s_and_b64 s[28:29], s[28:29], s[40:41]
	v_cndmask_b32_e64 v0, v0, 0, s[28:29]
	v_or_b32_e32 v8, v0, v12
.LBB6_9372:                             ;   in Loop: Header=BB6_9000 Depth=3
	s_or_b64 exec, exec, s[48:49]
                                        ; implicit-def: $vgpr12
.LBB6_9373:                             ;   in Loop: Header=BB6_9000 Depth=3
	s_andn2_saveexec_b64 s[28:29], s[38:39]
; %bb.9374:                             ;   in Loop: Header=BB6_9000 Depth=3
	v_or_b32_e32 v8, 0x7e, v12
; %bb.9375:                             ;   in Loop: Header=BB6_9000 Depth=3
	s_or_b64 exec, exec, s[28:29]
                                        ; implicit-def: $vgpr0
.LBB6_9376:                             ;   in Loop: Header=BB6_9000 Depth=3
	s_andn2_saveexec_b64 s[28:29], s[36:37]
; %bb.9377:                             ;   in Loop: Header=BB6_9000 Depth=3
	v_or_b32_sdwa v8, v0, s81 dst_sel:DWORD dst_unused:UNUSED_PAD src0_sel:BYTE_3 src1_sel:DWORD
; %bb.9378:                             ;   in Loop: Header=BB6_9000 Depth=3
	s_or_b64 exec, exec, s[28:29]
	v_lshrrev_b32_e32 v0, 16, v15
	v_cmp_ne_u16_sdwa s[28:29], v0, v21 src0_sel:BYTE_0 src1_sel:DWORD
	v_mov_b32_e32 v1, 0
	s_and_saveexec_b64 s[40:41], s[28:29]
	s_cbranch_execz .LBB6_9384
; %bb.9379:                             ;   in Loop: Header=BB6_9000 Depth=3
	v_cmp_ne_u16_sdwa s[28:29], v0, s80 src0_sel:BYTE_0 src1_sel:DWORD
	v_bfrev_b32_e32 v1, 1
	s_and_saveexec_b64 s[36:37], s[28:29]
	s_cbranch_execz .LBB6_9383
; %bb.9380:                             ;   in Loop: Header=BB6_9000 Depth=3
	v_bfe_u32 v2, v15, 16, 7
	v_cmp_ne_u32_e64 s[28:29], s81, v2
	v_mov_b32_e32 v1, 0x7f800001
	s_and_saveexec_b64 s[38:39], s[28:29]
	s_cbranch_execz .LBB6_9382
; %bb.9381:                             ;   in Loop: Header=BB6_9000 Depth=3
	v_and_b32_e32 v12, 7, v0
	v_ffbh_u32_e32 v1, v12
	v_min_u32_e32 v20, 32, v1
	v_subrev_u32_e32 v1, 28, v20
	v_lshrrev_b32_e32 v13, 3, v2
	v_cmp_gt_u32_e64 s[28:29], 8, v2
	v_lshlrev_b64 v[1:2], v1, v[0:1]
	v_sub_u32_e32 v2, 29, v20
	v_and_b32_e32 v1, 7, v1
	v_cndmask_b32_e64 v2, v13, v2, s[28:29]
	v_cndmask_b32_e64 v1, v12, v1, s[28:29]
	v_lshlrev_b32_e32 v0, 24, v0
	v_bfrev_b32_e32 v12, 60
	v_lshlrev_b32_e32 v1, 20, v1
	v_and_b32_e32 v0, 0x80000000, v0
	v_lshl_add_u32 v2, v2, 23, v12
	v_or3_b32 v1, v0, v2, v1
.LBB6_9382:                             ;   in Loop: Header=BB6_9000 Depth=3
	s_or_b64 exec, exec, s[38:39]
.LBB6_9383:                             ;   in Loop: Header=BB6_9000 Depth=3
	s_or_b64 exec, exec, s[36:37]
.LBB6_9384:                             ;   in Loop: Header=BB6_9000 Depth=3
	s_or_b64 exec, exec, s[40:41]
	v_lshrrev_b32_e32 v2, 16, v11
	v_cmp_gt_i16_sdwa s[40:41], v2, s81 src0_sel:BYTE_0 src1_sel:DWORD
	s_mov_b64 s[28:29], 0
	s_and_saveexec_b64 s[36:37], s[40:41]
	s_xor_b64 s[40:41], exec, s[36:37]
	s_cbranch_execz .LBB6_9446
; %bb.9385:                             ;   in Loop: Header=BB6_9000 Depth=3
	v_cmp_eq_u16_sdwa s[38:39], v2, s80 src0_sel:BYTE_0 src1_sel:DWORD
	s_mov_b64 s[28:29], -1
	s_and_saveexec_b64 s[36:37], s[38:39]
; %bb.9386:                             ;   in Loop: Header=BB6_9000 Depth=3
	s_xor_b64 s[28:29], exec, -1
; %bb.9387:                             ;   in Loop: Header=BB6_9000 Depth=3
	s_or_b64 exec, exec, s[36:37]
	s_and_b64 s[28:29], s[28:29], exec
	s_or_saveexec_b64 s[40:41], s[40:41]
	v_bfrev_b32_e32 v0, 1
	s_xor_b64 exec, exec, s[40:41]
	s_cbranch_execnz .LBB6_9447
.LBB6_9388:                             ;   in Loop: Header=BB6_9000 Depth=3
	s_or_b64 exec, exec, s[40:41]
	s_and_saveexec_b64 s[40:41], s[28:29]
	s_cbranch_execz .LBB6_9390
.LBB6_9389:                             ;   in Loop: Header=BB6_9000 Depth=3
	v_and_b32_e32 v0, 7, v2
	v_ffbh_u32_e32 v12, v0
	v_min_u32_e32 v38, 32, v12
	v_subrev_u32_e32 v12, 28, v38
	v_lshlrev_b64 v[12:13], v12, v[2:3]
	v_and_b32_e32 v20, 0x7f, v2
	v_bfe_u32 v37, v2, 3, 4
	v_sub_u32_e32 v13, 29, v38
	v_and_b32_e32 v12, 7, v12
	v_cmp_gt_u32_e64 s[28:29], 8, v20
	v_cndmask_b32_e64 v13, v37, v13, s[28:29]
	v_cndmask_b32_e64 v0, v0, v12, s[28:29]
	v_lshlrev_b32_e32 v2, 24, v2
	v_bfrev_b32_e32 v12, 60
	v_lshlrev_b32_e32 v0, 20, v0
	v_and_b32_e32 v2, 0x80000000, v2
	v_lshl_add_u32 v12, v13, 23, v12
	v_or3_b32 v0, v2, v12, v0
	v_cmp_ne_u32_e64 s[28:29], s81, v20
	v_mov_b32_e32 v2, 0x7f800001
	v_cndmask_b32_e64 v0, v2, v0, s[28:29]
.LBB6_9390:                             ;   in Loop: Header=BB6_9000 Depth=3
	s_or_b64 exec, exec, s[40:41]
	v_mul_f32_e32 v0, v1, v0
	v_and_b32_e32 v20, 0x7f800000, v0
	v_cmp_ne_u64_e64 s[28:29], s[62:63], v[20:21]
                                        ; implicit-def: $vgpr12
	s_and_saveexec_b64 s[40:41], s[28:29]
	s_xor_b64 s[36:37], exec, s[40:41]
	s_cbranch_execz .LBB6_9404
; %bb.9391:                             ;   in Loop: Header=BB6_9000 Depth=3
	v_and_b32_e32 v20, 0x7fffffff, v0
	v_cmp_gt_u64_e64 s[28:29], s[78:79], v[20:21]
	v_and_b32_sdwa v13, v0, s80 dst_sel:DWORD dst_unused:UNUSED_PAD src0_sel:BYTE_3 src1_sel:DWORD
                                        ; implicit-def: $vgpr12
	s_and_saveexec_b64 s[40:41], s[28:29]
	s_xor_b64 s[38:39], exec, s[40:41]
	s_cbranch_execz .LBB6_9401
; %bb.9392:                             ;   in Loop: Header=BB6_9000 Depth=3
	v_mov_b32_e32 v12, 0
	v_cmp_ne_u32_e64 s[28:29], 0, v0
	s_and_saveexec_b64 s[48:49], s[28:29]
	s_cbranch_execz .LBB6_9400
; %bb.9393:                             ;   in Loop: Header=BB6_9000 Depth=3
	v_bfe_u32 v12, v0, 23, 8
	v_and_b32_e32 v1, 0x7fffff, v0
	v_cmp_gt_u32_e64 s[40:41], s47, v12
	v_sub_u32_e32 v0, 0x79, v12
	v_cmp_eq_u32_e64 s[28:29], 0, v12
	v_cndmask_b32_e64 v0, 0, v0, s[40:41]
	v_mov_b32_e32 v20, 0x78
	v_cndmask_b32_e64 v37, v0, v20, s[28:29]
	v_or_b32_e32 v2, 0x800000, v1
	v_add_u32_e32 v0, 20, v37
	v_cndmask_b32_e64 v20, v2, v1, s[28:29]
	v_lshlrev_b64 v[0:1], v0, -1
	v_add_u32_e32 v2, 19, v37
	v_lshlrev_b64 v[38:39], v2, 1
	v_bfi_b32 v1, v1, 0, 0
	v_bfi_b32 v0, v0, 0, v20
	v_cmp_eq_u64_e64 s[40:41], v[0:1], v[38:39]
	v_lshrrev_b64 v[0:1], v37, v[20:21]
	v_mov_b32_e32 v2, v1
	v_mov_b32_e32 v1, v0
	s_and_saveexec_b64 s[50:51], s[40:41]
; %bb.9394:                             ;   in Loop: Header=BB6_9000 Depth=3
	v_bfe_u32 v1, v0, 20, 1
	v_add_co_u32_e64 v1, s[40:41], v0, v1
	v_add_co_u32_e64 v1, s[40:41], -1, v1
; %bb.9395:                             ;   in Loop: Header=BB6_9000 Depth=3
	s_or_b64 exec, exec, s[50:51]
	v_add_u32_e32 v2, 0xffffff81, v12
	v_mov_b32_e32 v12, 0xffffff82
	v_cndmask_b32_e64 v2, v2, v12, s[28:29]
	v_lshrrev_b32_e32 v12, 23, v0
	v_add3_u32 v37, v37, v2, v12
	v_add_u32_e32 v12, 6, v37
	v_and_b32_e32 v1, 0xfffff, v1
	v_add_u32_e32 v20, v1, v0
	v_cmp_ne_u32_e64 s[28:29], 0, v12
                                        ; implicit-def: $vgpr0_vgpr1
                                        ; implicit-def: $vgpr2
	s_and_saveexec_b64 s[40:41], s[28:29]
	s_xor_b64 s[40:41], exec, s[40:41]
; %bb.9396:                             ;   in Loop: Header=BB6_9000 Depth=3
	v_cmp_lt_u64_e64 s[28:29], s[88:89], v[20:21]
	v_add_u32_e32 v0, 7, v37
	v_cndmask_b32_e64 v2, v12, v0, s[28:29]
	v_cndmask_b32_e64 v0, 0, 1, s[28:29]
	v_lshrrev_b64 v[0:1], v0, v[20:21]
; %bb.9397:                             ;   in Loop: Header=BB6_9000 Depth=3
	s_andn2_saveexec_b64 s[28:29], s[40:41]
; %bb.9398:                             ;   in Loop: Header=BB6_9000 Depth=3
	v_mov_b32_e32 v0, v20
	v_bfe_u32 v2, v20, 23, 1
	v_mov_b32_e32 v1, v21
; %bb.9399:                             ;   in Loop: Header=BB6_9000 Depth=3
	s_or_b64 exec, exec, s[28:29]
	v_lshrrev_b64 v[0:1], 20, v[0:1]
	v_cmp_gt_i32_e64 s[28:29], 16, v2
	v_cndmask_b32_e64 v1, 0, v1, s[28:29]
	v_cndmask_b32_e64 v0, 7, v0, s[28:29]
	v_cmp_eq_u64_e64 s[40:41], 0, v[0:1]
	v_min_i32_e32 v1, 15, v2
	v_lshlrev_b32_e32 v1, 3, v1
	v_cmp_eq_u32_e64 s[28:29], 0, v2
	v_and_b32_e32 v1, 0xf8, v1
	v_and_or_b32 v0, v0, 7, v1
	s_and_b64 s[28:29], s[28:29], s[40:41]
	v_cndmask_b32_e64 v0, v0, 0, s[28:29]
	v_or_b32_e32 v12, v0, v13
.LBB6_9400:                             ;   in Loop: Header=BB6_9000 Depth=3
	s_or_b64 exec, exec, s[48:49]
                                        ; implicit-def: $vgpr13
.LBB6_9401:                             ;   in Loop: Header=BB6_9000 Depth=3
	s_andn2_saveexec_b64 s[28:29], s[38:39]
; %bb.9402:                             ;   in Loop: Header=BB6_9000 Depth=3
	v_or_b32_e32 v12, 0x7e, v13
; %bb.9403:                             ;   in Loop: Header=BB6_9000 Depth=3
	s_or_b64 exec, exec, s[28:29]
                                        ; implicit-def: $vgpr0
.LBB6_9404:                             ;   in Loop: Header=BB6_9000 Depth=3
	s_andn2_saveexec_b64 s[28:29], s[36:37]
; %bb.9405:                             ;   in Loop: Header=BB6_9000 Depth=3
	v_or_b32_sdwa v12, v0, s81 dst_sel:DWORD dst_unused:UNUSED_PAD src0_sel:BYTE_3 src1_sel:DWORD
; %bb.9406:                             ;   in Loop: Header=BB6_9000 Depth=3
	s_or_b64 exec, exec, s[28:29]
	v_cmp_lt_u64_e64 s[28:29], s[56:57], v[14:15]
	v_mov_b32_e32 v1, 0
	s_and_saveexec_b64 s[40:41], s[28:29]
	s_cbranch_execz .LBB6_9412
; %bb.9407:                             ;   in Loop: Header=BB6_9000 Depth=3
	v_lshrrev_b32_e32 v0, 24, v15
	v_cmp_ne_u32_e64 s[28:29], s80, v0
	v_bfrev_b32_e32 v1, 1
	s_and_saveexec_b64 s[36:37], s[28:29]
	s_cbranch_execz .LBB6_9411
; %bb.9408:                             ;   in Loop: Header=BB6_9000 Depth=3
	v_bfe_u32 v2, v15, 24, 7
	v_cmp_ne_u32_e64 s[28:29], s81, v2
	v_mov_b32_e32 v1, 0x7f800001
	s_and_saveexec_b64 s[38:39], s[28:29]
	s_cbranch_execz .LBB6_9410
; %bb.9409:                             ;   in Loop: Header=BB6_9000 Depth=3
	v_and_b32_e32 v13, 7, v0
	v_ffbh_u32_e32 v1, v13
	v_min_u32_e32 v15, 32, v1
	v_subrev_u32_e32 v1, 28, v15
	v_lshrrev_b32_e32 v14, 3, v2
	v_cmp_gt_u32_e64 s[28:29], 8, v2
	v_lshlrev_b64 v[1:2], v1, v[0:1]
	v_sub_u32_e32 v2, 29, v15
	v_and_b32_e32 v1, 7, v1
	v_cndmask_b32_e64 v2, v14, v2, s[28:29]
	v_cndmask_b32_e64 v1, v13, v1, s[28:29]
	v_lshlrev_b32_e32 v0, 24, v0
	v_bfrev_b32_e32 v13, 60
	v_lshlrev_b32_e32 v1, 20, v1
	v_and_b32_e32 v0, 0x80000000, v0
	v_lshl_add_u32 v2, v2, 23, v13
	v_or3_b32 v1, v0, v2, v1
.LBB6_9410:                             ;   in Loop: Header=BB6_9000 Depth=3
	s_or_b64 exec, exec, s[38:39]
.LBB6_9411:                             ;   in Loop: Header=BB6_9000 Depth=3
	s_or_b64 exec, exec, s[36:37]
.LBB6_9412:                             ;   in Loop: Header=BB6_9000 Depth=3
	s_or_b64 exec, exec, s[40:41]
	v_bfe_u32 v2, v11, 24, 3
	v_ffbh_u32_e32 v13, v2
	v_min_u32_e32 v37, 32, v13
	v_lshrrev_b32_e32 v0, 24, v11
	v_subrev_u32_e32 v13, 28, v37
	v_lshlrev_b64 v[13:14], v13, v[0:1]
	v_bfe_u32 v15, v11, 24, 7
	v_bfe_u32 v20, v0, 3, 4
	v_sub_u32_e32 v14, 29, v37
	v_and_b32_e32 v13, 7, v13
	v_cmp_gt_u32_e64 s[28:29], 8, v15
	v_cndmask_b32_e64 v14, v20, v14, s[28:29]
	v_cndmask_b32_e64 v2, v2, v13, s[28:29]
	v_bfrev_b32_e32 v20, 60
	v_lshlrev_b32_e32 v2, 20, v2
	v_and_b32_e32 v13, 0x80000000, v11
	v_lshl_add_u32 v14, v14, 23, v20
	v_or3_b32 v2, v13, v14, v2
	v_cmp_ne_u32_e64 s[28:29], s81, v15
	v_mov_b32_e32 v13, 0x7f800001
	v_cndmask_b32_e64 v2, v13, v2, s[28:29]
	v_cmp_ne_u32_e64 s[28:29], s80, v0
	v_bfrev_b32_e32 v0, 1
	v_cndmask_b32_e64 v0, v0, v2, s[28:29]
	v_cmp_lt_u64_e64 s[28:29], s[56:57], v[10:11]
	v_cndmask_b32_e64 v0, 0, v0, s[28:29]
	v_mul_f32_e32 v1, v0, v1
	v_and_b32_e32 v20, 0x7f800000, v1
	v_cmp_ne_u64_e64 s[28:29], s[62:63], v[20:21]
                                        ; implicit-def: $vgpr0
	s_and_saveexec_b64 s[40:41], s[28:29]
	s_xor_b64 s[36:37], exec, s[40:41]
	s_cbranch_execz .LBB6_9426
; %bb.9413:                             ;   in Loop: Header=BB6_9000 Depth=3
	v_and_b32_e32 v20, 0x7fffffff, v1
	v_cmp_gt_u64_e64 s[28:29], s[78:79], v[20:21]
	v_and_b32_sdwa v10, v1, s80 dst_sel:DWORD dst_unused:UNUSED_PAD src0_sel:BYTE_3 src1_sel:DWORD
                                        ; implicit-def: $vgpr0
	s_and_saveexec_b64 s[40:41], s[28:29]
	s_xor_b64 s[38:39], exec, s[40:41]
	s_cbranch_execz .LBB6_9423
; %bb.9414:                             ;   in Loop: Header=BB6_9000 Depth=3
	v_mov_b32_e32 v0, 0
	v_cmp_ne_u32_e64 s[28:29], 0, v1
	s_and_saveexec_b64 s[48:49], s[28:29]
	s_cbranch_execz .LBB6_9422
; %bb.9415:                             ;   in Loop: Header=BB6_9000 Depth=3
	v_bfe_u32 v11, v1, 23, 8
	v_and_b32_e32 v0, 0x7fffff, v1
	v_cmp_gt_u32_e64 s[40:41], s47, v11
	v_sub_u32_e32 v1, 0x79, v11
	v_cmp_eq_u32_e64 s[28:29], 0, v11
	v_cndmask_b32_e64 v1, 0, v1, s[40:41]
	v_mov_b32_e32 v13, 0x78
	v_or_b32_e32 v2, 0x800000, v0
	v_cndmask_b32_e64 v13, v1, v13, s[28:29]
	v_cndmask_b32_e64 v20, v2, v0, s[28:29]
	v_add_u32_e32 v0, 20, v13
	v_lshlrev_b64 v[0:1], v0, -1
	v_add_u32_e32 v2, 19, v13
	v_lshlrev_b64 v[14:15], v2, 1
	v_bfi_b32 v1, v1, 0, 0
	v_bfi_b32 v0, v0, 0, v20
	v_cmp_eq_u64_e64 s[40:41], v[0:1], v[14:15]
	v_lshrrev_b64 v[0:1], v13, v[20:21]
	v_mov_b32_e32 v2, v1
	v_mov_b32_e32 v1, v0
	s_and_saveexec_b64 s[50:51], s[40:41]
; %bb.9416:                             ;   in Loop: Header=BB6_9000 Depth=3
	v_bfe_u32 v1, v0, 20, 1
	v_add_co_u32_e64 v1, s[40:41], v0, v1
	v_add_co_u32_e64 v1, s[40:41], -1, v1
; %bb.9417:                             ;   in Loop: Header=BB6_9000 Depth=3
	s_or_b64 exec, exec, s[50:51]
	v_add_u32_e32 v2, 0xffffff81, v11
	v_mov_b32_e32 v11, 0xffffff82
	v_cndmask_b32_e64 v2, v2, v11, s[28:29]
	v_lshrrev_b32_e32 v11, 23, v0
	v_add3_u32 v13, v13, v2, v11
	v_add_u32_e32 v11, 6, v13
	v_and_b32_e32 v1, 0xfffff, v1
	v_add_u32_e32 v20, v1, v0
	v_cmp_ne_u32_e64 s[28:29], 0, v11
                                        ; implicit-def: $vgpr0_vgpr1
                                        ; implicit-def: $vgpr2
	s_and_saveexec_b64 s[40:41], s[28:29]
	s_xor_b64 s[40:41], exec, s[40:41]
; %bb.9418:                             ;   in Loop: Header=BB6_9000 Depth=3
	v_cmp_lt_u64_e64 s[28:29], s[88:89], v[20:21]
	v_add_u32_e32 v0, 7, v13
	v_cndmask_b32_e64 v2, v11, v0, s[28:29]
	v_cndmask_b32_e64 v0, 0, 1, s[28:29]
	v_lshrrev_b64 v[0:1], v0, v[20:21]
; %bb.9419:                             ;   in Loop: Header=BB6_9000 Depth=3
	s_andn2_saveexec_b64 s[28:29], s[40:41]
; %bb.9420:                             ;   in Loop: Header=BB6_9000 Depth=3
	v_mov_b32_e32 v0, v20
	v_bfe_u32 v2, v20, 23, 1
	v_mov_b32_e32 v1, v21
; %bb.9421:                             ;   in Loop: Header=BB6_9000 Depth=3
	s_or_b64 exec, exec, s[28:29]
	v_lshrrev_b64 v[0:1], 20, v[0:1]
	v_cmp_gt_i32_e64 s[28:29], 16, v2
	v_cndmask_b32_e64 v1, 0, v1, s[28:29]
	v_cndmask_b32_e64 v0, 7, v0, s[28:29]
	v_cmp_eq_u64_e64 s[40:41], 0, v[0:1]
	v_min_i32_e32 v1, 15, v2
	v_lshlrev_b32_e32 v1, 3, v1
	v_cmp_eq_u32_e64 s[28:29], 0, v2
	v_and_b32_e32 v1, 0xf8, v1
	v_and_or_b32 v0, v0, 7, v1
	s_and_b64 s[28:29], s[28:29], s[40:41]
	v_cndmask_b32_e64 v0, v0, 0, s[28:29]
	v_or_b32_e32 v0, v0, v10
.LBB6_9422:                             ;   in Loop: Header=BB6_9000 Depth=3
	s_or_b64 exec, exec, s[48:49]
                                        ; implicit-def: $vgpr10
.LBB6_9423:                             ;   in Loop: Header=BB6_9000 Depth=3
	s_andn2_saveexec_b64 s[28:29], s[38:39]
; %bb.9424:                             ;   in Loop: Header=BB6_9000 Depth=3
	v_or_b32_e32 v0, 0x7e, v10
; %bb.9425:                             ;   in Loop: Header=BB6_9000 Depth=3
	s_or_b64 exec, exec, s[28:29]
                                        ; implicit-def: $vgpr1
.LBB6_9426:                             ;   in Loop: Header=BB6_9000 Depth=3
	s_andn2_saveexec_b64 s[28:29], s[36:37]
	s_cbranch_execz .LBB6_8999
; %bb.9427:                             ;   in Loop: Header=BB6_9000 Depth=3
	v_or_b32_sdwa v0, v1, s81 dst_sel:DWORD dst_unused:UNUSED_PAD src0_sel:BYTE_3 src1_sel:DWORD
	s_branch .LBB6_8999
.LBB6_9428:                             ;   in Loop: Header=BB6_9000 Depth=3
	s_or_saveexec_b64 s[40:41], s[40:41]
	v_bfrev_b32_e32 v1, 1
	s_xor_b64 exec, exec, s[40:41]
	s_cbranch_execz .LBB6_9010
.LBB6_9429:                             ;   in Loop: Header=BB6_9000 Depth=3
	v_cmp_ne_u16_sdwa s[36:37], v8, v21 src0_sel:BYTE_0 src1_sel:DWORD
	s_andn2_b64 s[28:29], s[28:29], exec
	s_and_b64 s[36:37], s[36:37], exec
	v_mov_b32_e32 v1, 0
	s_or_b64 s[28:29], s[28:29], s[36:37]
	s_or_b64 exec, exec, s[40:41]
	s_and_saveexec_b64 s[40:41], s[28:29]
	s_cbranch_execnz .LBB6_9011
	s_branch .LBB6_9012
.LBB6_9430:                             ;   in Loop: Header=BB6_9000 Depth=3
	s_or_saveexec_b64 s[36:37], s[36:37]
	v_bfrev_b32_e32 v0, 1
	s_xor_b64 exec, exec, s[36:37]
	s_cbranch_execz .LBB6_9038
.LBB6_9431:                             ;   in Loop: Header=BB6_9000 Depth=3
	v_cmp_ne_u16_e64 s[28:29], 0, v20
	s_andn2_b64 s[40:41], s[40:41], exec
	s_and_b64 s[28:29], s[28:29], exec
	v_mov_b32_e32 v0, 0
	s_or_b64 s[40:41], s[40:41], s[28:29]
	s_or_b64 exec, exec, s[36:37]
	s_and_saveexec_b64 s[36:37], s[40:41]
	s_cbranch_execnz .LBB6_9039
	s_branch .LBB6_9040
.LBB6_9432:                             ;   in Loop: Header=BB6_9000 Depth=3
	s_or_saveexec_b64 s[40:41], s[40:41]
	v_bfrev_b32_e32 v0, 1
	s_xor_b64 exec, exec, s[40:41]
	s_cbranch_execz .LBB6_9066
.LBB6_9433:                             ;   in Loop: Header=BB6_9000 Depth=3
	v_cmp_ne_u16_sdwa s[36:37], v2, v21 src0_sel:BYTE_0 src1_sel:DWORD
	s_andn2_b64 s[28:29], s[28:29], exec
	s_and_b64 s[36:37], s[36:37], exec
	v_mov_b32_e32 v0, 0
	s_or_b64 s[28:29], s[28:29], s[36:37]
	s_or_b64 exec, exec, s[40:41]
	s_and_saveexec_b64 s[40:41], s[28:29]
	s_cbranch_execnz .LBB6_9067
	s_branch .LBB6_9068
.LBB6_9434:                             ;   in Loop: Header=BB6_9000 Depth=3
	s_or_saveexec_b64 s[36:37], s[36:37]
	v_bfrev_b32_e32 v0, 1
	s_xor_b64 exec, exec, s[36:37]
	s_cbranch_execz .LBB6_9146
.LBB6_9435:                             ;   in Loop: Header=BB6_9000 Depth=3
	v_cmp_ne_u16_e64 s[28:29], 0, v20
	s_andn2_b64 s[40:41], s[40:41], exec
	s_and_b64 s[28:29], s[28:29], exec
	v_mov_b32_e32 v0, 0
	s_or_b64 s[40:41], s[40:41], s[28:29]
	s_or_b64 exec, exec, s[36:37]
	s_and_saveexec_b64 s[36:37], s[40:41]
	s_cbranch_execnz .LBB6_9147
	s_branch .LBB6_9148
.LBB6_9436:                             ;   in Loop: Header=BB6_9000 Depth=3
	s_or_saveexec_b64 s[40:41], s[40:41]
	v_bfrev_b32_e32 v0, 1
	s_xor_b64 exec, exec, s[40:41]
	s_cbranch_execz .LBB6_9174
.LBB6_9437:                             ;   in Loop: Header=BB6_9000 Depth=3
	v_cmp_ne_u16_sdwa s[36:37], v2, v21 src0_sel:BYTE_0 src1_sel:DWORD
	s_andn2_b64 s[28:29], s[28:29], exec
	s_and_b64 s[36:37], s[36:37], exec
	v_mov_b32_e32 v0, 0
	s_or_b64 s[28:29], s[28:29], s[36:37]
	s_or_b64 exec, exec, s[40:41]
	s_and_saveexec_b64 s[40:41], s[28:29]
	s_cbranch_execnz .LBB6_9175
	s_branch .LBB6_9176
.LBB6_9438:                             ;   in Loop: Header=BB6_9000 Depth=3
	s_or_saveexec_b64 s[40:41], s[40:41]
	v_bfrev_b32_e32 v1, 1
	s_xor_b64 exec, exec, s[40:41]
	s_cbranch_execz .LBB6_9224
.LBB6_9439:                             ;   in Loop: Header=BB6_9000 Depth=3
	v_cmp_ne_u16_sdwa s[36:37], v10, v21 src0_sel:BYTE_0 src1_sel:DWORD
	s_andn2_b64 s[28:29], s[28:29], exec
	s_and_b64 s[36:37], s[36:37], exec
	v_mov_b32_e32 v1, 0
	s_or_b64 s[28:29], s[28:29], s[36:37]
	s_or_b64 exec, exec, s[40:41]
	s_and_saveexec_b64 s[40:41], s[28:29]
	s_cbranch_execnz .LBB6_9225
	s_branch .LBB6_9226
.LBB6_9440:                             ;   in Loop: Header=BB6_9000 Depth=3
	s_or_saveexec_b64 s[36:37], s[36:37]
	v_bfrev_b32_e32 v0, 1
	s_xor_b64 exec, exec, s[36:37]
	s_cbranch_execz .LBB6_9252
.LBB6_9441:                             ;   in Loop: Header=BB6_9000 Depth=3
	v_cmp_ne_u16_e64 s[28:29], 0, v20
	s_andn2_b64 s[40:41], s[40:41], exec
	s_and_b64 s[28:29], s[28:29], exec
	v_mov_b32_e32 v0, 0
	s_or_b64 s[40:41], s[40:41], s[28:29]
	s_or_b64 exec, exec, s[36:37]
	s_and_saveexec_b64 s[36:37], s[40:41]
	s_cbranch_execnz .LBB6_9253
	s_branch .LBB6_9254
.LBB6_9442:                             ;   in Loop: Header=BB6_9000 Depth=3
	s_or_saveexec_b64 s[40:41], s[40:41]
	v_bfrev_b32_e32 v0, 1
	s_xor_b64 exec, exec, s[40:41]
	s_cbranch_execz .LBB6_9280
.LBB6_9443:                             ;   in Loop: Header=BB6_9000 Depth=3
	v_cmp_ne_u16_sdwa s[36:37], v2, v21 src0_sel:BYTE_0 src1_sel:DWORD
	s_andn2_b64 s[28:29], s[28:29], exec
	s_and_b64 s[36:37], s[36:37], exec
	v_mov_b32_e32 v0, 0
	s_or_b64 s[28:29], s[28:29], s[36:37]
	s_or_b64 exec, exec, s[40:41]
	s_and_saveexec_b64 s[40:41], s[28:29]
	s_cbranch_execnz .LBB6_9281
	s_branch .LBB6_9282
.LBB6_9444:                             ;   in Loop: Header=BB6_9000 Depth=3
	s_or_saveexec_b64 s[36:37], s[36:37]
	v_bfrev_b32_e32 v0, 1
	s_xor_b64 exec, exec, s[36:37]
	s_cbranch_execz .LBB6_9360
.LBB6_9445:                             ;   in Loop: Header=BB6_9000 Depth=3
	v_cmp_ne_u16_e64 s[28:29], 0, v20
	s_andn2_b64 s[40:41], s[40:41], exec
	s_and_b64 s[28:29], s[28:29], exec
	v_mov_b32_e32 v0, 0
	s_or_b64 s[40:41], s[40:41], s[28:29]
	s_or_b64 exec, exec, s[36:37]
	s_and_saveexec_b64 s[36:37], s[40:41]
	s_cbranch_execnz .LBB6_9361
	s_branch .LBB6_9362
.LBB6_9446:                             ;   in Loop: Header=BB6_9000 Depth=3
	s_or_saveexec_b64 s[40:41], s[40:41]
	v_bfrev_b32_e32 v0, 1
	s_xor_b64 exec, exec, s[40:41]
	s_cbranch_execz .LBB6_9388
.LBB6_9447:                             ;   in Loop: Header=BB6_9000 Depth=3
	v_cmp_ne_u16_sdwa s[36:37], v2, v21 src0_sel:BYTE_0 src1_sel:DWORD
	s_andn2_b64 s[28:29], s[28:29], exec
	s_and_b64 s[36:37], s[36:37], exec
	v_mov_b32_e32 v0, 0
	s_or_b64 s[28:29], s[28:29], s[36:37]
	s_or_b64 exec, exec, s[40:41]
	s_and_saveexec_b64 s[40:41], s[28:29]
	s_cbranch_execnz .LBB6_9389
	s_branch .LBB6_9390
.LBB6_9448:                             ;   in Loop: Header=BB6_3791 Depth=2
	s_or_b64 exec, exec, s[34:35]
.LBB6_9449:                             ;   in Loop: Header=BB6_3791 Depth=2
	s_or_b64 exec, exec, s[30:31]
	buffer_load_dword v0, off, s[0:3], s33 offset:324 ; 4-byte Folded Reload
	v_mov_b32_e32 v4, 0
	s_mov_b64 s[30:31], 0
                                        ; implicit-def: $vgpr2
	s_waitcnt vmcnt(0)
	v_and_b32_e32 v1, 15, v0
	v_cndmask_b32_e32 v5, v28, v1, vcc
	v_cmp_ne_u32_e64 s[28:29], 0, v5
                                        ; implicit-def: $vgpr0
	s_and_saveexec_b64 s[40:41], s[28:29]
	s_cbranch_execz .LBB6_9451
; %bb.9450:                             ;   in Loop: Header=BB6_3791 Depth=2
	v_sub_u32_e32 v0, v28, v1
	v_cndmask_b32_e32 v0, 0, v0, vcc
	v_cmp_lt_i32_e32 vcc, 0, v27
	v_add3_u32 v4, v26, v24, v0
	v_cndmask_b32_e32 v0, 0, v49, vcc
	v_sub_u32_e32 v0, v0, v27
	v_lshl_add_u32 v2, v0, 6, v25
	v_ashrrev_i32_e32 v0, 31, v2
	v_lshrrev_b32_e32 v0, 26, v0
	v_add_u32_e32 v0, v2, v0
	v_ashrrev_i32_e32 v0, 6, v0
	s_mov_b64 s[30:31], exec
.LBB6_9451:                             ;   in Loop: Header=BB6_3791 Depth=2
	s_or_b64 exec, exec, s[40:41]
	s_and_b64 s[28:29], s[30:31], exec
.LBB6_9452:                             ;   in Loop: Header=BB6_3791 Depth=2
	s_or_b64 exec, exec, s[42:43]
	s_and_saveexec_b64 s[40:41], s[28:29]
	s_cbranch_execz .LBB6_10517
.LBB6_9453:                             ;   in Loop: Header=BB6_3791 Depth=2
	s_waitcnt vmcnt(0)
	v_ashrrev_i32_e32 v1, 31, v5
	v_lshrrev_b32_e32 v1, 21, v1
	v_add_u32_e32 v1, v5, v1
	v_ashrrev_i32_e32 v1, 11, v1
	v_sub_u32_e32 v3, v1, v0
	v_cmp_lt_i32_e32 vcc, 0, v3
	s_and_saveexec_b64 s[42:43], vcc
	s_cbranch_execz .LBB6_10481
; %bb.9454:                             ;   in Loop: Header=BB6_3791 Depth=2
	buffer_store_dword v1, off, s[0:3], s33 offset:188 ; 4-byte Folded Spill
	buffer_store_dword v5, off, s[0:3], s33 offset:168 ; 4-byte Folded Spill
	v_ashrrev_i32_e32 v1, 31, v2
	v_lshrrev_b32_e32 v1, 26, v1
	v_add_u32_e32 v1, v2, v1
	v_and_b32_e32 v1, 0xffffffc0, v1
	v_sub_u32_e32 v1, v2, v1
	v_lshlrev_b32_e32 v0, 11, v0
	buffer_store_dword v2, off, s[0:3], s33 offset:184 ; 4-byte Folded Spill
	buffer_store_dword v4, off, s[0:3], s33 offset:164 ; 4-byte Folded Spill
	v_add3_u32 v2, v4, v1, v0
	s_trap 2
	ds_read_b64 v[0:1], v0
	buffer_load_dword v4, off, s[0:3], s33 offset:336 ; 4-byte Folded Reload
	buffer_load_dword v5, off, s[0:3], s33 offset:340 ; 4-byte Folded Reload
	v_ashrrev_i32_e32 v6, 31, v2
	s_mov_b64 s[30:31], 0
	s_waitcnt vmcnt(0)
	v_add_co_u32_e32 v4, vcc, v2, v4
	v_addc_co_u32_e32 v5, vcc, v6, v5, vcc
	s_waitcnt lgkmcnt(0)
	v_add_co_u32_e32 v8, vcc, v0, v2
	v_addc_co_u32_e32 v9, vcc, v1, v6, vcc
	buffer_load_dword v0, off, s[0:3], s33 offset:344 ; 4-byte Folded Reload
	buffer_load_dword v1, off, s[0:3], s33 offset:348 ; 4-byte Folded Reload
	s_waitcnt vmcnt(1)
	v_add_co_u32_e32 v0, vcc, 0x7c0, v0
	s_waitcnt vmcnt(0)
	v_addc_co_u32_e32 v1, vcc, 0, v1, vcc
	v_add_co_u32_e32 v10, vcc, v0, v2
	v_addc_co_u32_e32 v11, vcc, v1, v6, vcc
	s_branch .LBB6_9456
.LBB6_9455:                             ;   in Loop: Header=BB6_9456 Depth=3
	s_or_b64 exec, exec, s[28:29]
	v_add_co_u32_e32 v33, vcc, 0xfffff840, v10
	v_addc_co_u32_e32 v34, vcc, -1, v11, vcc
	flat_store_byte v[33:34], v48 glc slc
	v_add_co_u32_e32 v33, vcc, 0xfffff880, v10
	v_addc_co_u32_e32 v34, vcc, -1, v11, vcc
	flat_store_byte v[33:34], v39 glc slc
	;; [unrolled: 3-line block ×5, first 2 shown]
	v_add_co_u32_e32 v33, vcc, 0xfffff980, v10
	v_addc_co_u32_e32 v34, vcc, -1, v11, vcc
	v_add_co_u32_e32 v31, vcc, 0xfffff9c0, v10
	flat_store_byte v[33:34], v32 glc slc
	v_addc_co_u32_e32 v32, vcc, -1, v11, vcc
	flat_store_byte v[31:32], v35 glc slc
	v_add_co_u32_e32 v31, vcc, 0xfffffa00, v10
	v_addc_co_u32_e32 v32, vcc, -1, v11, vcc
	flat_store_byte v[31:32], v38 glc slc
	v_add_co_u32_e32 v31, vcc, 0xfffffa40, v10
	;; [unrolled: 3-line block ×9, first 2 shown]
	v_addc_co_u32_e32 v32, vcc, -1, v11, vcc
	v_add_co_u32_e32 v29, vcc, 0xfffffc40, v10
	flat_store_byte v[31:32], v30 glc slc
	v_addc_co_u32_e32 v30, vcc, -1, v11, vcc
	flat_store_byte v[29:30], v7 glc slc
	v_add_co_u32_e32 v29, vcc, 0xfffffc80, v10
	v_addc_co_u32_e32 v30, vcc, -1, v11, vcc
	flat_store_byte v[29:30], v6 glc slc
	v_add_co_u32_e32 v6, vcc, 0xfffffcc0, v10
	;; [unrolled: 3-line block ×14, first 2 shown]
	v_addc_co_u32_e32 v7, vcc, -1, v11, vcc
	flat_store_byte v[6:7], v26 glc slc
	flat_store_byte v[10:11], v1 glc slc
	buffer_load_dword v0, off, s[0:3], s33 offset:192 ; 4-byte Folded Reload
	buffer_load_dword v49, off, s[0:3], s33 offset:92 ; 4-byte Folded Reload
	s_waitcnt vmcnt(0)
	v_add_co_u32_e32 v4, vcc, v4, v0
	v_addc_co_u32_e32 v5, vcc, 0, v5, vcc
	v_add_co_u32_e32 v8, vcc, v8, v0
	v_addc_co_u32_e32 v9, vcc, 0, v9, vcc
	v_sub_u32_e32 v3, v3, v49
	v_cmp_gt_i32_e32 vcc, 1, v3
	s_or_b64 s[30:31], vcc, s[30:31]
	v_add_co_u32_e32 v10, vcc, v10, v0
	v_addc_co_u32_e32 v11, vcc, 0, v11, vcc
	s_andn2_b64 exec, exec, s[30:31]
	s_cbranch_execz .LBB6_10480
.LBB6_9456:                             ;   Parent Loop BB6_47 Depth=1
                                        ;     Parent Loop BB6_3791 Depth=2
                                        ; =>    This Inner Loop Header: Depth=3
	flat_load_ubyte v2, v[4:5] glc slc
	flat_load_ubyte v34, v[4:5] offset:64 glc slc
	flat_load_ubyte v31, v[4:5] offset:128 glc slc
	flat_load_ubyte v27, v[4:5] offset:192 glc slc
	flat_load_ubyte v24, v[4:5] offset:256 glc slc
	flat_load_ubyte v28, v[4:5] offset:320 glc slc
	flat_load_ubyte v18, v[4:5] offset:384 glc slc
	flat_load_ubyte v17, v[4:5] offset:448 glc slc
	flat_load_ubyte v15, v[4:5] offset:512 glc slc
	flat_load_ubyte v14, v[4:5] offset:576 glc slc
	flat_load_ubyte v25, v[4:5] offset:640 glc slc
	flat_load_ubyte v22, v[4:5] offset:704 glc slc
	flat_load_ubyte v19, v[4:5] offset:768 glc slc
	flat_load_ubyte v59, v[4:5] offset:832 glc slc
	flat_load_ubyte v46, v[4:5] offset:896 glc slc
	flat_load_ubyte v16, v[4:5] offset:960 glc slc
	flat_load_ubyte v42, v[4:5] offset:1024 glc slc
	flat_load_ubyte v12, v[4:5] offset:1088 glc slc
	flat_load_ubyte v61, v[4:5] offset:1152 glc slc
	flat_load_ubyte v58, v[4:5] offset:1216 glc slc
	flat_load_ubyte v45, v[4:5] offset:1280 glc slc
	flat_load_ubyte v41, v[4:5] offset:1344 glc slc
	flat_load_ubyte v54, v[4:5] offset:1408 glc slc
	flat_load_ubyte v0, v[4:5] offset:1472 glc slc
	v_mov_b32_e32 v20, 0
	v_mov_b32_e32 v36, 0
	s_waitcnt vmcnt(0) lgkmcnt(0)
	v_cmp_ne_u16_e32 vcc, 0, v2
	buffer_store_dword v0, off, s[0:3], s33 offset:156 ; 4-byte Folded Spill
	flat_load_ubyte v0, v[4:5] offset:1536 glc slc
	s_waitcnt vmcnt(0) lgkmcnt(0)
	buffer_store_dword v0, off, s[0:3], s33 offset:148 ; 4-byte Folded Spill
	flat_load_ubyte v0, v[4:5] offset:1600 glc slc
	s_waitcnt vmcnt(0) lgkmcnt(0)
	;; [unrolled: 3-line block ×7, first 2 shown]
	buffer_store_dword v0, off, s[0:3], s33 offset:100 ; 4-byte Folded Spill
	flat_load_ubyte v51, v[4:5] offset:1984 glc slc
	flat_load_ubyte v1, v[8:9] glc slc
	flat_load_ubyte v33, v[8:9] offset:64 glc slc
	flat_load_ubyte v29, v[8:9] offset:128 glc slc
	;; [unrolled: 1-line block ×23, first 2 shown]
	s_waitcnt vmcnt(0) lgkmcnt(0)
	buffer_store_dword v0, off, s[0:3], s33 offset:160 ; 4-byte Folded Spill
	flat_load_ubyte v0, v[8:9] offset:1472 glc slc
	s_waitcnt vmcnt(0) lgkmcnt(0)
	buffer_store_dword v0, off, s[0:3], s33 offset:152 ; 4-byte Folded Spill
	flat_load_ubyte v0, v[8:9] offset:1536 glc slc
	;; [unrolled: 3-line block ×8, first 2 shown]
	s_waitcnt vmcnt(0) lgkmcnt(0)
	buffer_store_dword v0, off, s[0:3], s33 offset:96 ; 4-byte Folded Spill
	s_and_saveexec_b64 s[28:29], vcc
	s_cbranch_execz .LBB6_9462
; %bb.9457:                             ;   in Loop: Header=BB6_9456 Depth=3
	v_cmp_ne_u16_e32 vcc, s80, v2
	v_bfrev_b32_e32 v36, 1
	s_and_saveexec_b64 s[34:35], vcc
	s_cbranch_execz .LBB6_9461
; %bb.9458:                             ;   in Loop: Header=BB6_9456 Depth=3
	v_and_b32_e32 v0, 0xffff, v2
	v_and_b32_e32 v37, 0x7f, v0
	v_cmp_ne_u32_e32 vcc, s81, v37
	v_mov_b32_e32 v36, 0x7f800001
	s_and_saveexec_b64 s[36:37], vcc
	s_cbranch_execz .LBB6_9460
; %bb.9459:                             ;   in Loop: Header=BB6_9456 Depth=3
	v_and_b32_e32 v39, 7, v0
	v_ffbh_u32_e32 v36, v39
	v_mov_b32_e32 v53, v51
	v_min_u32_e32 v51, 32, v36
	v_subrev_u32_e32 v36, 28, v51
	v_mov_b32_e32 v48, v50
	v_lshrrev_b32_e32 v50, 3, v37
	v_cmp_gt_u32_e32 vcc, 8, v37
	v_lshlrev_b64 v[36:37], v36, v[0:1]
	v_sub_u32_e32 v0, 29, v51
	v_and_b32_e32 v36, 7, v36
	v_cndmask_b32_e32 v0, v50, v0, vcc
	v_cndmask_b32_e32 v36, v39, v36, vcc
	v_lshlrev_b32_e32 v2, 24, v2
	v_bfrev_b32_e32 v37, 60
	v_lshlrev_b32_e32 v36, 20, v36
	v_and_b32_e32 v2, 0x80000000, v2
	v_lshl_add_u32 v0, v0, 23, v37
	v_mov_b32_e32 v51, v53
	v_mov_b32_e32 v50, v48
	v_or3_b32 v36, v2, v0, v36
.LBB6_9460:                             ;   in Loop: Header=BB6_9456 Depth=3
	s_or_b64 exec, exec, s[36:37]
.LBB6_9461:                             ;   in Loop: Header=BB6_9456 Depth=3
	s_or_b64 exec, exec, s[34:35]
.LBB6_9462:                             ;   in Loop: Header=BB6_9456 Depth=3
	s_or_b64 exec, exec, s[28:29]
	v_and_b32_e32 v0, 0xff, v1
	v_cmp_ne_u16_e32 vcc, 0, v0
	s_and_saveexec_b64 s[28:29], vcc
	s_cbranch_execz .LBB6_9468
; %bb.9463:                             ;   in Loop: Header=BB6_9456 Depth=3
	v_cmp_ne_u16_e32 vcc, s80, v0
	v_bfrev_b32_e32 v20, 1
	s_and_saveexec_b64 s[34:35], vcc
	s_cbranch_execz .LBB6_9467
; %bb.9464:                             ;   in Loop: Header=BB6_9456 Depth=3
	v_and_b32_e32 v2, 0x7f, v1
	v_cmp_ne_u32_e32 vcc, s81, v2
	v_mov_b32_e32 v20, 0x7f800001
	s_and_saveexec_b64 s[36:37], vcc
	s_cbranch_execz .LBB6_9466
; %bb.9465:                             ;   in Loop: Header=BB6_9456 Depth=3
	v_and_b32_e32 v20, 7, v0
	v_lshrrev_b32_e32 v37, 3, v2
	v_cmp_gt_u32_e32 vcc, 8, v2
	v_ffbh_u32_e32 v2, v20
	v_min_u32_e32 v2, 32, v2
	v_subrev_u32_e32 v39, 28, v2
	v_mov_b32_e32 v48, v50
	v_mov_b32_e32 v53, v51
	v_lshlrev_b64 v[50:51], v39, v[0:1]
	v_sub_u32_e32 v0, 29, v2
	v_and_b32_e32 v2, 7, v50
	v_cndmask_b32_e32 v0, v37, v0, vcc
	v_cndmask_b32_e32 v2, v20, v2, vcc
	v_lshlrev_b32_e32 v1, 24, v1
	v_bfrev_b32_e32 v20, 60
	v_lshlrev_b32_e32 v2, 20, v2
	v_and_b32_e32 v1, 0x80000000, v1
	v_lshl_add_u32 v0, v0, 23, v20
	v_mov_b32_e32 v51, v53
	v_mov_b32_e32 v50, v48
	v_or3_b32 v20, v1, v0, v2
.LBB6_9466:                             ;   in Loop: Header=BB6_9456 Depth=3
	s_or_b64 exec, exec, s[36:37]
.LBB6_9467:                             ;   in Loop: Header=BB6_9456 Depth=3
	s_or_b64 exec, exec, s[34:35]
.LBB6_9468:                             ;   in Loop: Header=BB6_9456 Depth=3
	s_or_b64 exec, exec, s[28:29]
	v_mul_f32_e32 v0, v36, v20
	v_and_b32_e32 v20, 0x7f800000, v0
	v_cmp_ne_u64_e32 vcc, s[62:63], v[20:21]
                                        ; implicit-def: $vgpr48
	s_and_saveexec_b64 s[28:29], vcc
	s_xor_b64 s[34:35], exec, s[28:29]
	s_cbranch_execz .LBB6_9486
; %bb.9469:                             ;   in Loop: Header=BB6_9456 Depth=3
	v_and_b32_e32 v20, 0x7fffffff, v0
	v_cmp_gt_u64_e32 vcc, s[78:79], v[20:21]
	v_and_b32_sdwa v36, v0, s80 dst_sel:DWORD dst_unused:UNUSED_PAD src0_sel:BYTE_3 src1_sel:DWORD
                                        ; implicit-def: $vgpr48
	s_and_saveexec_b64 s[28:29], vcc
	s_xor_b64 s[36:37], exec, s[28:29]
	s_cbranch_execz .LBB6_9483
; %bb.9470:                             ;   in Loop: Header=BB6_9456 Depth=3
	v_cmp_ne_u32_e32 vcc, 0, v0
	v_mov_b32_e32 v48, 0
	s_and_saveexec_b64 s[38:39], vcc
	s_cbranch_execz .LBB6_9482
; %bb.9471:                             ;   in Loop: Header=BB6_9456 Depth=3
	v_bfe_u32 v37, v0, 23, 8
	v_and_b32_e32 v1, 0x7fffff, v0
	v_cmp_gt_u32_e64 s[28:29], s47, v37
	v_sub_u32_e32 v0, 0x79, v37
	v_cmp_eq_u32_e32 vcc, 0, v37
	v_cndmask_b32_e64 v0, 0, v0, s[28:29]
	v_mov_b32_e32 v20, 0x78
	v_cndmask_b32_e32 v39, v0, v20, vcc
	v_or_b32_e32 v2, 0x800000, v1
	v_add_u32_e32 v0, 20, v39
	v_cndmask_b32_e32 v20, v2, v1, vcc
	v_lshlrev_b64 v[0:1], v0, -1
	v_add_u32_e32 v2, 19, v39
	v_mov_b32_e32 v53, v51
	v_mov_b32_e32 v48, v50
	v_lshlrev_b64 v[50:51], v2, 1
	v_bfi_b32 v1, v1, 0, 0
	v_bfi_b32 v0, v0, 0, v20
	v_cmp_eq_u64_e64 s[28:29], v[0:1], v[50:51]
	v_lshrrev_b64 v[0:1], v39, v[20:21]
	v_mov_b32_e32 v2, v1
	v_mov_b32_e32 v1, v0
	s_and_saveexec_b64 s[48:49], s[28:29]
; %bb.9472:                             ;   in Loop: Header=BB6_9456 Depth=3
	v_bfe_u32 v1, v0, 20, 1
	v_add_co_u32_e64 v1, s[28:29], v0, v1
	v_add_co_u32_e64 v1, s[28:29], -1, v1
; %bb.9473:                             ;   in Loop: Header=BB6_9456 Depth=3
	s_or_b64 exec, exec, s[48:49]
	v_add_u32_e32 v2, 0xffffff81, v37
	v_mov_b32_e32 v20, 0xffffff82
	v_cndmask_b32_e32 v2, v2, v20, vcc
	v_lshrrev_b32_e32 v20, 23, v0
	v_add3_u32 v39, v39, v2, v20
	v_add_u32_e32 v37, 6, v39
	v_and_b32_e32 v1, 0xfffff, v1
	v_add_u32_e32 v20, v1, v0
	v_cmp_ne_u32_e32 vcc, 0, v37
                                        ; implicit-def: $vgpr0_vgpr1
                                        ; implicit-def: $vgpr2
	s_and_saveexec_b64 s[28:29], vcc
	s_xor_b64 s[28:29], exec, s[28:29]
; %bb.9474:                             ;   in Loop: Header=BB6_9456 Depth=3
	v_cmp_lt_u64_e32 vcc, s[88:89], v[20:21]
	v_add_u32_e32 v0, 7, v39
	v_cndmask_b32_e32 v2, v37, v0, vcc
	v_cndmask_b32_e64 v0, 0, 1, vcc
	v_lshrrev_b64 v[0:1], v0, v[20:21]
; %bb.9475:                             ;   in Loop: Header=BB6_9456 Depth=3
	s_or_saveexec_b64 s[28:29], s[28:29]
	v_mov_b32_e32 v50, v48
	v_mov_b32_e32 v51, v53
	s_xor_b64 exec, exec, s[28:29]
; %bb.9476:                             ;   in Loop: Header=BB6_9456 Depth=3
	v_mov_b32_e32 v0, v20
	v_bfe_u32 v2, v20, 23, 1
	v_mov_b32_e32 v1, v21
; %bb.9477:                             ;   in Loop: Header=BB6_9456 Depth=3
	s_or_b64 exec, exec, s[28:29]
	v_lshrrev_b64 v[0:1], 20, v[0:1]
	v_cmp_gt_i32_e32 vcc, 16, v2
	v_cndmask_b32_e32 v1, 0, v1, vcc
	v_cndmask_b32_e32 v0, 7, v0, vcc
	v_cmp_ne_u64_e32 vcc, 0, v[0:1]
	v_cmp_ne_u32_e64 s[28:29], 0, v2
	s_or_b64 s[28:29], s[28:29], vcc
                                        ; implicit-def: $vgpr48
	s_and_saveexec_b64 vcc, s[28:29]
	s_xor_b64 s[28:29], exec, vcc
; %bb.9478:                             ;   in Loop: Header=BB6_9456 Depth=3
	v_min_i32_e32 v1, 15, v2
	v_lshl_or_b32 v1, v1, 3, v36
	v_and_or_b32 v48, v0, 7, v1
                                        ; implicit-def: $vgpr36
; %bb.9479:                             ;   in Loop: Header=BB6_9456 Depth=3
	s_andn2_saveexec_b64 s[28:29], s[28:29]
; %bb.9480:                             ;   in Loop: Header=BB6_9456 Depth=3
	v_mov_b32_e32 v48, v36
; %bb.9481:                             ;   in Loop: Header=BB6_9456 Depth=3
	s_or_b64 exec, exec, s[28:29]
.LBB6_9482:                             ;   in Loop: Header=BB6_9456 Depth=3
	s_or_b64 exec, exec, s[38:39]
                                        ; implicit-def: $vgpr36
.LBB6_9483:                             ;   in Loop: Header=BB6_9456 Depth=3
	s_andn2_saveexec_b64 s[28:29], s[36:37]
; %bb.9484:                             ;   in Loop: Header=BB6_9456 Depth=3
	v_or_b32_e32 v48, 0x7e, v36
; %bb.9485:                             ;   in Loop: Header=BB6_9456 Depth=3
	s_or_b64 exec, exec, s[28:29]
                                        ; implicit-def: $vgpr0
.LBB6_9486:                             ;   in Loop: Header=BB6_9456 Depth=3
	s_andn2_saveexec_b64 s[28:29], s[34:35]
; %bb.9487:                             ;   in Loop: Header=BB6_9456 Depth=3
	v_or_b32_sdwa v48, v0, s81 dst_sel:DWORD dst_unused:UNUSED_PAD src0_sel:BYTE_3 src1_sel:DWORD
; %bb.9488:                             ;   in Loop: Header=BB6_9456 Depth=3
	s_or_b64 exec, exec, s[28:29]
	v_and_b32_e32 v0, 0xff, v34
	v_cmp_ne_u16_e32 vcc, 0, v0
	v_mov_b32_e32 v1, 0
	v_mov_b32_e32 v2, 0
	s_and_saveexec_b64 s[28:29], vcc
	s_cbranch_execz .LBB6_9494
; %bb.9489:                             ;   in Loop: Header=BB6_9456 Depth=3
	v_cmp_ne_u16_e32 vcc, s80, v0
	v_bfrev_b32_e32 v2, 1
	s_and_saveexec_b64 s[34:35], vcc
	s_cbranch_execz .LBB6_9493
; %bb.9490:                             ;   in Loop: Header=BB6_9456 Depth=3
	v_and_b32_e32 v20, 0x7f, v34
	v_cmp_ne_u32_e32 vcc, s81, v20
	v_mov_b32_e32 v2, 0x7f800001
	s_and_saveexec_b64 s[36:37], vcc
	s_cbranch_execz .LBB6_9492
; %bb.9491:                             ;   in Loop: Header=BB6_9456 Depth=3
	v_and_b32_e32 v2, 7, v0
	v_lshrrev_b32_e32 v39, 3, v20
	v_cmp_gt_u32_e32 vcc, 8, v20
	v_ffbh_u32_e32 v20, v2
	v_min_u32_e32 v20, 32, v20
	v_subrev_u32_e32 v36, 28, v20
	v_lshlrev_b64 v[36:37], v36, v[0:1]
	v_sub_u32_e32 v0, 29, v20
	v_and_b32_e32 v20, 7, v36
	v_cndmask_b32_e32 v0, v39, v0, vcc
	v_cndmask_b32_e32 v2, v2, v20, vcc
	v_lshlrev_b32_e32 v20, 24, v34
	v_bfrev_b32_e32 v34, 60
	v_lshlrev_b32_e32 v2, 20, v2
	v_and_b32_e32 v20, 0x80000000, v20
	v_lshl_add_u32 v0, v0, 23, v34
	v_or3_b32 v2, v20, v0, v2
.LBB6_9492:                             ;   in Loop: Header=BB6_9456 Depth=3
	s_or_b64 exec, exec, s[36:37]
.LBB6_9493:                             ;   in Loop: Header=BB6_9456 Depth=3
	s_or_b64 exec, exec, s[34:35]
.LBB6_9494:                             ;   in Loop: Header=BB6_9456 Depth=3
	s_or_b64 exec, exec, s[28:29]
	v_and_b32_e32 v0, 0xff, v33
	v_cmp_ne_u16_e32 vcc, 0, v0
	s_and_saveexec_b64 s[28:29], vcc
	s_cbranch_execz .LBB6_9500
; %bb.9495:                             ;   in Loop: Header=BB6_9456 Depth=3
	v_cmp_ne_u16_e32 vcc, s80, v0
	v_bfrev_b32_e32 v1, 1
	s_and_saveexec_b64 s[34:35], vcc
	s_cbranch_execz .LBB6_9499
; %bb.9496:                             ;   in Loop: Header=BB6_9456 Depth=3
	v_and_b32_e32 v20, 0x7f, v33
	v_cmp_ne_u32_e32 vcc, s81, v20
	v_mov_b32_e32 v1, 0x7f800001
	s_and_saveexec_b64 s[36:37], vcc
	s_cbranch_execz .LBB6_9498
; %bb.9497:                             ;   in Loop: Header=BB6_9456 Depth=3
	v_and_b32_e32 v34, 7, v0
	v_ffbh_u32_e32 v1, v34
	v_lshrrev_b32_e32 v36, 3, v20
	v_cmp_gt_u32_e32 vcc, 8, v20
	v_min_u32_e32 v20, 32, v1
	v_subrev_u32_e32 v1, 28, v20
	v_lshlrev_b64 v[0:1], v1, v[0:1]
	v_sub_u32_e32 v1, 29, v20
	v_and_b32_e32 v0, 7, v0
	v_cndmask_b32_e32 v1, v36, v1, vcc
	v_cndmask_b32_e32 v0, v34, v0, vcc
	v_lshlrev_b32_e32 v20, 24, v33
	v_bfrev_b32_e32 v33, 60
	v_lshlrev_b32_e32 v0, 20, v0
	v_and_b32_e32 v20, 0x80000000, v20
	v_lshl_add_u32 v1, v1, 23, v33
	v_or3_b32 v1, v20, v1, v0
.LBB6_9498:                             ;   in Loop: Header=BB6_9456 Depth=3
	s_or_b64 exec, exec, s[36:37]
.LBB6_9499:                             ;   in Loop: Header=BB6_9456 Depth=3
	s_or_b64 exec, exec, s[34:35]
.LBB6_9500:                             ;   in Loop: Header=BB6_9456 Depth=3
	s_or_b64 exec, exec, s[28:29]
	v_mul_f32_e32 v0, v2, v1
	v_and_b32_e32 v20, 0x7f800000, v0
	v_cmp_ne_u64_e32 vcc, s[62:63], v[20:21]
                                        ; implicit-def: $vgpr39
	s_and_saveexec_b64 s[28:29], vcc
	s_xor_b64 s[34:35], exec, s[28:29]
	s_cbranch_execz .LBB6_9518
; %bb.9501:                             ;   in Loop: Header=BB6_9456 Depth=3
	v_and_b32_e32 v20, 0x7fffffff, v0
	v_cmp_gt_u64_e32 vcc, s[78:79], v[20:21]
	v_and_b32_sdwa v33, v0, s80 dst_sel:DWORD dst_unused:UNUSED_PAD src0_sel:BYTE_3 src1_sel:DWORD
                                        ; implicit-def: $vgpr39
	s_and_saveexec_b64 s[28:29], vcc
	s_xor_b64 s[36:37], exec, s[28:29]
	s_cbranch_execz .LBB6_9515
; %bb.9502:                             ;   in Loop: Header=BB6_9456 Depth=3
	v_cmp_ne_u32_e32 vcc, 0, v0
	v_mov_b32_e32 v39, 0
	s_and_saveexec_b64 s[38:39], vcc
	s_cbranch_execz .LBB6_9514
; %bb.9503:                             ;   in Loop: Header=BB6_9456 Depth=3
	v_bfe_u32 v34, v0, 23, 8
	v_and_b32_e32 v1, 0x7fffff, v0
	v_cmp_gt_u32_e64 s[28:29], s47, v34
	v_sub_u32_e32 v0, 0x79, v34
	v_cmp_eq_u32_e32 vcc, 0, v34
	v_cndmask_b32_e64 v0, 0, v0, s[28:29]
	v_mov_b32_e32 v20, 0x78
	v_cndmask_b32_e32 v36, v0, v20, vcc
	v_or_b32_e32 v2, 0x800000, v1
	v_add_u32_e32 v0, 20, v36
	v_cndmask_b32_e32 v20, v2, v1, vcc
	v_lshlrev_b64 v[0:1], v0, -1
	v_add_u32_e32 v2, 19, v36
	v_mov_b32_e32 v39, v51
	v_mov_b32_e32 v37, v50
	v_lshlrev_b64 v[50:51], v2, 1
	v_bfi_b32 v1, v1, 0, 0
	v_bfi_b32 v0, v0, 0, v20
	v_cmp_eq_u64_e64 s[28:29], v[0:1], v[50:51]
	v_lshrrev_b64 v[0:1], v36, v[20:21]
	v_mov_b32_e32 v2, v1
	v_mov_b32_e32 v1, v0
	s_and_saveexec_b64 s[48:49], s[28:29]
; %bb.9504:                             ;   in Loop: Header=BB6_9456 Depth=3
	v_bfe_u32 v1, v0, 20, 1
	v_add_co_u32_e64 v1, s[28:29], v0, v1
	v_add_co_u32_e64 v1, s[28:29], -1, v1
; %bb.9505:                             ;   in Loop: Header=BB6_9456 Depth=3
	s_or_b64 exec, exec, s[48:49]
	v_add_u32_e32 v2, 0xffffff81, v34
	v_mov_b32_e32 v20, 0xffffff82
	v_cndmask_b32_e32 v2, v2, v20, vcc
	v_lshrrev_b32_e32 v20, 23, v0
	v_add3_u32 v36, v36, v2, v20
	v_add_u32_e32 v34, 6, v36
	v_and_b32_e32 v1, 0xfffff, v1
	v_add_u32_e32 v20, v1, v0
	v_cmp_ne_u32_e32 vcc, 0, v34
                                        ; implicit-def: $vgpr0_vgpr1
                                        ; implicit-def: $vgpr2
	s_and_saveexec_b64 s[28:29], vcc
	s_xor_b64 s[28:29], exec, s[28:29]
; %bb.9506:                             ;   in Loop: Header=BB6_9456 Depth=3
	v_cmp_lt_u64_e32 vcc, s[88:89], v[20:21]
	v_add_u32_e32 v0, 7, v36
	v_cndmask_b32_e32 v2, v34, v0, vcc
	v_cndmask_b32_e64 v0, 0, 1, vcc
	v_lshrrev_b64 v[0:1], v0, v[20:21]
; %bb.9507:                             ;   in Loop: Header=BB6_9456 Depth=3
	s_or_saveexec_b64 s[28:29], s[28:29]
	v_mov_b32_e32 v50, v37
	v_mov_b32_e32 v51, v39
	s_xor_b64 exec, exec, s[28:29]
; %bb.9508:                             ;   in Loop: Header=BB6_9456 Depth=3
	v_mov_b32_e32 v0, v20
	v_bfe_u32 v2, v20, 23, 1
	v_mov_b32_e32 v1, v21
; %bb.9509:                             ;   in Loop: Header=BB6_9456 Depth=3
	s_or_b64 exec, exec, s[28:29]
	v_lshrrev_b64 v[0:1], 20, v[0:1]
	v_cmp_gt_i32_e32 vcc, 16, v2
	v_cndmask_b32_e32 v1, 0, v1, vcc
	v_cndmask_b32_e32 v0, 7, v0, vcc
	v_cmp_ne_u64_e32 vcc, 0, v[0:1]
	v_cmp_ne_u32_e64 s[28:29], 0, v2
	s_or_b64 s[28:29], s[28:29], vcc
                                        ; implicit-def: $vgpr39
	s_and_saveexec_b64 vcc, s[28:29]
	s_xor_b64 s[28:29], exec, vcc
; %bb.9510:                             ;   in Loop: Header=BB6_9456 Depth=3
	v_min_i32_e32 v1, 15, v2
	v_lshl_or_b32 v1, v1, 3, v33
	v_and_or_b32 v39, v0, 7, v1
                                        ; implicit-def: $vgpr33
; %bb.9511:                             ;   in Loop: Header=BB6_9456 Depth=3
	s_andn2_saveexec_b64 s[28:29], s[28:29]
; %bb.9512:                             ;   in Loop: Header=BB6_9456 Depth=3
	v_mov_b32_e32 v39, v33
; %bb.9513:                             ;   in Loop: Header=BB6_9456 Depth=3
	s_or_b64 exec, exec, s[28:29]
.LBB6_9514:                             ;   in Loop: Header=BB6_9456 Depth=3
	s_or_b64 exec, exec, s[38:39]
                                        ; implicit-def: $vgpr33
.LBB6_9515:                             ;   in Loop: Header=BB6_9456 Depth=3
	s_andn2_saveexec_b64 s[28:29], s[36:37]
; %bb.9516:                             ;   in Loop: Header=BB6_9456 Depth=3
	v_or_b32_e32 v39, 0x7e, v33
; %bb.9517:                             ;   in Loop: Header=BB6_9456 Depth=3
	s_or_b64 exec, exec, s[28:29]
                                        ; implicit-def: $vgpr0
.LBB6_9518:                             ;   in Loop: Header=BB6_9456 Depth=3
	s_andn2_saveexec_b64 s[28:29], s[34:35]
; %bb.9519:                             ;   in Loop: Header=BB6_9456 Depth=3
	v_or_b32_sdwa v39, v0, s81 dst_sel:DWORD dst_unused:UNUSED_PAD src0_sel:BYTE_3 src1_sel:DWORD
; %bb.9520:                             ;   in Loop: Header=BB6_9456 Depth=3
	s_or_b64 exec, exec, s[28:29]
	v_and_b32_e32 v0, 0xff, v31
	v_cmp_ne_u16_e32 vcc, 0, v0
	v_mov_b32_e32 v1, 0
	v_mov_b32_e32 v2, 0
	s_and_saveexec_b64 s[28:29], vcc
	s_cbranch_execz .LBB6_9526
; %bb.9521:                             ;   in Loop: Header=BB6_9456 Depth=3
	v_cmp_ne_u16_e32 vcc, s80, v0
	v_bfrev_b32_e32 v2, 1
	s_and_saveexec_b64 s[34:35], vcc
	s_cbranch_execz .LBB6_9525
; %bb.9522:                             ;   in Loop: Header=BB6_9456 Depth=3
	v_and_b32_e32 v20, 0x7f, v31
	v_cmp_ne_u32_e32 vcc, s81, v20
	v_mov_b32_e32 v2, 0x7f800001
	s_and_saveexec_b64 s[36:37], vcc
	s_cbranch_execz .LBB6_9524
; %bb.9523:                             ;   in Loop: Header=BB6_9456 Depth=3
	v_and_b32_e32 v2, 7, v0
	v_lshrrev_b32_e32 v36, 3, v20
	v_cmp_gt_u32_e32 vcc, 8, v20
	v_ffbh_u32_e32 v20, v2
	v_min_u32_e32 v20, 32, v20
	v_subrev_u32_e32 v33, 28, v20
	v_lshlrev_b64 v[33:34], v33, v[0:1]
	v_sub_u32_e32 v0, 29, v20
	v_and_b32_e32 v20, 7, v33
	v_cndmask_b32_e32 v0, v36, v0, vcc
	v_cndmask_b32_e32 v2, v2, v20, vcc
	v_lshlrev_b32_e32 v20, 24, v31
	v_bfrev_b32_e32 v31, 60
	v_lshlrev_b32_e32 v2, 20, v2
	v_and_b32_e32 v20, 0x80000000, v20
	v_lshl_add_u32 v0, v0, 23, v31
	v_or3_b32 v2, v20, v0, v2
.LBB6_9524:                             ;   in Loop: Header=BB6_9456 Depth=3
	s_or_b64 exec, exec, s[36:37]
.LBB6_9525:                             ;   in Loop: Header=BB6_9456 Depth=3
	s_or_b64 exec, exec, s[34:35]
.LBB6_9526:                             ;   in Loop: Header=BB6_9456 Depth=3
	s_or_b64 exec, exec, s[28:29]
	v_and_b32_e32 v0, 0xff, v29
	v_cmp_ne_u16_e32 vcc, 0, v0
	s_and_saveexec_b64 s[28:29], vcc
	s_cbranch_execz .LBB6_9532
; %bb.9527:                             ;   in Loop: Header=BB6_9456 Depth=3
	v_cmp_ne_u16_e32 vcc, s80, v0
	v_bfrev_b32_e32 v1, 1
	s_and_saveexec_b64 s[34:35], vcc
	s_cbranch_execz .LBB6_9531
; %bb.9528:                             ;   in Loop: Header=BB6_9456 Depth=3
	v_and_b32_e32 v20, 0x7f, v29
	v_cmp_ne_u32_e32 vcc, s81, v20
	v_mov_b32_e32 v1, 0x7f800001
	s_and_saveexec_b64 s[36:37], vcc
	s_cbranch_execz .LBB6_9530
; %bb.9529:                             ;   in Loop: Header=BB6_9456 Depth=3
	v_and_b32_e32 v31, 7, v0
	v_ffbh_u32_e32 v1, v31
	v_lshrrev_b32_e32 v33, 3, v20
	v_cmp_gt_u32_e32 vcc, 8, v20
	v_min_u32_e32 v20, 32, v1
	v_subrev_u32_e32 v1, 28, v20
	v_lshlrev_b64 v[0:1], v1, v[0:1]
	v_sub_u32_e32 v1, 29, v20
	v_and_b32_e32 v0, 7, v0
	v_cndmask_b32_e32 v1, v33, v1, vcc
	v_cndmask_b32_e32 v0, v31, v0, vcc
	v_lshlrev_b32_e32 v20, 24, v29
	v_bfrev_b32_e32 v29, 60
	v_lshlrev_b32_e32 v0, 20, v0
	v_and_b32_e32 v20, 0x80000000, v20
	v_lshl_add_u32 v1, v1, 23, v29
	v_or3_b32 v1, v20, v1, v0
.LBB6_9530:                             ;   in Loop: Header=BB6_9456 Depth=3
	s_or_b64 exec, exec, s[36:37]
.LBB6_9531:                             ;   in Loop: Header=BB6_9456 Depth=3
	s_or_b64 exec, exec, s[34:35]
.LBB6_9532:                             ;   in Loop: Header=BB6_9456 Depth=3
	s_or_b64 exec, exec, s[28:29]
	v_mul_f32_e32 v0, v2, v1
	v_and_b32_e32 v20, 0x7f800000, v0
	v_cmp_ne_u64_e32 vcc, s[62:63], v[20:21]
                                        ; implicit-def: $vgpr36
	s_and_saveexec_b64 s[28:29], vcc
	s_xor_b64 s[34:35], exec, s[28:29]
	s_cbranch_execz .LBB6_9550
; %bb.9533:                             ;   in Loop: Header=BB6_9456 Depth=3
	v_and_b32_e32 v20, 0x7fffffff, v0
	v_cmp_gt_u64_e32 vcc, s[78:79], v[20:21]
	v_and_b32_sdwa v29, v0, s80 dst_sel:DWORD dst_unused:UNUSED_PAD src0_sel:BYTE_3 src1_sel:DWORD
                                        ; implicit-def: $vgpr36
	s_and_saveexec_b64 s[28:29], vcc
	s_xor_b64 s[36:37], exec, s[28:29]
	s_cbranch_execz .LBB6_9547
; %bb.9534:                             ;   in Loop: Header=BB6_9456 Depth=3
	v_cmp_ne_u32_e32 vcc, 0, v0
	v_mov_b32_e32 v36, 0
	s_and_saveexec_b64 s[38:39], vcc
	s_cbranch_execz .LBB6_9546
; %bb.9535:                             ;   in Loop: Header=BB6_9456 Depth=3
	v_bfe_u32 v31, v0, 23, 8
	v_and_b32_e32 v1, 0x7fffff, v0
	v_cmp_gt_u32_e64 s[28:29], s47, v31
	v_sub_u32_e32 v0, 0x79, v31
	v_cmp_eq_u32_e32 vcc, 0, v31
	v_cndmask_b32_e64 v0, 0, v0, s[28:29]
	v_mov_b32_e32 v20, 0x78
	v_cndmask_b32_e32 v33, v0, v20, vcc
	v_or_b32_e32 v2, 0x800000, v1
	v_add_u32_e32 v0, 20, v33
	v_cndmask_b32_e32 v20, v2, v1, vcc
	v_lshlrev_b64 v[0:1], v0, -1
	v_add_u32_e32 v2, 19, v33
	v_lshlrev_b64 v[36:37], v2, 1
	v_bfi_b32 v1, v1, 0, 0
	v_bfi_b32 v0, v0, 0, v20
	v_cmp_eq_u64_e64 s[28:29], v[0:1], v[36:37]
	v_lshrrev_b64 v[0:1], v33, v[20:21]
	v_mov_b32_e32 v2, v1
	v_mov_b32_e32 v1, v0
	s_and_saveexec_b64 s[48:49], s[28:29]
; %bb.9536:                             ;   in Loop: Header=BB6_9456 Depth=3
	v_bfe_u32 v1, v0, 20, 1
	v_add_co_u32_e64 v1, s[28:29], v0, v1
	v_add_co_u32_e64 v1, s[28:29], -1, v1
; %bb.9537:                             ;   in Loop: Header=BB6_9456 Depth=3
	s_or_b64 exec, exec, s[48:49]
	v_add_u32_e32 v2, 0xffffff81, v31
	v_mov_b32_e32 v20, 0xffffff82
	v_cndmask_b32_e32 v2, v2, v20, vcc
	v_lshrrev_b32_e32 v20, 23, v0
	v_add3_u32 v33, v33, v2, v20
	v_add_u32_e32 v31, 6, v33
	v_and_b32_e32 v1, 0xfffff, v1
	v_add_u32_e32 v20, v1, v0
	v_cmp_ne_u32_e32 vcc, 0, v31
                                        ; implicit-def: $vgpr0_vgpr1
                                        ; implicit-def: $vgpr2
	s_and_saveexec_b64 s[28:29], vcc
	s_xor_b64 s[28:29], exec, s[28:29]
; %bb.9538:                             ;   in Loop: Header=BB6_9456 Depth=3
	v_cmp_lt_u64_e32 vcc, s[88:89], v[20:21]
	v_add_u32_e32 v0, 7, v33
	v_cndmask_b32_e32 v2, v31, v0, vcc
	v_cndmask_b32_e64 v0, 0, 1, vcc
	v_lshrrev_b64 v[0:1], v0, v[20:21]
; %bb.9539:                             ;   in Loop: Header=BB6_9456 Depth=3
	s_andn2_saveexec_b64 s[28:29], s[28:29]
; %bb.9540:                             ;   in Loop: Header=BB6_9456 Depth=3
	v_mov_b32_e32 v0, v20
	v_bfe_u32 v2, v20, 23, 1
	v_mov_b32_e32 v1, v21
; %bb.9541:                             ;   in Loop: Header=BB6_9456 Depth=3
	s_or_b64 exec, exec, s[28:29]
	v_lshrrev_b64 v[0:1], 20, v[0:1]
	v_cmp_gt_i32_e32 vcc, 16, v2
	v_cndmask_b32_e32 v1, 0, v1, vcc
	v_cndmask_b32_e32 v0, 7, v0, vcc
	v_cmp_ne_u64_e32 vcc, 0, v[0:1]
	v_cmp_ne_u32_e64 s[28:29], 0, v2
	s_or_b64 s[28:29], s[28:29], vcc
                                        ; implicit-def: $vgpr36
	s_and_saveexec_b64 vcc, s[28:29]
	s_xor_b64 s[28:29], exec, vcc
; %bb.9542:                             ;   in Loop: Header=BB6_9456 Depth=3
	v_min_i32_e32 v1, 15, v2
	v_lshl_or_b32 v1, v1, 3, v29
	v_and_or_b32 v36, v0, 7, v1
                                        ; implicit-def: $vgpr29
; %bb.9543:                             ;   in Loop: Header=BB6_9456 Depth=3
	s_andn2_saveexec_b64 s[28:29], s[28:29]
; %bb.9544:                             ;   in Loop: Header=BB6_9456 Depth=3
	v_mov_b32_e32 v36, v29
; %bb.9545:                             ;   in Loop: Header=BB6_9456 Depth=3
	s_or_b64 exec, exec, s[28:29]
.LBB6_9546:                             ;   in Loop: Header=BB6_9456 Depth=3
	s_or_b64 exec, exec, s[38:39]
                                        ; implicit-def: $vgpr29
.LBB6_9547:                             ;   in Loop: Header=BB6_9456 Depth=3
	s_andn2_saveexec_b64 s[28:29], s[36:37]
; %bb.9548:                             ;   in Loop: Header=BB6_9456 Depth=3
	v_or_b32_e32 v36, 0x7e, v29
; %bb.9549:                             ;   in Loop: Header=BB6_9456 Depth=3
	s_or_b64 exec, exec, s[28:29]
                                        ; implicit-def: $vgpr0
.LBB6_9550:                             ;   in Loop: Header=BB6_9456 Depth=3
	s_andn2_saveexec_b64 s[28:29], s[34:35]
; %bb.9551:                             ;   in Loop: Header=BB6_9456 Depth=3
	v_or_b32_sdwa v36, v0, s81 dst_sel:DWORD dst_unused:UNUSED_PAD src0_sel:BYTE_3 src1_sel:DWORD
; %bb.9552:                             ;   in Loop: Header=BB6_9456 Depth=3
	s_or_b64 exec, exec, s[28:29]
	v_and_b32_e32 v0, 0xff, v27
	v_cmp_ne_u16_e32 vcc, 0, v0
	v_mov_b32_e32 v1, 0
	v_mov_b32_e32 v2, 0
	s_and_saveexec_b64 s[28:29], vcc
	s_cbranch_execz .LBB6_9558
; %bb.9553:                             ;   in Loop: Header=BB6_9456 Depth=3
	v_cmp_ne_u16_e32 vcc, s80, v0
	v_bfrev_b32_e32 v2, 1
	s_and_saveexec_b64 s[34:35], vcc
	s_cbranch_execz .LBB6_9557
; %bb.9554:                             ;   in Loop: Header=BB6_9456 Depth=3
	v_and_b32_e32 v20, 0x7f, v27
	v_cmp_ne_u32_e32 vcc, s81, v20
	v_mov_b32_e32 v2, 0x7f800001
	s_and_saveexec_b64 s[36:37], vcc
	s_cbranch_execz .LBB6_9556
; %bb.9555:                             ;   in Loop: Header=BB6_9456 Depth=3
	v_and_b32_e32 v2, 7, v0
	v_lshrrev_b32_e32 v29, 3, v20
	v_cmp_gt_u32_e32 vcc, 8, v20
	v_ffbh_u32_e32 v20, v2
	v_min_u32_e32 v20, 32, v20
	v_subrev_u32_e32 v31, 28, v20
	v_lshlrev_b64 v[33:34], v31, v[0:1]
	v_sub_u32_e32 v0, 29, v20
	v_and_b32_e32 v20, 7, v33
	v_cndmask_b32_e32 v0, v29, v0, vcc
	v_cndmask_b32_e32 v2, v2, v20, vcc
	v_lshlrev_b32_e32 v20, 24, v27
	v_bfrev_b32_e32 v27, 60
	v_lshlrev_b32_e32 v2, 20, v2
	v_and_b32_e32 v20, 0x80000000, v20
	v_lshl_add_u32 v0, v0, 23, v27
	v_or3_b32 v2, v20, v0, v2
.LBB6_9556:                             ;   in Loop: Header=BB6_9456 Depth=3
	s_or_b64 exec, exec, s[36:37]
.LBB6_9557:                             ;   in Loop: Header=BB6_9456 Depth=3
	s_or_b64 exec, exec, s[34:35]
.LBB6_9558:                             ;   in Loop: Header=BB6_9456 Depth=3
	s_or_b64 exec, exec, s[28:29]
	v_and_b32_e32 v0, 0xff, v26
	v_cmp_ne_u16_e32 vcc, 0, v0
	s_and_saveexec_b64 s[28:29], vcc
	s_cbranch_execz .LBB6_9564
; %bb.9559:                             ;   in Loop: Header=BB6_9456 Depth=3
	v_cmp_ne_u16_e32 vcc, s80, v0
	v_bfrev_b32_e32 v1, 1
	s_and_saveexec_b64 s[34:35], vcc
	s_cbranch_execz .LBB6_9563
; %bb.9560:                             ;   in Loop: Header=BB6_9456 Depth=3
	v_and_b32_e32 v20, 0x7f, v26
	v_cmp_ne_u32_e32 vcc, s81, v20
	v_mov_b32_e32 v1, 0x7f800001
	s_and_saveexec_b64 s[36:37], vcc
	s_cbranch_execz .LBB6_9562
; %bb.9561:                             ;   in Loop: Header=BB6_9456 Depth=3
	v_and_b32_e32 v27, 7, v0
	v_ffbh_u32_e32 v1, v27
	v_lshrrev_b32_e32 v29, 3, v20
	v_cmp_gt_u32_e32 vcc, 8, v20
	v_min_u32_e32 v20, 32, v1
	v_subrev_u32_e32 v1, 28, v20
	v_lshlrev_b64 v[0:1], v1, v[0:1]
	v_sub_u32_e32 v1, 29, v20
	v_and_b32_e32 v0, 7, v0
	v_cndmask_b32_e32 v1, v29, v1, vcc
	v_cndmask_b32_e32 v0, v27, v0, vcc
	v_lshlrev_b32_e32 v20, 24, v26
	v_bfrev_b32_e32 v26, 60
	v_lshlrev_b32_e32 v0, 20, v0
	v_and_b32_e32 v20, 0x80000000, v20
	v_lshl_add_u32 v1, v1, 23, v26
	v_or3_b32 v1, v20, v1, v0
.LBB6_9562:                             ;   in Loop: Header=BB6_9456 Depth=3
	s_or_b64 exec, exec, s[36:37]
.LBB6_9563:                             ;   in Loop: Header=BB6_9456 Depth=3
	s_or_b64 exec, exec, s[34:35]
.LBB6_9564:                             ;   in Loop: Header=BB6_9456 Depth=3
	s_or_b64 exec, exec, s[28:29]
	v_mul_f32_e32 v0, v2, v1
	v_and_b32_e32 v20, 0x7f800000, v0
	v_cmp_ne_u64_e32 vcc, s[62:63], v[20:21]
                                        ; implicit-def: $vgpr37
	s_and_saveexec_b64 s[28:29], vcc
	s_xor_b64 s[34:35], exec, s[28:29]
	s_cbranch_execz .LBB6_9582
; %bb.9565:                             ;   in Loop: Header=BB6_9456 Depth=3
	v_and_b32_e32 v20, 0x7fffffff, v0
	v_cmp_gt_u64_e32 vcc, s[78:79], v[20:21]
	v_and_b32_sdwa v26, v0, s80 dst_sel:DWORD dst_unused:UNUSED_PAD src0_sel:BYTE_3 src1_sel:DWORD
                                        ; implicit-def: $vgpr37
	s_and_saveexec_b64 s[28:29], vcc
	s_xor_b64 s[36:37], exec, s[28:29]
	s_cbranch_execz .LBB6_9579
; %bb.9566:                             ;   in Loop: Header=BB6_9456 Depth=3
	v_cmp_ne_u32_e32 vcc, 0, v0
	v_mov_b32_e32 v37, 0
	s_and_saveexec_b64 s[38:39], vcc
	s_cbranch_execz .LBB6_9578
; %bb.9567:                             ;   in Loop: Header=BB6_9456 Depth=3
	v_bfe_u32 v27, v0, 23, 8
	v_and_b32_e32 v1, 0x7fffff, v0
	v_cmp_gt_u32_e64 s[28:29], s47, v27
	v_sub_u32_e32 v0, 0x79, v27
	v_cmp_eq_u32_e32 vcc, 0, v27
	v_cndmask_b32_e64 v0, 0, v0, s[28:29]
	v_mov_b32_e32 v20, 0x78
	v_cndmask_b32_e32 v29, v0, v20, vcc
	v_or_b32_e32 v2, 0x800000, v1
	v_add_u32_e32 v0, 20, v29
	v_cndmask_b32_e32 v20, v2, v1, vcc
	v_lshlrev_b64 v[0:1], v0, -1
	v_add_u32_e32 v2, 19, v29
	v_lshlrev_b64 v[33:34], v2, 1
	v_bfi_b32 v1, v1, 0, 0
	v_bfi_b32 v0, v0, 0, v20
	v_cmp_eq_u64_e64 s[28:29], v[0:1], v[33:34]
	v_lshrrev_b64 v[0:1], v29, v[20:21]
	v_mov_b32_e32 v2, v1
	v_mov_b32_e32 v1, v0
	s_and_saveexec_b64 s[48:49], s[28:29]
; %bb.9568:                             ;   in Loop: Header=BB6_9456 Depth=3
	v_bfe_u32 v1, v0, 20, 1
	v_add_co_u32_e64 v1, s[28:29], v0, v1
	v_add_co_u32_e64 v1, s[28:29], -1, v1
; %bb.9569:                             ;   in Loop: Header=BB6_9456 Depth=3
	s_or_b64 exec, exec, s[48:49]
	v_add_u32_e32 v2, 0xffffff81, v27
	v_mov_b32_e32 v20, 0xffffff82
	v_cndmask_b32_e32 v2, v2, v20, vcc
	v_lshrrev_b32_e32 v20, 23, v0
	v_add3_u32 v29, v29, v2, v20
	v_add_u32_e32 v27, 6, v29
	v_and_b32_e32 v1, 0xfffff, v1
	v_add_u32_e32 v20, v1, v0
	v_cmp_ne_u32_e32 vcc, 0, v27
                                        ; implicit-def: $vgpr0_vgpr1
                                        ; implicit-def: $vgpr2
	s_and_saveexec_b64 s[28:29], vcc
	s_xor_b64 s[28:29], exec, s[28:29]
; %bb.9570:                             ;   in Loop: Header=BB6_9456 Depth=3
	v_cmp_lt_u64_e32 vcc, s[88:89], v[20:21]
	v_add_u32_e32 v0, 7, v29
	v_cndmask_b32_e32 v2, v27, v0, vcc
	v_cndmask_b32_e64 v0, 0, 1, vcc
	v_lshrrev_b64 v[0:1], v0, v[20:21]
; %bb.9571:                             ;   in Loop: Header=BB6_9456 Depth=3
	s_andn2_saveexec_b64 s[28:29], s[28:29]
; %bb.9572:                             ;   in Loop: Header=BB6_9456 Depth=3
	v_mov_b32_e32 v0, v20
	v_bfe_u32 v2, v20, 23, 1
	v_mov_b32_e32 v1, v21
; %bb.9573:                             ;   in Loop: Header=BB6_9456 Depth=3
	s_or_b64 exec, exec, s[28:29]
	v_lshrrev_b64 v[0:1], 20, v[0:1]
	v_cmp_gt_i32_e32 vcc, 16, v2
	v_cndmask_b32_e32 v1, 0, v1, vcc
	v_cndmask_b32_e32 v0, 7, v0, vcc
	v_cmp_ne_u64_e32 vcc, 0, v[0:1]
	v_cmp_ne_u32_e64 s[28:29], 0, v2
	s_or_b64 s[28:29], s[28:29], vcc
                                        ; implicit-def: $vgpr37
	s_and_saveexec_b64 vcc, s[28:29]
	s_xor_b64 s[28:29], exec, vcc
; %bb.9574:                             ;   in Loop: Header=BB6_9456 Depth=3
	v_min_i32_e32 v1, 15, v2
	v_lshl_or_b32 v1, v1, 3, v26
	v_and_or_b32 v37, v0, 7, v1
                                        ; implicit-def: $vgpr26
; %bb.9575:                             ;   in Loop: Header=BB6_9456 Depth=3
	s_andn2_saveexec_b64 s[28:29], s[28:29]
; %bb.9576:                             ;   in Loop: Header=BB6_9456 Depth=3
	v_mov_b32_e32 v37, v26
; %bb.9577:                             ;   in Loop: Header=BB6_9456 Depth=3
	s_or_b64 exec, exec, s[28:29]
.LBB6_9578:                             ;   in Loop: Header=BB6_9456 Depth=3
	s_or_b64 exec, exec, s[38:39]
                                        ; implicit-def: $vgpr26
.LBB6_9579:                             ;   in Loop: Header=BB6_9456 Depth=3
	s_andn2_saveexec_b64 s[28:29], s[36:37]
; %bb.9580:                             ;   in Loop: Header=BB6_9456 Depth=3
	v_or_b32_e32 v37, 0x7e, v26
; %bb.9581:                             ;   in Loop: Header=BB6_9456 Depth=3
	s_or_b64 exec, exec, s[28:29]
                                        ; implicit-def: $vgpr0
.LBB6_9582:                             ;   in Loop: Header=BB6_9456 Depth=3
	s_andn2_saveexec_b64 s[28:29], s[34:35]
; %bb.9583:                             ;   in Loop: Header=BB6_9456 Depth=3
	v_or_b32_sdwa v37, v0, s81 dst_sel:DWORD dst_unused:UNUSED_PAD src0_sel:BYTE_3 src1_sel:DWORD
; %bb.9584:                             ;   in Loop: Header=BB6_9456 Depth=3
	s_or_b64 exec, exec, s[28:29]
	v_and_b32_e32 v0, 0xff, v24
	v_cmp_ne_u16_e32 vcc, 0, v0
	v_mov_b32_e32 v1, 0
	v_mov_b32_e32 v2, 0
	s_and_saveexec_b64 s[28:29], vcc
	s_cbranch_execz .LBB6_9590
; %bb.9585:                             ;   in Loop: Header=BB6_9456 Depth=3
	v_cmp_ne_u16_e32 vcc, s80, v0
	v_bfrev_b32_e32 v2, 1
	s_and_saveexec_b64 s[34:35], vcc
	s_cbranch_execz .LBB6_9589
; %bb.9586:                             ;   in Loop: Header=BB6_9456 Depth=3
	v_and_b32_e32 v20, 0x7f, v24
	v_cmp_ne_u32_e32 vcc, s81, v20
	v_mov_b32_e32 v2, 0x7f800001
	s_and_saveexec_b64 s[36:37], vcc
	s_cbranch_execz .LBB6_9588
; %bb.9587:                             ;   in Loop: Header=BB6_9456 Depth=3
	v_and_b32_e32 v2, 7, v0
	v_lshrrev_b32_e32 v29, 3, v20
	v_cmp_gt_u32_e32 vcc, 8, v20
	v_ffbh_u32_e32 v20, v2
	v_min_u32_e32 v20, 32, v20
	v_subrev_u32_e32 v26, 28, v20
	v_lshlrev_b64 v[26:27], v26, v[0:1]
	v_sub_u32_e32 v0, 29, v20
	v_and_b32_e32 v20, 7, v26
	v_cndmask_b32_e32 v0, v29, v0, vcc
	v_cndmask_b32_e32 v2, v2, v20, vcc
	v_lshlrev_b32_e32 v20, 24, v24
	v_bfrev_b32_e32 v24, 60
	v_lshlrev_b32_e32 v2, 20, v2
	v_and_b32_e32 v20, 0x80000000, v20
	v_lshl_add_u32 v0, v0, 23, v24
	v_or3_b32 v2, v20, v0, v2
.LBB6_9588:                             ;   in Loop: Header=BB6_9456 Depth=3
	s_or_b64 exec, exec, s[36:37]
.LBB6_9589:                             ;   in Loop: Header=BB6_9456 Depth=3
	s_or_b64 exec, exec, s[34:35]
.LBB6_9590:                             ;   in Loop: Header=BB6_9456 Depth=3
	s_or_b64 exec, exec, s[28:29]
	v_and_b32_e32 v0, 0xff, v23
	v_cmp_ne_u16_e32 vcc, 0, v0
	s_and_saveexec_b64 s[28:29], vcc
	s_cbranch_execz .LBB6_9596
; %bb.9591:                             ;   in Loop: Header=BB6_9456 Depth=3
	v_cmp_ne_u16_e32 vcc, s80, v0
	v_bfrev_b32_e32 v1, 1
	s_and_saveexec_b64 s[34:35], vcc
	s_cbranch_execz .LBB6_9595
; %bb.9592:                             ;   in Loop: Header=BB6_9456 Depth=3
	v_and_b32_e32 v20, 0x7f, v23
	v_cmp_ne_u32_e32 vcc, s81, v20
	v_mov_b32_e32 v1, 0x7f800001
	s_and_saveexec_b64 s[36:37], vcc
	s_cbranch_execz .LBB6_9594
; %bb.9593:                             ;   in Loop: Header=BB6_9456 Depth=3
	v_and_b32_e32 v24, 7, v0
	v_ffbh_u32_e32 v1, v24
	v_lshrrev_b32_e32 v26, 3, v20
	v_cmp_gt_u32_e32 vcc, 8, v20
	v_min_u32_e32 v20, 32, v1
	v_subrev_u32_e32 v1, 28, v20
	v_lshlrev_b64 v[0:1], v1, v[0:1]
	v_sub_u32_e32 v1, 29, v20
	v_and_b32_e32 v0, 7, v0
	v_cndmask_b32_e32 v1, v26, v1, vcc
	v_cndmask_b32_e32 v0, v24, v0, vcc
	v_lshlrev_b32_e32 v20, 24, v23
	v_bfrev_b32_e32 v23, 60
	v_lshlrev_b32_e32 v0, 20, v0
	v_and_b32_e32 v20, 0x80000000, v20
	v_lshl_add_u32 v1, v1, 23, v23
	v_or3_b32 v1, v20, v1, v0
.LBB6_9594:                             ;   in Loop: Header=BB6_9456 Depth=3
	s_or_b64 exec, exec, s[36:37]
.LBB6_9595:                             ;   in Loop: Header=BB6_9456 Depth=3
	s_or_b64 exec, exec, s[34:35]
.LBB6_9596:                             ;   in Loop: Header=BB6_9456 Depth=3
	s_or_b64 exec, exec, s[28:29]
	v_mul_f32_e32 v0, v2, v1
	v_and_b32_e32 v20, 0x7f800000, v0
	v_cmp_ne_u64_e32 vcc, s[62:63], v[20:21]
                                        ; implicit-def: $vgpr53
	s_and_saveexec_b64 s[28:29], vcc
	s_xor_b64 s[34:35], exec, s[28:29]
	s_cbranch_execz .LBB6_9614
; %bb.9597:                             ;   in Loop: Header=BB6_9456 Depth=3
	v_and_b32_e32 v20, 0x7fffffff, v0
	v_cmp_gt_u64_e32 vcc, s[78:79], v[20:21]
	v_and_b32_sdwa v23, v0, s80 dst_sel:DWORD dst_unused:UNUSED_PAD src0_sel:BYTE_3 src1_sel:DWORD
                                        ; implicit-def: $vgpr53
	s_and_saveexec_b64 s[28:29], vcc
	s_xor_b64 s[36:37], exec, s[28:29]
	s_cbranch_execz .LBB6_9611
; %bb.9598:                             ;   in Loop: Header=BB6_9456 Depth=3
	v_cmp_ne_u32_e32 vcc, 0, v0
	v_mov_b32_e32 v53, 0
	s_and_saveexec_b64 s[38:39], vcc
	s_cbranch_execz .LBB6_9610
; %bb.9599:                             ;   in Loop: Header=BB6_9456 Depth=3
	v_bfe_u32 v24, v0, 23, 8
	v_and_b32_e32 v1, 0x7fffff, v0
	v_cmp_gt_u32_e64 s[28:29], s47, v24
	v_sub_u32_e32 v0, 0x79, v24
	v_cmp_eq_u32_e32 vcc, 0, v24
	v_cndmask_b32_e64 v0, 0, v0, s[28:29]
	v_mov_b32_e32 v20, 0x78
	v_cndmask_b32_e32 v26, v0, v20, vcc
	v_or_b32_e32 v2, 0x800000, v1
	v_add_u32_e32 v0, 20, v26
	v_cndmask_b32_e32 v20, v2, v1, vcc
	v_lshlrev_b64 v[0:1], v0, -1
	v_add_u32_e32 v2, 19, v26
	v_lshlrev_b64 v[33:34], v2, 1
	v_bfi_b32 v1, v1, 0, 0
	v_bfi_b32 v0, v0, 0, v20
	v_cmp_eq_u64_e64 s[28:29], v[0:1], v[33:34]
	v_lshrrev_b64 v[0:1], v26, v[20:21]
	v_mov_b32_e32 v2, v1
	v_mov_b32_e32 v1, v0
	s_and_saveexec_b64 s[48:49], s[28:29]
; %bb.9600:                             ;   in Loop: Header=BB6_9456 Depth=3
	v_bfe_u32 v1, v0, 20, 1
	v_add_co_u32_e64 v1, s[28:29], v0, v1
	v_add_co_u32_e64 v1, s[28:29], -1, v1
; %bb.9601:                             ;   in Loop: Header=BB6_9456 Depth=3
	s_or_b64 exec, exec, s[48:49]
	v_add_u32_e32 v2, 0xffffff81, v24
	v_mov_b32_e32 v20, 0xffffff82
	v_cndmask_b32_e32 v2, v2, v20, vcc
	v_lshrrev_b32_e32 v20, 23, v0
	v_add3_u32 v26, v26, v2, v20
	v_add_u32_e32 v24, 6, v26
	v_and_b32_e32 v1, 0xfffff, v1
	v_add_u32_e32 v20, v1, v0
	v_cmp_ne_u32_e32 vcc, 0, v24
                                        ; implicit-def: $vgpr0_vgpr1
                                        ; implicit-def: $vgpr2
	s_and_saveexec_b64 s[28:29], vcc
	s_xor_b64 s[28:29], exec, s[28:29]
; %bb.9602:                             ;   in Loop: Header=BB6_9456 Depth=3
	v_cmp_lt_u64_e32 vcc, s[88:89], v[20:21]
	v_add_u32_e32 v0, 7, v26
	v_cndmask_b32_e32 v2, v24, v0, vcc
	v_cndmask_b32_e64 v0, 0, 1, vcc
	v_lshrrev_b64 v[0:1], v0, v[20:21]
; %bb.9603:                             ;   in Loop: Header=BB6_9456 Depth=3
	s_andn2_saveexec_b64 s[28:29], s[28:29]
; %bb.9604:                             ;   in Loop: Header=BB6_9456 Depth=3
	v_mov_b32_e32 v0, v20
	v_bfe_u32 v2, v20, 23, 1
	v_mov_b32_e32 v1, v21
; %bb.9605:                             ;   in Loop: Header=BB6_9456 Depth=3
	s_or_b64 exec, exec, s[28:29]
	v_lshrrev_b64 v[0:1], 20, v[0:1]
	v_cmp_gt_i32_e32 vcc, 16, v2
	v_cndmask_b32_e32 v1, 0, v1, vcc
	v_cndmask_b32_e32 v0, 7, v0, vcc
	v_cmp_ne_u64_e32 vcc, 0, v[0:1]
	v_cmp_ne_u32_e64 s[28:29], 0, v2
	s_or_b64 s[28:29], s[28:29], vcc
                                        ; implicit-def: $vgpr53
	s_and_saveexec_b64 vcc, s[28:29]
	s_xor_b64 s[28:29], exec, vcc
; %bb.9606:                             ;   in Loop: Header=BB6_9456 Depth=3
	v_min_i32_e32 v1, 15, v2
	v_lshl_or_b32 v1, v1, 3, v23
	v_and_or_b32 v53, v0, 7, v1
                                        ; implicit-def: $vgpr23
; %bb.9607:                             ;   in Loop: Header=BB6_9456 Depth=3
	s_andn2_saveexec_b64 s[28:29], s[28:29]
; %bb.9608:                             ;   in Loop: Header=BB6_9456 Depth=3
	v_mov_b32_e32 v53, v23
; %bb.9609:                             ;   in Loop: Header=BB6_9456 Depth=3
	s_or_b64 exec, exec, s[28:29]
.LBB6_9610:                             ;   in Loop: Header=BB6_9456 Depth=3
	s_or_b64 exec, exec, s[38:39]
                                        ; implicit-def: $vgpr23
.LBB6_9611:                             ;   in Loop: Header=BB6_9456 Depth=3
	s_andn2_saveexec_b64 s[28:29], s[36:37]
; %bb.9612:                             ;   in Loop: Header=BB6_9456 Depth=3
	v_or_b32_e32 v53, 0x7e, v23
; %bb.9613:                             ;   in Loop: Header=BB6_9456 Depth=3
	s_or_b64 exec, exec, s[28:29]
                                        ; implicit-def: $vgpr0
.LBB6_9614:                             ;   in Loop: Header=BB6_9456 Depth=3
	s_andn2_saveexec_b64 s[28:29], s[34:35]
; %bb.9615:                             ;   in Loop: Header=BB6_9456 Depth=3
	v_or_b32_sdwa v53, v0, s81 dst_sel:DWORD dst_unused:UNUSED_PAD src0_sel:BYTE_3 src1_sel:DWORD
; %bb.9616:                             ;   in Loop: Header=BB6_9456 Depth=3
	s_or_b64 exec, exec, s[28:29]
	v_and_b32_e32 v0, 0xff, v28
	v_cmp_ne_u16_e32 vcc, 0, v0
	v_mov_b32_e32 v1, 0
	v_mov_b32_e32 v2, 0
	s_and_saveexec_b64 s[28:29], vcc
	s_cbranch_execz .LBB6_9622
; %bb.9617:                             ;   in Loop: Header=BB6_9456 Depth=3
	v_cmp_ne_u16_e32 vcc, s80, v0
	v_bfrev_b32_e32 v2, 1
	s_and_saveexec_b64 s[34:35], vcc
	s_cbranch_execz .LBB6_9621
; %bb.9618:                             ;   in Loop: Header=BB6_9456 Depth=3
	v_and_b32_e32 v20, 0x7f, v28
	v_cmp_ne_u32_e32 vcc, s81, v20
	v_mov_b32_e32 v2, 0x7f800001
	s_and_saveexec_b64 s[36:37], vcc
	s_cbranch_execz .LBB6_9620
; %bb.9619:                             ;   in Loop: Header=BB6_9456 Depth=3
	v_and_b32_e32 v2, 7, v0
	v_lshrrev_b32_e32 v26, 3, v20
	v_cmp_gt_u32_e32 vcc, 8, v20
	v_ffbh_u32_e32 v20, v2
	v_min_u32_e32 v20, 32, v20
	v_subrev_u32_e32 v23, 28, v20
	v_lshlrev_b64 v[23:24], v23, v[0:1]
	v_sub_u32_e32 v0, 29, v20
	v_and_b32_e32 v20, 7, v23
	v_cndmask_b32_e32 v0, v26, v0, vcc
	v_cndmask_b32_e32 v2, v2, v20, vcc
	v_lshlrev_b32_e32 v20, 24, v28
	v_bfrev_b32_e32 v23, 60
	v_lshlrev_b32_e32 v2, 20, v2
	v_and_b32_e32 v20, 0x80000000, v20
	v_lshl_add_u32 v0, v0, 23, v23
	v_or3_b32 v2, v20, v0, v2
.LBB6_9620:                             ;   in Loop: Header=BB6_9456 Depth=3
	s_or_b64 exec, exec, s[36:37]
.LBB6_9621:                             ;   in Loop: Header=BB6_9456 Depth=3
	s_or_b64 exec, exec, s[34:35]
.LBB6_9622:                             ;   in Loop: Header=BB6_9456 Depth=3
	s_or_b64 exec, exec, s[28:29]
	v_and_b32_e32 v0, 0xff, v32
	v_cmp_ne_u16_e32 vcc, 0, v0
	s_and_saveexec_b64 s[28:29], vcc
	s_cbranch_execz .LBB6_9628
; %bb.9623:                             ;   in Loop: Header=BB6_9456 Depth=3
	v_cmp_ne_u16_e32 vcc, s80, v0
	v_bfrev_b32_e32 v1, 1
	s_and_saveexec_b64 s[34:35], vcc
	s_cbranch_execz .LBB6_9627
; %bb.9624:                             ;   in Loop: Header=BB6_9456 Depth=3
	v_and_b32_e32 v20, 0x7f, v32
	v_cmp_ne_u32_e32 vcc, s81, v20
	v_mov_b32_e32 v1, 0x7f800001
	s_and_saveexec_b64 s[36:37], vcc
	s_cbranch_execz .LBB6_9626
; %bb.9625:                             ;   in Loop: Header=BB6_9456 Depth=3
	v_and_b32_e32 v23, 7, v0
	v_ffbh_u32_e32 v1, v23
	v_lshrrev_b32_e32 v24, 3, v20
	v_cmp_gt_u32_e32 vcc, 8, v20
	v_min_u32_e32 v20, 32, v1
	v_subrev_u32_e32 v1, 28, v20
	v_lshlrev_b64 v[0:1], v1, v[0:1]
	v_sub_u32_e32 v1, 29, v20
	v_and_b32_e32 v0, 7, v0
	v_cndmask_b32_e32 v1, v24, v1, vcc
	v_cndmask_b32_e32 v0, v23, v0, vcc
	v_lshlrev_b32_e32 v20, 24, v32
	v_bfrev_b32_e32 v23, 60
	v_lshlrev_b32_e32 v0, 20, v0
	v_and_b32_e32 v20, 0x80000000, v20
	v_lshl_add_u32 v1, v1, 23, v23
	v_or3_b32 v1, v20, v1, v0
.LBB6_9626:                             ;   in Loop: Header=BB6_9456 Depth=3
	s_or_b64 exec, exec, s[36:37]
.LBB6_9627:                             ;   in Loop: Header=BB6_9456 Depth=3
	s_or_b64 exec, exec, s[34:35]
.LBB6_9628:                             ;   in Loop: Header=BB6_9456 Depth=3
	s_or_b64 exec, exec, s[28:29]
	v_mul_f32_e32 v0, v2, v1
	v_and_b32_e32 v20, 0x7f800000, v0
	v_cmp_ne_u64_e32 vcc, s[62:63], v[20:21]
                                        ; implicit-def: $vgpr32
	s_and_saveexec_b64 s[28:29], vcc
	s_xor_b64 s[34:35], exec, s[28:29]
	s_cbranch_execz .LBB6_9646
; %bb.9629:                             ;   in Loop: Header=BB6_9456 Depth=3
	v_and_b32_e32 v20, 0x7fffffff, v0
	v_cmp_gt_u64_e32 vcc, s[78:79], v[20:21]
	v_and_b32_sdwa v23, v0, s80 dst_sel:DWORD dst_unused:UNUSED_PAD src0_sel:BYTE_3 src1_sel:DWORD
                                        ; implicit-def: $vgpr32
	s_and_saveexec_b64 s[28:29], vcc
	s_xor_b64 s[36:37], exec, s[28:29]
	s_cbranch_execz .LBB6_9643
; %bb.9630:                             ;   in Loop: Header=BB6_9456 Depth=3
	v_cmp_ne_u32_e32 vcc, 0, v0
	v_mov_b32_e32 v32, 0
	s_and_saveexec_b64 s[38:39], vcc
	s_cbranch_execz .LBB6_9642
; %bb.9631:                             ;   in Loop: Header=BB6_9456 Depth=3
	v_bfe_u32 v24, v0, 23, 8
	v_and_b32_e32 v1, 0x7fffff, v0
	v_cmp_gt_u32_e64 s[28:29], s47, v24
	v_sub_u32_e32 v0, 0x79, v24
	v_cmp_eq_u32_e32 vcc, 0, v24
	v_cndmask_b32_e64 v0, 0, v0, s[28:29]
	v_mov_b32_e32 v20, 0x78
	v_cndmask_b32_e32 v26, v0, v20, vcc
	v_or_b32_e32 v2, 0x800000, v1
	v_add_u32_e32 v0, 20, v26
	v_cndmask_b32_e32 v20, v2, v1, vcc
	v_lshlrev_b64 v[0:1], v0, -1
	v_add_u32_e32 v2, 19, v26
	v_lshlrev_b64 v[27:28], v2, 1
	v_bfi_b32 v1, v1, 0, 0
	v_bfi_b32 v0, v0, 0, v20
	v_cmp_eq_u64_e64 s[28:29], v[0:1], v[27:28]
	v_lshrrev_b64 v[0:1], v26, v[20:21]
	v_mov_b32_e32 v2, v1
	v_mov_b32_e32 v1, v0
	s_and_saveexec_b64 s[48:49], s[28:29]
; %bb.9632:                             ;   in Loop: Header=BB6_9456 Depth=3
	v_bfe_u32 v1, v0, 20, 1
	v_add_co_u32_e64 v1, s[28:29], v0, v1
	v_add_co_u32_e64 v1, s[28:29], -1, v1
; %bb.9633:                             ;   in Loop: Header=BB6_9456 Depth=3
	s_or_b64 exec, exec, s[48:49]
	v_add_u32_e32 v2, 0xffffff81, v24
	v_mov_b32_e32 v20, 0xffffff82
	v_cndmask_b32_e32 v2, v2, v20, vcc
	v_lshrrev_b32_e32 v20, 23, v0
	v_add3_u32 v26, v26, v2, v20
	v_add_u32_e32 v24, 6, v26
	v_and_b32_e32 v1, 0xfffff, v1
	v_add_u32_e32 v20, v1, v0
	v_cmp_ne_u32_e32 vcc, 0, v24
                                        ; implicit-def: $vgpr0_vgpr1
                                        ; implicit-def: $vgpr2
	s_and_saveexec_b64 s[28:29], vcc
	s_xor_b64 s[28:29], exec, s[28:29]
; %bb.9634:                             ;   in Loop: Header=BB6_9456 Depth=3
	v_cmp_lt_u64_e32 vcc, s[88:89], v[20:21]
	v_add_u32_e32 v0, 7, v26
	v_cndmask_b32_e32 v2, v24, v0, vcc
	v_cndmask_b32_e64 v0, 0, 1, vcc
	v_lshrrev_b64 v[0:1], v0, v[20:21]
; %bb.9635:                             ;   in Loop: Header=BB6_9456 Depth=3
	s_andn2_saveexec_b64 s[28:29], s[28:29]
; %bb.9636:                             ;   in Loop: Header=BB6_9456 Depth=3
	v_mov_b32_e32 v0, v20
	v_bfe_u32 v2, v20, 23, 1
	v_mov_b32_e32 v1, v21
; %bb.9637:                             ;   in Loop: Header=BB6_9456 Depth=3
	s_or_b64 exec, exec, s[28:29]
	v_lshrrev_b64 v[0:1], 20, v[0:1]
	v_cmp_gt_i32_e32 vcc, 16, v2
	v_cndmask_b32_e32 v1, 0, v1, vcc
	v_cndmask_b32_e32 v0, 7, v0, vcc
	v_cmp_ne_u64_e32 vcc, 0, v[0:1]
	v_cmp_ne_u32_e64 s[28:29], 0, v2
	s_or_b64 s[28:29], s[28:29], vcc
                                        ; implicit-def: $vgpr32
	s_and_saveexec_b64 vcc, s[28:29]
	s_xor_b64 s[28:29], exec, vcc
; %bb.9638:                             ;   in Loop: Header=BB6_9456 Depth=3
	v_min_i32_e32 v1, 15, v2
	v_lshl_or_b32 v1, v1, 3, v23
	v_and_or_b32 v32, v0, 7, v1
                                        ; implicit-def: $vgpr23
; %bb.9639:                             ;   in Loop: Header=BB6_9456 Depth=3
	s_andn2_saveexec_b64 s[28:29], s[28:29]
; %bb.9640:                             ;   in Loop: Header=BB6_9456 Depth=3
	v_mov_b32_e32 v32, v23
; %bb.9641:                             ;   in Loop: Header=BB6_9456 Depth=3
	s_or_b64 exec, exec, s[28:29]
.LBB6_9642:                             ;   in Loop: Header=BB6_9456 Depth=3
	s_or_b64 exec, exec, s[38:39]
                                        ; implicit-def: $vgpr23
.LBB6_9643:                             ;   in Loop: Header=BB6_9456 Depth=3
	s_andn2_saveexec_b64 s[28:29], s[36:37]
; %bb.9644:                             ;   in Loop: Header=BB6_9456 Depth=3
	v_or_b32_e32 v32, 0x7e, v23
; %bb.9645:                             ;   in Loop: Header=BB6_9456 Depth=3
	s_or_b64 exec, exec, s[28:29]
                                        ; implicit-def: $vgpr0
.LBB6_9646:                             ;   in Loop: Header=BB6_9456 Depth=3
	s_andn2_saveexec_b64 s[28:29], s[34:35]
; %bb.9647:                             ;   in Loop: Header=BB6_9456 Depth=3
	v_or_b32_sdwa v32, v0, s81 dst_sel:DWORD dst_unused:UNUSED_PAD src0_sel:BYTE_3 src1_sel:DWORD
; %bb.9648:                             ;   in Loop: Header=BB6_9456 Depth=3
	s_or_b64 exec, exec, s[28:29]
	v_and_b32_e32 v0, 0xff, v18
	v_cmp_ne_u16_e32 vcc, 0, v0
	v_mov_b32_e32 v1, 0
	v_mov_b32_e32 v2, 0
	s_and_saveexec_b64 s[28:29], vcc
	s_cbranch_execz .LBB6_9654
; %bb.9649:                             ;   in Loop: Header=BB6_9456 Depth=3
	v_cmp_ne_u16_e32 vcc, s80, v0
	v_bfrev_b32_e32 v2, 1
	s_and_saveexec_b64 s[34:35], vcc
	s_cbranch_execz .LBB6_9653
; %bb.9650:                             ;   in Loop: Header=BB6_9456 Depth=3
	v_and_b32_e32 v20, 0x7f, v18
	v_cmp_ne_u32_e32 vcc, s81, v20
	v_mov_b32_e32 v2, 0x7f800001
	s_and_saveexec_b64 s[36:37], vcc
	s_cbranch_execz .LBB6_9652
; %bb.9651:                             ;   in Loop: Header=BB6_9456 Depth=3
	v_and_b32_e32 v2, 7, v0
	v_lshrrev_b32_e32 v26, 3, v20
	v_cmp_gt_u32_e32 vcc, 8, v20
	v_ffbh_u32_e32 v20, v2
	v_min_u32_e32 v20, 32, v20
	v_subrev_u32_e32 v23, 28, v20
	v_lshlrev_b64 v[23:24], v23, v[0:1]
	v_sub_u32_e32 v0, 29, v20
	v_and_b32_e32 v20, 7, v23
	v_cndmask_b32_e32 v0, v26, v0, vcc
	v_cndmask_b32_e32 v2, v2, v20, vcc
	v_lshlrev_b32_e32 v18, 24, v18
	v_bfrev_b32_e32 v20, 60
	v_lshlrev_b32_e32 v2, 20, v2
	v_and_b32_e32 v18, 0x80000000, v18
	v_lshl_add_u32 v0, v0, 23, v20
	v_or3_b32 v2, v18, v0, v2
.LBB6_9652:                             ;   in Loop: Header=BB6_9456 Depth=3
	s_or_b64 exec, exec, s[36:37]
.LBB6_9653:                             ;   in Loop: Header=BB6_9456 Depth=3
	s_or_b64 exec, exec, s[34:35]
.LBB6_9654:                             ;   in Loop: Header=BB6_9456 Depth=3
	s_or_b64 exec, exec, s[28:29]
	v_and_b32_e32 v0, 0xff, v35
	v_cmp_ne_u16_e32 vcc, 0, v0
	s_and_saveexec_b64 s[28:29], vcc
	s_cbranch_execz .LBB6_9660
; %bb.9655:                             ;   in Loop: Header=BB6_9456 Depth=3
	v_cmp_ne_u16_e32 vcc, s80, v0
	v_bfrev_b32_e32 v1, 1
	s_and_saveexec_b64 s[34:35], vcc
	s_cbranch_execz .LBB6_9659
; %bb.9656:                             ;   in Loop: Header=BB6_9456 Depth=3
	v_and_b32_e32 v18, 0x7f, v35
	v_cmp_ne_u32_e32 vcc, s81, v18
	v_mov_b32_e32 v1, 0x7f800001
	s_and_saveexec_b64 s[36:37], vcc
	s_cbranch_execz .LBB6_9658
; %bb.9657:                             ;   in Loop: Header=BB6_9456 Depth=3
	v_and_b32_e32 v20, 7, v0
	v_ffbh_u32_e32 v1, v20
	v_lshrrev_b32_e32 v23, 3, v18
	v_cmp_gt_u32_e32 vcc, 8, v18
	v_min_u32_e32 v18, 32, v1
	v_subrev_u32_e32 v1, 28, v18
	v_lshlrev_b64 v[0:1], v1, v[0:1]
	v_sub_u32_e32 v1, 29, v18
	v_and_b32_e32 v0, 7, v0
	v_cndmask_b32_e32 v1, v23, v1, vcc
	v_cndmask_b32_e32 v0, v20, v0, vcc
	v_lshlrev_b32_e32 v18, 24, v35
	v_bfrev_b32_e32 v20, 60
	v_lshlrev_b32_e32 v0, 20, v0
	v_and_b32_e32 v18, 0x80000000, v18
	v_lshl_add_u32 v1, v1, 23, v20
	v_or3_b32 v1, v18, v1, v0
.LBB6_9658:                             ;   in Loop: Header=BB6_9456 Depth=3
	s_or_b64 exec, exec, s[36:37]
.LBB6_9659:                             ;   in Loop: Header=BB6_9456 Depth=3
	s_or_b64 exec, exec, s[34:35]
.LBB6_9660:                             ;   in Loop: Header=BB6_9456 Depth=3
	s_or_b64 exec, exec, s[28:29]
	v_mul_f32_e32 v0, v2, v1
	v_and_b32_e32 v20, 0x7f800000, v0
	v_cmp_ne_u64_e32 vcc, s[62:63], v[20:21]
                                        ; implicit-def: $vgpr35
	s_and_saveexec_b64 s[28:29], vcc
	s_xor_b64 s[34:35], exec, s[28:29]
	s_cbranch_execz .LBB6_9678
; %bb.9661:                             ;   in Loop: Header=BB6_9456 Depth=3
	v_and_b32_e32 v20, 0x7fffffff, v0
	v_cmp_gt_u64_e32 vcc, s[78:79], v[20:21]
	v_and_b32_sdwa v18, v0, s80 dst_sel:DWORD dst_unused:UNUSED_PAD src0_sel:BYTE_3 src1_sel:DWORD
                                        ; implicit-def: $vgpr35
	s_and_saveexec_b64 s[28:29], vcc
	s_xor_b64 s[36:37], exec, s[28:29]
	s_cbranch_execz .LBB6_9675
; %bb.9662:                             ;   in Loop: Header=BB6_9456 Depth=3
	v_cmp_ne_u32_e32 vcc, 0, v0
	v_mov_b32_e32 v35, 0
	s_and_saveexec_b64 s[38:39], vcc
	s_cbranch_execz .LBB6_9674
; %bb.9663:                             ;   in Loop: Header=BB6_9456 Depth=3
	v_bfe_u32 v23, v0, 23, 8
	v_and_b32_e32 v1, 0x7fffff, v0
	v_cmp_gt_u32_e64 s[28:29], s47, v23
	v_sub_u32_e32 v0, 0x79, v23
	v_cmp_eq_u32_e32 vcc, 0, v23
	v_cndmask_b32_e64 v0, 0, v0, s[28:29]
	v_mov_b32_e32 v20, 0x78
	v_cndmask_b32_e32 v24, v0, v20, vcc
	v_or_b32_e32 v2, 0x800000, v1
	v_add_u32_e32 v0, 20, v24
	v_cndmask_b32_e32 v20, v2, v1, vcc
	v_lshlrev_b64 v[0:1], v0, -1
	v_add_u32_e32 v2, 19, v24
	v_lshlrev_b64 v[26:27], v2, 1
	v_bfi_b32 v1, v1, 0, 0
	v_bfi_b32 v0, v0, 0, v20
	v_cmp_eq_u64_e64 s[28:29], v[0:1], v[26:27]
	v_lshrrev_b64 v[0:1], v24, v[20:21]
	v_mov_b32_e32 v2, v1
	v_mov_b32_e32 v1, v0
	s_and_saveexec_b64 s[48:49], s[28:29]
; %bb.9664:                             ;   in Loop: Header=BB6_9456 Depth=3
	v_bfe_u32 v1, v0, 20, 1
	v_add_co_u32_e64 v1, s[28:29], v0, v1
	v_add_co_u32_e64 v1, s[28:29], -1, v1
; %bb.9665:                             ;   in Loop: Header=BB6_9456 Depth=3
	s_or_b64 exec, exec, s[48:49]
	v_add_u32_e32 v2, 0xffffff81, v23
	v_mov_b32_e32 v20, 0xffffff82
	v_cndmask_b32_e32 v2, v2, v20, vcc
	v_lshrrev_b32_e32 v20, 23, v0
	v_add3_u32 v24, v24, v2, v20
	v_add_u32_e32 v23, 6, v24
	v_and_b32_e32 v1, 0xfffff, v1
	v_add_u32_e32 v20, v1, v0
	v_cmp_ne_u32_e32 vcc, 0, v23
                                        ; implicit-def: $vgpr0_vgpr1
                                        ; implicit-def: $vgpr2
	s_and_saveexec_b64 s[28:29], vcc
	s_xor_b64 s[28:29], exec, s[28:29]
; %bb.9666:                             ;   in Loop: Header=BB6_9456 Depth=3
	v_cmp_lt_u64_e32 vcc, s[88:89], v[20:21]
	v_add_u32_e32 v0, 7, v24
	v_cndmask_b32_e32 v2, v23, v0, vcc
	v_cndmask_b32_e64 v0, 0, 1, vcc
	v_lshrrev_b64 v[0:1], v0, v[20:21]
; %bb.9667:                             ;   in Loop: Header=BB6_9456 Depth=3
	s_andn2_saveexec_b64 s[28:29], s[28:29]
; %bb.9668:                             ;   in Loop: Header=BB6_9456 Depth=3
	v_mov_b32_e32 v0, v20
	v_bfe_u32 v2, v20, 23, 1
	v_mov_b32_e32 v1, v21
; %bb.9669:                             ;   in Loop: Header=BB6_9456 Depth=3
	s_or_b64 exec, exec, s[28:29]
	v_lshrrev_b64 v[0:1], 20, v[0:1]
	v_cmp_gt_i32_e32 vcc, 16, v2
	v_cndmask_b32_e32 v1, 0, v1, vcc
	v_cndmask_b32_e32 v0, 7, v0, vcc
	v_cmp_ne_u64_e32 vcc, 0, v[0:1]
	v_cmp_ne_u32_e64 s[28:29], 0, v2
	s_or_b64 s[28:29], s[28:29], vcc
                                        ; implicit-def: $vgpr35
	s_and_saveexec_b64 vcc, s[28:29]
	s_xor_b64 s[28:29], exec, vcc
; %bb.9670:                             ;   in Loop: Header=BB6_9456 Depth=3
	v_min_i32_e32 v1, 15, v2
	v_lshl_or_b32 v1, v1, 3, v18
	v_and_or_b32 v35, v0, 7, v1
                                        ; implicit-def: $vgpr18
; %bb.9671:                             ;   in Loop: Header=BB6_9456 Depth=3
	s_andn2_saveexec_b64 s[28:29], s[28:29]
; %bb.9672:                             ;   in Loop: Header=BB6_9456 Depth=3
	v_mov_b32_e32 v35, v18
; %bb.9673:                             ;   in Loop: Header=BB6_9456 Depth=3
	s_or_b64 exec, exec, s[28:29]
.LBB6_9674:                             ;   in Loop: Header=BB6_9456 Depth=3
	s_or_b64 exec, exec, s[38:39]
                                        ; implicit-def: $vgpr18
.LBB6_9675:                             ;   in Loop: Header=BB6_9456 Depth=3
	s_andn2_saveexec_b64 s[28:29], s[36:37]
; %bb.9676:                             ;   in Loop: Header=BB6_9456 Depth=3
	v_or_b32_e32 v35, 0x7e, v18
; %bb.9677:                             ;   in Loop: Header=BB6_9456 Depth=3
	s_or_b64 exec, exec, s[28:29]
                                        ; implicit-def: $vgpr0
.LBB6_9678:                             ;   in Loop: Header=BB6_9456 Depth=3
	s_andn2_saveexec_b64 s[28:29], s[34:35]
; %bb.9679:                             ;   in Loop: Header=BB6_9456 Depth=3
	v_or_b32_sdwa v35, v0, s81 dst_sel:DWORD dst_unused:UNUSED_PAD src0_sel:BYTE_3 src1_sel:DWORD
; %bb.9680:                             ;   in Loop: Header=BB6_9456 Depth=3
	s_or_b64 exec, exec, s[28:29]
	v_and_b32_e32 v0, 0xff, v17
	v_cmp_ne_u16_e32 vcc, 0, v0
	v_mov_b32_e32 v1, 0
	v_mov_b32_e32 v2, 0
	s_and_saveexec_b64 s[28:29], vcc
	s_cbranch_execz .LBB6_9686
; %bb.9681:                             ;   in Loop: Header=BB6_9456 Depth=3
	v_cmp_ne_u16_e32 vcc, s80, v0
	v_bfrev_b32_e32 v2, 1
	s_and_saveexec_b64 s[34:35], vcc
	s_cbranch_execz .LBB6_9685
; %bb.9682:                             ;   in Loop: Header=BB6_9456 Depth=3
	v_and_b32_e32 v18, 0x7f, v17
	v_cmp_ne_u32_e32 vcc, s81, v18
	v_mov_b32_e32 v2, 0x7f800001
	s_and_saveexec_b64 s[36:37], vcc
	s_cbranch_execz .LBB6_9684
; %bb.9683:                             ;   in Loop: Header=BB6_9456 Depth=3
	v_and_b32_e32 v2, 7, v0
	v_lshrrev_b32_e32 v20, 3, v18
	v_cmp_gt_u32_e32 vcc, 8, v18
	v_ffbh_u32_e32 v18, v2
	v_min_u32_e32 v18, 32, v18
	v_subrev_u32_e32 v23, 28, v18
	v_lshlrev_b64 v[23:24], v23, v[0:1]
	v_sub_u32_e32 v0, 29, v18
	v_and_b32_e32 v18, 7, v23
	v_cndmask_b32_e32 v0, v20, v0, vcc
	v_cndmask_b32_e32 v2, v2, v18, vcc
	v_lshlrev_b32_e32 v17, 24, v17
	v_bfrev_b32_e32 v18, 60
	v_lshlrev_b32_e32 v2, 20, v2
	v_and_b32_e32 v17, 0x80000000, v17
	v_lshl_add_u32 v0, v0, 23, v18
	v_or3_b32 v2, v17, v0, v2
.LBB6_9684:                             ;   in Loop: Header=BB6_9456 Depth=3
	s_or_b64 exec, exec, s[36:37]
.LBB6_9685:                             ;   in Loop: Header=BB6_9456 Depth=3
	s_or_b64 exec, exec, s[34:35]
.LBB6_9686:                             ;   in Loop: Header=BB6_9456 Depth=3
	s_or_b64 exec, exec, s[28:29]
	v_and_b32_e32 v0, 0xff, v38
	v_cmp_ne_u16_e32 vcc, 0, v0
	s_and_saveexec_b64 s[28:29], vcc
	s_cbranch_execz .LBB6_9692
; %bb.9687:                             ;   in Loop: Header=BB6_9456 Depth=3
	v_cmp_ne_u16_e32 vcc, s80, v0
	v_bfrev_b32_e32 v1, 1
	s_and_saveexec_b64 s[34:35], vcc
	s_cbranch_execz .LBB6_9691
; %bb.9688:                             ;   in Loop: Header=BB6_9456 Depth=3
	v_and_b32_e32 v17, 0x7f, v38
	v_cmp_ne_u32_e32 vcc, s81, v17
	v_mov_b32_e32 v1, 0x7f800001
	s_and_saveexec_b64 s[36:37], vcc
	s_cbranch_execz .LBB6_9690
; %bb.9689:                             ;   in Loop: Header=BB6_9456 Depth=3
	v_and_b32_e32 v18, 7, v0
	v_ffbh_u32_e32 v1, v18
	v_lshrrev_b32_e32 v20, 3, v17
	v_cmp_gt_u32_e32 vcc, 8, v17
	v_min_u32_e32 v17, 32, v1
	v_subrev_u32_e32 v1, 28, v17
	v_lshlrev_b64 v[0:1], v1, v[0:1]
	v_sub_u32_e32 v1, 29, v17
	v_and_b32_e32 v0, 7, v0
	v_cndmask_b32_e32 v1, v20, v1, vcc
	v_cndmask_b32_e32 v0, v18, v0, vcc
	v_lshlrev_b32_e32 v17, 24, v38
	v_bfrev_b32_e32 v18, 60
	v_lshlrev_b32_e32 v0, 20, v0
	v_and_b32_e32 v17, 0x80000000, v17
	v_lshl_add_u32 v1, v1, 23, v18
	v_or3_b32 v1, v17, v1, v0
.LBB6_9690:                             ;   in Loop: Header=BB6_9456 Depth=3
	s_or_b64 exec, exec, s[36:37]
.LBB6_9691:                             ;   in Loop: Header=BB6_9456 Depth=3
	s_or_b64 exec, exec, s[34:35]
.LBB6_9692:                             ;   in Loop: Header=BB6_9456 Depth=3
	s_or_b64 exec, exec, s[28:29]
	v_mul_f32_e32 v0, v2, v1
	v_and_b32_e32 v20, 0x7f800000, v0
	v_cmp_ne_u64_e32 vcc, s[62:63], v[20:21]
                                        ; implicit-def: $vgpr38
	s_and_saveexec_b64 s[28:29], vcc
	s_xor_b64 s[34:35], exec, s[28:29]
	s_cbranch_execz .LBB6_9710
; %bb.9693:                             ;   in Loop: Header=BB6_9456 Depth=3
	v_and_b32_e32 v20, 0x7fffffff, v0
	v_cmp_gt_u64_e32 vcc, s[78:79], v[20:21]
	v_and_b32_sdwa v17, v0, s80 dst_sel:DWORD dst_unused:UNUSED_PAD src0_sel:BYTE_3 src1_sel:DWORD
                                        ; implicit-def: $vgpr38
	s_and_saveexec_b64 s[28:29], vcc
	s_xor_b64 s[36:37], exec, s[28:29]
	s_cbranch_execz .LBB6_9707
; %bb.9694:                             ;   in Loop: Header=BB6_9456 Depth=3
	v_cmp_ne_u32_e32 vcc, 0, v0
	v_mov_b32_e32 v38, 0
	s_and_saveexec_b64 s[38:39], vcc
	s_cbranch_execz .LBB6_9706
; %bb.9695:                             ;   in Loop: Header=BB6_9456 Depth=3
	v_bfe_u32 v18, v0, 23, 8
	v_and_b32_e32 v1, 0x7fffff, v0
	v_cmp_gt_u32_e64 s[28:29], s47, v18
	v_sub_u32_e32 v0, 0x79, v18
	v_cmp_eq_u32_e32 vcc, 0, v18
	v_cndmask_b32_e64 v0, 0, v0, s[28:29]
	v_mov_b32_e32 v20, 0x78
	v_cndmask_b32_e32 v23, v0, v20, vcc
	v_or_b32_e32 v2, 0x800000, v1
	v_add_u32_e32 v0, 20, v23
	v_cndmask_b32_e32 v20, v2, v1, vcc
	v_lshlrev_b64 v[0:1], v0, -1
	v_add_u32_e32 v2, 19, v23
	v_lshlrev_b64 v[26:27], v2, 1
	v_bfi_b32 v1, v1, 0, 0
	v_bfi_b32 v0, v0, 0, v20
	v_cmp_eq_u64_e64 s[28:29], v[0:1], v[26:27]
	v_lshrrev_b64 v[0:1], v23, v[20:21]
	v_mov_b32_e32 v2, v1
	v_mov_b32_e32 v1, v0
	s_and_saveexec_b64 s[48:49], s[28:29]
; %bb.9696:                             ;   in Loop: Header=BB6_9456 Depth=3
	v_bfe_u32 v1, v0, 20, 1
	v_add_co_u32_e64 v1, s[28:29], v0, v1
	v_add_co_u32_e64 v1, s[28:29], -1, v1
; %bb.9697:                             ;   in Loop: Header=BB6_9456 Depth=3
	s_or_b64 exec, exec, s[48:49]
	v_add_u32_e32 v2, 0xffffff81, v18
	v_mov_b32_e32 v18, 0xffffff82
	v_cndmask_b32_e32 v2, v2, v18, vcc
	v_lshrrev_b32_e32 v18, 23, v0
	v_add3_u32 v23, v23, v2, v18
	v_add_u32_e32 v18, 6, v23
	v_and_b32_e32 v1, 0xfffff, v1
	v_add_u32_e32 v20, v1, v0
	v_cmp_ne_u32_e32 vcc, 0, v18
                                        ; implicit-def: $vgpr0_vgpr1
                                        ; implicit-def: $vgpr2
	s_and_saveexec_b64 s[28:29], vcc
	s_xor_b64 s[28:29], exec, s[28:29]
; %bb.9698:                             ;   in Loop: Header=BB6_9456 Depth=3
	v_cmp_lt_u64_e32 vcc, s[88:89], v[20:21]
	v_add_u32_e32 v0, 7, v23
	v_cndmask_b32_e32 v2, v18, v0, vcc
	v_cndmask_b32_e64 v0, 0, 1, vcc
	v_lshrrev_b64 v[0:1], v0, v[20:21]
; %bb.9699:                             ;   in Loop: Header=BB6_9456 Depth=3
	s_andn2_saveexec_b64 s[28:29], s[28:29]
; %bb.9700:                             ;   in Loop: Header=BB6_9456 Depth=3
	v_mov_b32_e32 v0, v20
	v_bfe_u32 v2, v20, 23, 1
	v_mov_b32_e32 v1, v21
; %bb.9701:                             ;   in Loop: Header=BB6_9456 Depth=3
	s_or_b64 exec, exec, s[28:29]
	v_lshrrev_b64 v[0:1], 20, v[0:1]
	v_cmp_gt_i32_e32 vcc, 16, v2
	v_cndmask_b32_e32 v1, 0, v1, vcc
	v_cndmask_b32_e32 v0, 7, v0, vcc
	v_cmp_ne_u64_e32 vcc, 0, v[0:1]
	v_cmp_ne_u32_e64 s[28:29], 0, v2
	s_or_b64 s[28:29], s[28:29], vcc
                                        ; implicit-def: $vgpr38
	s_and_saveexec_b64 vcc, s[28:29]
	s_xor_b64 s[28:29], exec, vcc
; %bb.9702:                             ;   in Loop: Header=BB6_9456 Depth=3
	v_min_i32_e32 v1, 15, v2
	v_lshl_or_b32 v1, v1, 3, v17
	v_and_or_b32 v38, v0, 7, v1
                                        ; implicit-def: $vgpr17
; %bb.9703:                             ;   in Loop: Header=BB6_9456 Depth=3
	s_andn2_saveexec_b64 s[28:29], s[28:29]
; %bb.9704:                             ;   in Loop: Header=BB6_9456 Depth=3
	v_mov_b32_e32 v38, v17
; %bb.9705:                             ;   in Loop: Header=BB6_9456 Depth=3
	s_or_b64 exec, exec, s[28:29]
.LBB6_9706:                             ;   in Loop: Header=BB6_9456 Depth=3
	s_or_b64 exec, exec, s[38:39]
                                        ; implicit-def: $vgpr17
.LBB6_9707:                             ;   in Loop: Header=BB6_9456 Depth=3
	s_andn2_saveexec_b64 s[28:29], s[36:37]
; %bb.9708:                             ;   in Loop: Header=BB6_9456 Depth=3
	v_or_b32_e32 v38, 0x7e, v17
; %bb.9709:                             ;   in Loop: Header=BB6_9456 Depth=3
	s_or_b64 exec, exec, s[28:29]
                                        ; implicit-def: $vgpr0
.LBB6_9710:                             ;   in Loop: Header=BB6_9456 Depth=3
	s_andn2_saveexec_b64 s[28:29], s[34:35]
; %bb.9711:                             ;   in Loop: Header=BB6_9456 Depth=3
	v_or_b32_sdwa v38, v0, s81 dst_sel:DWORD dst_unused:UNUSED_PAD src0_sel:BYTE_3 src1_sel:DWORD
; %bb.9712:                             ;   in Loop: Header=BB6_9456 Depth=3
	s_or_b64 exec, exec, s[28:29]
	v_and_b32_e32 v0, 0xff, v15
	v_cmp_ne_u16_e32 vcc, 0, v0
	v_mov_b32_e32 v1, 0
	v_mov_b32_e32 v2, 0
	s_and_saveexec_b64 s[28:29], vcc
	s_cbranch_execz .LBB6_9718
; %bb.9713:                             ;   in Loop: Header=BB6_9456 Depth=3
	v_cmp_ne_u16_e32 vcc, s80, v0
	v_bfrev_b32_e32 v2, 1
	s_and_saveexec_b64 s[34:35], vcc
	s_cbranch_execz .LBB6_9717
; %bb.9714:                             ;   in Loop: Header=BB6_9456 Depth=3
	v_and_b32_e32 v17, 0x7f, v15
	v_cmp_ne_u32_e32 vcc, s81, v17
	v_mov_b32_e32 v2, 0x7f800001
	s_and_saveexec_b64 s[36:37], vcc
	s_cbranch_execz .LBB6_9716
; %bb.9715:                             ;   in Loop: Header=BB6_9456 Depth=3
	v_and_b32_e32 v2, 7, v0
	v_lshrrev_b32_e32 v20, 3, v17
	v_cmp_gt_u32_e32 vcc, 8, v17
	v_ffbh_u32_e32 v17, v2
	v_min_u32_e32 v23, 32, v17
	v_subrev_u32_e32 v17, 28, v23
	v_lshlrev_b64 v[17:18], v17, v[0:1]
	v_sub_u32_e32 v0, 29, v23
	v_and_b32_e32 v17, 7, v17
	v_cndmask_b32_e32 v0, v20, v0, vcc
	v_cndmask_b32_e32 v2, v2, v17, vcc
	v_lshlrev_b32_e32 v15, 24, v15
	v_bfrev_b32_e32 v17, 60
	v_lshlrev_b32_e32 v2, 20, v2
	v_and_b32_e32 v15, 0x80000000, v15
	v_lshl_add_u32 v0, v0, 23, v17
	v_or3_b32 v2, v15, v0, v2
.LBB6_9716:                             ;   in Loop: Header=BB6_9456 Depth=3
	s_or_b64 exec, exec, s[36:37]
.LBB6_9717:                             ;   in Loop: Header=BB6_9456 Depth=3
	s_or_b64 exec, exec, s[34:35]
.LBB6_9718:                             ;   in Loop: Header=BB6_9456 Depth=3
	s_or_b64 exec, exec, s[28:29]
	v_and_b32_e32 v0, 0xff, v49
	v_cmp_ne_u16_e32 vcc, 0, v0
	s_and_saveexec_b64 s[28:29], vcc
	s_cbranch_execz .LBB6_9724
; %bb.9719:                             ;   in Loop: Header=BB6_9456 Depth=3
	v_cmp_ne_u16_e32 vcc, s80, v0
	v_bfrev_b32_e32 v1, 1
	s_and_saveexec_b64 s[34:35], vcc
	s_cbranch_execz .LBB6_9723
; %bb.9720:                             ;   in Loop: Header=BB6_9456 Depth=3
	v_and_b32_e32 v15, 0x7f, v49
	v_cmp_ne_u32_e32 vcc, s81, v15
	v_mov_b32_e32 v1, 0x7f800001
	s_and_saveexec_b64 s[36:37], vcc
	s_cbranch_execz .LBB6_9722
; %bb.9721:                             ;   in Loop: Header=BB6_9456 Depth=3
	v_and_b32_e32 v17, 7, v0
	v_ffbh_u32_e32 v1, v17
	v_lshrrev_b32_e32 v18, 3, v15
	v_cmp_gt_u32_e32 vcc, 8, v15
	v_min_u32_e32 v15, 32, v1
	v_subrev_u32_e32 v1, 28, v15
	v_lshlrev_b64 v[0:1], v1, v[0:1]
	v_sub_u32_e32 v1, 29, v15
	v_and_b32_e32 v0, 7, v0
	v_cndmask_b32_e32 v1, v18, v1, vcc
	v_cndmask_b32_e32 v0, v17, v0, vcc
	v_lshlrev_b32_e32 v15, 24, v49
	v_bfrev_b32_e32 v17, 60
	v_lshlrev_b32_e32 v0, 20, v0
	v_and_b32_e32 v15, 0x80000000, v15
	v_lshl_add_u32 v1, v1, 23, v17
	v_or3_b32 v1, v15, v1, v0
.LBB6_9722:                             ;   in Loop: Header=BB6_9456 Depth=3
	s_or_b64 exec, exec, s[36:37]
.LBB6_9723:                             ;   in Loop: Header=BB6_9456 Depth=3
	s_or_b64 exec, exec, s[34:35]
.LBB6_9724:                             ;   in Loop: Header=BB6_9456 Depth=3
	s_or_b64 exec, exec, s[28:29]
	v_mul_f32_e32 v0, v2, v1
	v_and_b32_e32 v20, 0x7f800000, v0
	v_cmp_ne_u64_e32 vcc, s[62:63], v[20:21]
                                        ; implicit-def: $vgpr49
	s_and_saveexec_b64 s[28:29], vcc
	s_xor_b64 s[34:35], exec, s[28:29]
	s_cbranch_execz .LBB6_9742
; %bb.9725:                             ;   in Loop: Header=BB6_9456 Depth=3
	v_and_b32_e32 v20, 0x7fffffff, v0
	v_cmp_gt_u64_e32 vcc, s[78:79], v[20:21]
	v_and_b32_sdwa v15, v0, s80 dst_sel:DWORD dst_unused:UNUSED_PAD src0_sel:BYTE_3 src1_sel:DWORD
                                        ; implicit-def: $vgpr49
	s_and_saveexec_b64 s[28:29], vcc
	s_xor_b64 s[36:37], exec, s[28:29]
	s_cbranch_execz .LBB6_9739
; %bb.9726:                             ;   in Loop: Header=BB6_9456 Depth=3
	v_cmp_ne_u32_e32 vcc, 0, v0
	v_mov_b32_e32 v49, 0
	s_and_saveexec_b64 s[38:39], vcc
	s_cbranch_execz .LBB6_9738
; %bb.9727:                             ;   in Loop: Header=BB6_9456 Depth=3
	v_bfe_u32 v17, v0, 23, 8
	v_and_b32_e32 v1, 0x7fffff, v0
	v_cmp_gt_u32_e64 s[28:29], s47, v17
	v_sub_u32_e32 v0, 0x79, v17
	v_cmp_eq_u32_e32 vcc, 0, v17
	v_cndmask_b32_e64 v0, 0, v0, s[28:29]
	v_mov_b32_e32 v18, 0x78
	v_cndmask_b32_e32 v18, v0, v18, vcc
	v_or_b32_e32 v2, 0x800000, v1
	v_add_u32_e32 v0, 20, v18
	v_cndmask_b32_e32 v20, v2, v1, vcc
	v_lshlrev_b64 v[0:1], v0, -1
	v_add_u32_e32 v2, 19, v18
	v_lshlrev_b64 v[23:24], v2, 1
	v_bfi_b32 v1, v1, 0, 0
	v_bfi_b32 v0, v0, 0, v20
	v_cmp_eq_u64_e64 s[28:29], v[0:1], v[23:24]
	v_lshrrev_b64 v[0:1], v18, v[20:21]
	v_mov_b32_e32 v2, v1
	v_mov_b32_e32 v1, v0
	s_and_saveexec_b64 s[48:49], s[28:29]
; %bb.9728:                             ;   in Loop: Header=BB6_9456 Depth=3
	v_bfe_u32 v1, v0, 20, 1
	v_add_co_u32_e64 v1, s[28:29], v0, v1
	v_add_co_u32_e64 v1, s[28:29], -1, v1
; %bb.9729:                             ;   in Loop: Header=BB6_9456 Depth=3
	s_or_b64 exec, exec, s[48:49]
	v_add_u32_e32 v2, 0xffffff81, v17
	v_mov_b32_e32 v17, 0xffffff82
	v_cndmask_b32_e32 v2, v2, v17, vcc
	v_lshrrev_b32_e32 v17, 23, v0
	v_add3_u32 v18, v18, v2, v17
	v_add_u32_e32 v17, 6, v18
	v_and_b32_e32 v1, 0xfffff, v1
	v_add_u32_e32 v20, v1, v0
	v_cmp_ne_u32_e32 vcc, 0, v17
                                        ; implicit-def: $vgpr0_vgpr1
                                        ; implicit-def: $vgpr2
	s_and_saveexec_b64 s[28:29], vcc
	s_xor_b64 s[28:29], exec, s[28:29]
; %bb.9730:                             ;   in Loop: Header=BB6_9456 Depth=3
	v_cmp_lt_u64_e32 vcc, s[88:89], v[20:21]
	v_add_u32_e32 v0, 7, v18
	v_cndmask_b32_e32 v2, v17, v0, vcc
	v_cndmask_b32_e64 v0, 0, 1, vcc
	v_lshrrev_b64 v[0:1], v0, v[20:21]
; %bb.9731:                             ;   in Loop: Header=BB6_9456 Depth=3
	s_andn2_saveexec_b64 s[28:29], s[28:29]
; %bb.9732:                             ;   in Loop: Header=BB6_9456 Depth=3
	v_mov_b32_e32 v0, v20
	v_bfe_u32 v2, v20, 23, 1
	v_mov_b32_e32 v1, v21
; %bb.9733:                             ;   in Loop: Header=BB6_9456 Depth=3
	s_or_b64 exec, exec, s[28:29]
	v_lshrrev_b64 v[0:1], 20, v[0:1]
	v_cmp_gt_i32_e32 vcc, 16, v2
	v_cndmask_b32_e32 v1, 0, v1, vcc
	v_cndmask_b32_e32 v0, 7, v0, vcc
	v_cmp_ne_u64_e32 vcc, 0, v[0:1]
	v_cmp_ne_u32_e64 s[28:29], 0, v2
	s_or_b64 s[28:29], s[28:29], vcc
                                        ; implicit-def: $vgpr49
	s_and_saveexec_b64 vcc, s[28:29]
	s_xor_b64 s[28:29], exec, vcc
; %bb.9734:                             ;   in Loop: Header=BB6_9456 Depth=3
	v_min_i32_e32 v1, 15, v2
	v_lshl_or_b32 v1, v1, 3, v15
	v_and_or_b32 v49, v0, 7, v1
                                        ; implicit-def: $vgpr15
; %bb.9735:                             ;   in Loop: Header=BB6_9456 Depth=3
	s_andn2_saveexec_b64 s[28:29], s[28:29]
; %bb.9736:                             ;   in Loop: Header=BB6_9456 Depth=3
	v_mov_b32_e32 v49, v15
; %bb.9737:                             ;   in Loop: Header=BB6_9456 Depth=3
	s_or_b64 exec, exec, s[28:29]
.LBB6_9738:                             ;   in Loop: Header=BB6_9456 Depth=3
	s_or_b64 exec, exec, s[38:39]
                                        ; implicit-def: $vgpr15
.LBB6_9739:                             ;   in Loop: Header=BB6_9456 Depth=3
	s_andn2_saveexec_b64 s[28:29], s[36:37]
; %bb.9740:                             ;   in Loop: Header=BB6_9456 Depth=3
	v_or_b32_e32 v49, 0x7e, v15
; %bb.9741:                             ;   in Loop: Header=BB6_9456 Depth=3
	s_or_b64 exec, exec, s[28:29]
                                        ; implicit-def: $vgpr0
.LBB6_9742:                             ;   in Loop: Header=BB6_9456 Depth=3
	s_andn2_saveexec_b64 s[28:29], s[34:35]
; %bb.9743:                             ;   in Loop: Header=BB6_9456 Depth=3
	v_or_b32_sdwa v49, v0, s81 dst_sel:DWORD dst_unused:UNUSED_PAD src0_sel:BYTE_3 src1_sel:DWORD
; %bb.9744:                             ;   in Loop: Header=BB6_9456 Depth=3
	s_or_b64 exec, exec, s[28:29]
	v_and_b32_e32 v0, 0xff, v14
	v_cmp_ne_u16_e32 vcc, 0, v0
	v_mov_b32_e32 v1, 0
	v_mov_b32_e32 v2, 0
	s_and_saveexec_b64 s[28:29], vcc
	s_cbranch_execz .LBB6_9750
; %bb.9745:                             ;   in Loop: Header=BB6_9456 Depth=3
	v_cmp_ne_u16_e32 vcc, s80, v0
	v_bfrev_b32_e32 v2, 1
	s_and_saveexec_b64 s[34:35], vcc
	s_cbranch_execz .LBB6_9749
; %bb.9746:                             ;   in Loop: Header=BB6_9456 Depth=3
	v_and_b32_e32 v15, 0x7f, v14
	v_cmp_ne_u32_e32 vcc, s81, v15
	v_mov_b32_e32 v2, 0x7f800001
	s_and_saveexec_b64 s[36:37], vcc
	s_cbranch_execz .LBB6_9748
; %bb.9747:                             ;   in Loop: Header=BB6_9456 Depth=3
	v_and_b32_e32 v2, 7, v0
	v_lshrrev_b32_e32 v20, 3, v15
	v_cmp_gt_u32_e32 vcc, 8, v15
	v_ffbh_u32_e32 v15, v2
	v_min_u32_e32 v15, 32, v15
	v_subrev_u32_e32 v17, 28, v15
	v_lshlrev_b64 v[17:18], v17, v[0:1]
	v_sub_u32_e32 v0, 29, v15
	v_and_b32_e32 v15, 7, v17
	v_cndmask_b32_e32 v0, v20, v0, vcc
	v_cndmask_b32_e32 v2, v2, v15, vcc
	v_lshlrev_b32_e32 v14, 24, v14
	v_bfrev_b32_e32 v15, 60
	v_lshlrev_b32_e32 v2, 20, v2
	v_and_b32_e32 v14, 0x80000000, v14
	v_lshl_add_u32 v0, v0, 23, v15
	v_or3_b32 v2, v14, v0, v2
.LBB6_9748:                             ;   in Loop: Header=BB6_9456 Depth=3
	s_or_b64 exec, exec, s[36:37]
.LBB6_9749:                             ;   in Loop: Header=BB6_9456 Depth=3
	s_or_b64 exec, exec, s[34:35]
.LBB6_9750:                             ;   in Loop: Header=BB6_9456 Depth=3
	s_or_b64 exec, exec, s[28:29]
	v_and_b32_e32 v0, 0xff, v52
	v_cmp_ne_u16_e32 vcc, 0, v0
	s_and_saveexec_b64 s[28:29], vcc
	s_cbranch_execz .LBB6_9756
; %bb.9751:                             ;   in Loop: Header=BB6_9456 Depth=3
	v_cmp_ne_u16_e32 vcc, s80, v0
	v_bfrev_b32_e32 v1, 1
	s_and_saveexec_b64 s[34:35], vcc
	s_cbranch_execz .LBB6_9755
; %bb.9752:                             ;   in Loop: Header=BB6_9456 Depth=3
	v_and_b32_e32 v14, 0x7f, v52
	v_cmp_ne_u32_e32 vcc, s81, v14
	v_mov_b32_e32 v1, 0x7f800001
	s_and_saveexec_b64 s[36:37], vcc
	s_cbranch_execz .LBB6_9754
; %bb.9753:                             ;   in Loop: Header=BB6_9456 Depth=3
	v_and_b32_e32 v15, 7, v0
	v_ffbh_u32_e32 v1, v15
	v_lshrrev_b32_e32 v17, 3, v14
	v_cmp_gt_u32_e32 vcc, 8, v14
	v_min_u32_e32 v14, 32, v1
	v_subrev_u32_e32 v1, 28, v14
	v_lshlrev_b64 v[0:1], v1, v[0:1]
	v_sub_u32_e32 v1, 29, v14
	v_and_b32_e32 v0, 7, v0
	v_cndmask_b32_e32 v1, v17, v1, vcc
	v_cndmask_b32_e32 v0, v15, v0, vcc
	v_lshlrev_b32_e32 v14, 24, v52
	v_bfrev_b32_e32 v15, 60
	v_lshlrev_b32_e32 v0, 20, v0
	v_and_b32_e32 v14, 0x80000000, v14
	v_lshl_add_u32 v1, v1, 23, v15
	v_or3_b32 v1, v14, v1, v0
.LBB6_9754:                             ;   in Loop: Header=BB6_9456 Depth=3
	s_or_b64 exec, exec, s[36:37]
.LBB6_9755:                             ;   in Loop: Header=BB6_9456 Depth=3
	s_or_b64 exec, exec, s[34:35]
.LBB6_9756:                             ;   in Loop: Header=BB6_9456 Depth=3
	s_or_b64 exec, exec, s[28:29]
	v_mul_f32_e32 v0, v2, v1
	v_and_b32_e32 v20, 0x7f800000, v0
	v_cmp_ne_u64_e32 vcc, s[62:63], v[20:21]
                                        ; implicit-def: $vgpr52
	s_and_saveexec_b64 s[28:29], vcc
	s_xor_b64 s[34:35], exec, s[28:29]
	s_cbranch_execz .LBB6_9774
; %bb.9757:                             ;   in Loop: Header=BB6_9456 Depth=3
	v_and_b32_e32 v20, 0x7fffffff, v0
	v_cmp_gt_u64_e32 vcc, s[78:79], v[20:21]
	v_and_b32_sdwa v14, v0, s80 dst_sel:DWORD dst_unused:UNUSED_PAD src0_sel:BYTE_3 src1_sel:DWORD
                                        ; implicit-def: $vgpr52
	s_and_saveexec_b64 s[28:29], vcc
	s_xor_b64 s[36:37], exec, s[28:29]
	s_cbranch_execz .LBB6_9771
; %bb.9758:                             ;   in Loop: Header=BB6_9456 Depth=3
	v_cmp_ne_u32_e32 vcc, 0, v0
	v_mov_b32_e32 v52, 0
	s_and_saveexec_b64 s[38:39], vcc
	s_cbranch_execz .LBB6_9770
; %bb.9759:                             ;   in Loop: Header=BB6_9456 Depth=3
	v_bfe_u32 v15, v0, 23, 8
	v_and_b32_e32 v1, 0x7fffff, v0
	v_cmp_gt_u32_e64 s[28:29], s47, v15
	v_sub_u32_e32 v0, 0x79, v15
	v_cmp_eq_u32_e32 vcc, 0, v15
	v_cndmask_b32_e64 v0, 0, v0, s[28:29]
	v_mov_b32_e32 v17, 0x78
	v_cndmask_b32_e32 v17, v0, v17, vcc
	v_or_b32_e32 v2, 0x800000, v1
	v_add_u32_e32 v0, 20, v17
	v_cndmask_b32_e32 v20, v2, v1, vcc
	v_lshlrev_b64 v[0:1], v0, -1
	v_add_u32_e32 v2, 19, v17
	v_lshlrev_b64 v[23:24], v2, 1
	v_bfi_b32 v1, v1, 0, 0
	v_bfi_b32 v0, v0, 0, v20
	v_cmp_eq_u64_e64 s[28:29], v[0:1], v[23:24]
	v_lshrrev_b64 v[0:1], v17, v[20:21]
	v_mov_b32_e32 v2, v1
	v_mov_b32_e32 v1, v0
	s_and_saveexec_b64 s[48:49], s[28:29]
; %bb.9760:                             ;   in Loop: Header=BB6_9456 Depth=3
	v_bfe_u32 v1, v0, 20, 1
	v_add_co_u32_e64 v1, s[28:29], v0, v1
	v_add_co_u32_e64 v1, s[28:29], -1, v1
; %bb.9761:                             ;   in Loop: Header=BB6_9456 Depth=3
	s_or_b64 exec, exec, s[48:49]
	v_add_u32_e32 v2, 0xffffff81, v15
	v_mov_b32_e32 v15, 0xffffff82
	v_cndmask_b32_e32 v2, v2, v15, vcc
	v_lshrrev_b32_e32 v15, 23, v0
	v_add3_u32 v17, v17, v2, v15
	v_add_u32_e32 v15, 6, v17
	v_and_b32_e32 v1, 0xfffff, v1
	v_add_u32_e32 v20, v1, v0
	v_cmp_ne_u32_e32 vcc, 0, v15
                                        ; implicit-def: $vgpr0_vgpr1
                                        ; implicit-def: $vgpr2
	s_and_saveexec_b64 s[28:29], vcc
	s_xor_b64 s[28:29], exec, s[28:29]
; %bb.9762:                             ;   in Loop: Header=BB6_9456 Depth=3
	v_cmp_lt_u64_e32 vcc, s[88:89], v[20:21]
	v_add_u32_e32 v0, 7, v17
	v_cndmask_b32_e32 v2, v15, v0, vcc
	v_cndmask_b32_e64 v0, 0, 1, vcc
	v_lshrrev_b64 v[0:1], v0, v[20:21]
; %bb.9763:                             ;   in Loop: Header=BB6_9456 Depth=3
	s_andn2_saveexec_b64 s[28:29], s[28:29]
; %bb.9764:                             ;   in Loop: Header=BB6_9456 Depth=3
	v_mov_b32_e32 v0, v20
	v_bfe_u32 v2, v20, 23, 1
	v_mov_b32_e32 v1, v21
; %bb.9765:                             ;   in Loop: Header=BB6_9456 Depth=3
	s_or_b64 exec, exec, s[28:29]
	v_lshrrev_b64 v[0:1], 20, v[0:1]
	v_cmp_gt_i32_e32 vcc, 16, v2
	v_cndmask_b32_e32 v1, 0, v1, vcc
	v_cndmask_b32_e32 v0, 7, v0, vcc
	v_cmp_ne_u64_e32 vcc, 0, v[0:1]
	v_cmp_ne_u32_e64 s[28:29], 0, v2
	s_or_b64 s[28:29], s[28:29], vcc
                                        ; implicit-def: $vgpr52
	s_and_saveexec_b64 vcc, s[28:29]
	s_xor_b64 s[28:29], exec, vcc
; %bb.9766:                             ;   in Loop: Header=BB6_9456 Depth=3
	v_min_i32_e32 v1, 15, v2
	v_lshl_or_b32 v1, v1, 3, v14
	v_and_or_b32 v52, v0, 7, v1
                                        ; implicit-def: $vgpr14
; %bb.9767:                             ;   in Loop: Header=BB6_9456 Depth=3
	s_andn2_saveexec_b64 s[28:29], s[28:29]
; %bb.9768:                             ;   in Loop: Header=BB6_9456 Depth=3
	v_mov_b32_e32 v52, v14
; %bb.9769:                             ;   in Loop: Header=BB6_9456 Depth=3
	s_or_b64 exec, exec, s[28:29]
.LBB6_9770:                             ;   in Loop: Header=BB6_9456 Depth=3
	s_or_b64 exec, exec, s[38:39]
                                        ; implicit-def: $vgpr14
.LBB6_9771:                             ;   in Loop: Header=BB6_9456 Depth=3
	s_andn2_saveexec_b64 s[28:29], s[36:37]
; %bb.9772:                             ;   in Loop: Header=BB6_9456 Depth=3
	v_or_b32_e32 v52, 0x7e, v14
; %bb.9773:                             ;   in Loop: Header=BB6_9456 Depth=3
	s_or_b64 exec, exec, s[28:29]
                                        ; implicit-def: $vgpr0
.LBB6_9774:                             ;   in Loop: Header=BB6_9456 Depth=3
	s_andn2_saveexec_b64 s[28:29], s[34:35]
; %bb.9775:                             ;   in Loop: Header=BB6_9456 Depth=3
	v_or_b32_sdwa v52, v0, s81 dst_sel:DWORD dst_unused:UNUSED_PAD src0_sel:BYTE_3 src1_sel:DWORD
; %bb.9776:                             ;   in Loop: Header=BB6_9456 Depth=3
	s_or_b64 exec, exec, s[28:29]
	v_and_b32_e32 v0, 0xff, v25
	v_cmp_ne_u16_e32 vcc, 0, v0
	v_mov_b32_e32 v1, 0
	v_mov_b32_e32 v2, 0
	s_and_saveexec_b64 s[28:29], vcc
	s_cbranch_execz .LBB6_9782
; %bb.9777:                             ;   in Loop: Header=BB6_9456 Depth=3
	v_cmp_ne_u16_e32 vcc, s80, v0
	v_bfrev_b32_e32 v2, 1
	s_and_saveexec_b64 s[34:35], vcc
	s_cbranch_execz .LBB6_9781
; %bb.9778:                             ;   in Loop: Header=BB6_9456 Depth=3
	v_and_b32_e32 v14, 0x7f, v25
	v_cmp_ne_u32_e32 vcc, s81, v14
	v_mov_b32_e32 v2, 0x7f800001
	s_and_saveexec_b64 s[36:37], vcc
	s_cbranch_execz .LBB6_9780
; %bb.9779:                             ;   in Loop: Header=BB6_9456 Depth=3
	v_and_b32_e32 v2, 7, v0
	v_lshrrev_b32_e32 v17, 3, v14
	v_cmp_gt_u32_e32 vcc, 8, v14
	v_ffbh_u32_e32 v14, v2
	v_min_u32_e32 v18, 32, v14
	v_subrev_u32_e32 v14, 28, v18
	v_lshlrev_b64 v[14:15], v14, v[0:1]
	v_sub_u32_e32 v0, 29, v18
	v_and_b32_e32 v14, 7, v14
	v_cndmask_b32_e32 v0, v17, v0, vcc
	v_cndmask_b32_e32 v2, v2, v14, vcc
	v_lshlrev_b32_e32 v14, 24, v25
	v_bfrev_b32_e32 v15, 60
	v_lshlrev_b32_e32 v2, 20, v2
	v_and_b32_e32 v14, 0x80000000, v14
	v_lshl_add_u32 v0, v0, 23, v15
	v_or3_b32 v2, v14, v0, v2
.LBB6_9780:                             ;   in Loop: Header=BB6_9456 Depth=3
	s_or_b64 exec, exec, s[36:37]
.LBB6_9781:                             ;   in Loop: Header=BB6_9456 Depth=3
	s_or_b64 exec, exec, s[34:35]
.LBB6_9782:                             ;   in Loop: Header=BB6_9456 Depth=3
	s_or_b64 exec, exec, s[28:29]
	v_and_b32_e32 v0, 0xff, v55
	v_cmp_ne_u16_e32 vcc, 0, v0
	s_and_saveexec_b64 s[28:29], vcc
	s_cbranch_execz .LBB6_9788
; %bb.9783:                             ;   in Loop: Header=BB6_9456 Depth=3
	v_cmp_ne_u16_e32 vcc, s80, v0
	v_bfrev_b32_e32 v1, 1
	s_and_saveexec_b64 s[34:35], vcc
	s_cbranch_execz .LBB6_9787
; %bb.9784:                             ;   in Loop: Header=BB6_9456 Depth=3
	v_and_b32_e32 v14, 0x7f, v55
	v_cmp_ne_u32_e32 vcc, s81, v14
	v_mov_b32_e32 v1, 0x7f800001
	s_and_saveexec_b64 s[36:37], vcc
	s_cbranch_execz .LBB6_9786
; %bb.9785:                             ;   in Loop: Header=BB6_9456 Depth=3
	v_and_b32_e32 v15, 7, v0
	v_ffbh_u32_e32 v1, v15
	v_lshrrev_b32_e32 v17, 3, v14
	v_cmp_gt_u32_e32 vcc, 8, v14
	v_min_u32_e32 v14, 32, v1
	v_subrev_u32_e32 v1, 28, v14
	v_lshlrev_b64 v[0:1], v1, v[0:1]
	v_sub_u32_e32 v1, 29, v14
	v_and_b32_e32 v0, 7, v0
	v_cndmask_b32_e32 v1, v17, v1, vcc
	v_cndmask_b32_e32 v0, v15, v0, vcc
	v_lshlrev_b32_e32 v14, 24, v55
	v_bfrev_b32_e32 v15, 60
	v_lshlrev_b32_e32 v0, 20, v0
	v_and_b32_e32 v14, 0x80000000, v14
	v_lshl_add_u32 v1, v1, 23, v15
	v_or3_b32 v1, v14, v1, v0
.LBB6_9786:                             ;   in Loop: Header=BB6_9456 Depth=3
	s_or_b64 exec, exec, s[36:37]
.LBB6_9787:                             ;   in Loop: Header=BB6_9456 Depth=3
	s_or_b64 exec, exec, s[34:35]
.LBB6_9788:                             ;   in Loop: Header=BB6_9456 Depth=3
	s_or_b64 exec, exec, s[28:29]
	v_mul_f32_e32 v0, v2, v1
	v_and_b32_e32 v20, 0x7f800000, v0
	v_cmp_ne_u64_e32 vcc, s[62:63], v[20:21]
                                        ; implicit-def: $vgpr55
	s_and_saveexec_b64 s[28:29], vcc
	s_xor_b64 s[34:35], exec, s[28:29]
	s_cbranch_execz .LBB6_9806
; %bb.9789:                             ;   in Loop: Header=BB6_9456 Depth=3
	v_and_b32_e32 v20, 0x7fffffff, v0
	v_cmp_gt_u64_e32 vcc, s[78:79], v[20:21]
	v_and_b32_sdwa v14, v0, s80 dst_sel:DWORD dst_unused:UNUSED_PAD src0_sel:BYTE_3 src1_sel:DWORD
                                        ; implicit-def: $vgpr55
	s_and_saveexec_b64 s[28:29], vcc
	s_xor_b64 s[36:37], exec, s[28:29]
	s_cbranch_execz .LBB6_9803
; %bb.9790:                             ;   in Loop: Header=BB6_9456 Depth=3
	v_cmp_ne_u32_e32 vcc, 0, v0
	v_mov_b32_e32 v55, 0
	s_and_saveexec_b64 s[38:39], vcc
	s_cbranch_execz .LBB6_9802
; %bb.9791:                             ;   in Loop: Header=BB6_9456 Depth=3
	v_bfe_u32 v15, v0, 23, 8
	v_and_b32_e32 v1, 0x7fffff, v0
	v_cmp_gt_u32_e64 s[28:29], s47, v15
	v_sub_u32_e32 v0, 0x79, v15
	v_cmp_eq_u32_e32 vcc, 0, v15
	v_cndmask_b32_e64 v0, 0, v0, s[28:29]
	v_mov_b32_e32 v17, 0x78
	v_cndmask_b32_e32 v17, v0, v17, vcc
	v_or_b32_e32 v2, 0x800000, v1
	v_add_u32_e32 v0, 20, v17
	v_cndmask_b32_e32 v20, v2, v1, vcc
	v_lshlrev_b64 v[0:1], v0, -1
	v_add_u32_e32 v2, 19, v17
	v_lshlrev_b64 v[23:24], v2, 1
	v_bfi_b32 v1, v1, 0, 0
	v_bfi_b32 v0, v0, 0, v20
	v_cmp_eq_u64_e64 s[28:29], v[0:1], v[23:24]
	v_lshrrev_b64 v[0:1], v17, v[20:21]
	v_mov_b32_e32 v2, v1
	v_mov_b32_e32 v1, v0
	s_and_saveexec_b64 s[48:49], s[28:29]
; %bb.9792:                             ;   in Loop: Header=BB6_9456 Depth=3
	v_bfe_u32 v1, v0, 20, 1
	v_add_co_u32_e64 v1, s[28:29], v0, v1
	v_add_co_u32_e64 v1, s[28:29], -1, v1
; %bb.9793:                             ;   in Loop: Header=BB6_9456 Depth=3
	s_or_b64 exec, exec, s[48:49]
	v_add_u32_e32 v2, 0xffffff81, v15
	v_mov_b32_e32 v15, 0xffffff82
	v_cndmask_b32_e32 v2, v2, v15, vcc
	v_lshrrev_b32_e32 v15, 23, v0
	v_add3_u32 v17, v17, v2, v15
	v_add_u32_e32 v15, 6, v17
	v_and_b32_e32 v1, 0xfffff, v1
	v_add_u32_e32 v20, v1, v0
	v_cmp_ne_u32_e32 vcc, 0, v15
                                        ; implicit-def: $vgpr0_vgpr1
                                        ; implicit-def: $vgpr2
	s_and_saveexec_b64 s[28:29], vcc
	s_xor_b64 s[28:29], exec, s[28:29]
; %bb.9794:                             ;   in Loop: Header=BB6_9456 Depth=3
	v_cmp_lt_u64_e32 vcc, s[88:89], v[20:21]
	v_add_u32_e32 v0, 7, v17
	v_cndmask_b32_e32 v2, v15, v0, vcc
	v_cndmask_b32_e64 v0, 0, 1, vcc
	v_lshrrev_b64 v[0:1], v0, v[20:21]
; %bb.9795:                             ;   in Loop: Header=BB6_9456 Depth=3
	s_andn2_saveexec_b64 s[28:29], s[28:29]
; %bb.9796:                             ;   in Loop: Header=BB6_9456 Depth=3
	v_mov_b32_e32 v0, v20
	v_bfe_u32 v2, v20, 23, 1
	v_mov_b32_e32 v1, v21
; %bb.9797:                             ;   in Loop: Header=BB6_9456 Depth=3
	s_or_b64 exec, exec, s[28:29]
	v_lshrrev_b64 v[0:1], 20, v[0:1]
	v_cmp_gt_i32_e32 vcc, 16, v2
	v_cndmask_b32_e32 v1, 0, v1, vcc
	v_cndmask_b32_e32 v0, 7, v0, vcc
	v_cmp_ne_u64_e32 vcc, 0, v[0:1]
	v_cmp_ne_u32_e64 s[28:29], 0, v2
	s_or_b64 s[28:29], s[28:29], vcc
                                        ; implicit-def: $vgpr55
	s_and_saveexec_b64 vcc, s[28:29]
	s_xor_b64 s[28:29], exec, vcc
; %bb.9798:                             ;   in Loop: Header=BB6_9456 Depth=3
	v_min_i32_e32 v1, 15, v2
	v_lshl_or_b32 v1, v1, 3, v14
	v_and_or_b32 v55, v0, 7, v1
                                        ; implicit-def: $vgpr14
; %bb.9799:                             ;   in Loop: Header=BB6_9456 Depth=3
	s_andn2_saveexec_b64 s[28:29], s[28:29]
; %bb.9800:                             ;   in Loop: Header=BB6_9456 Depth=3
	v_mov_b32_e32 v55, v14
; %bb.9801:                             ;   in Loop: Header=BB6_9456 Depth=3
	s_or_b64 exec, exec, s[28:29]
.LBB6_9802:                             ;   in Loop: Header=BB6_9456 Depth=3
	s_or_b64 exec, exec, s[38:39]
                                        ; implicit-def: $vgpr14
.LBB6_9803:                             ;   in Loop: Header=BB6_9456 Depth=3
	s_andn2_saveexec_b64 s[28:29], s[36:37]
; %bb.9804:                             ;   in Loop: Header=BB6_9456 Depth=3
	v_or_b32_e32 v55, 0x7e, v14
; %bb.9805:                             ;   in Loop: Header=BB6_9456 Depth=3
	s_or_b64 exec, exec, s[28:29]
                                        ; implicit-def: $vgpr0
.LBB6_9806:                             ;   in Loop: Header=BB6_9456 Depth=3
	s_andn2_saveexec_b64 s[28:29], s[34:35]
; %bb.9807:                             ;   in Loop: Header=BB6_9456 Depth=3
	v_or_b32_sdwa v55, v0, s81 dst_sel:DWORD dst_unused:UNUSED_PAD src0_sel:BYTE_3 src1_sel:DWORD
; %bb.9808:                             ;   in Loop: Header=BB6_9456 Depth=3
	s_or_b64 exec, exec, s[28:29]
	v_and_b32_e32 v0, 0xff, v22
	v_cmp_ne_u16_e32 vcc, 0, v0
	v_mov_b32_e32 v1, 0
	v_mov_b32_e32 v2, 0
	s_and_saveexec_b64 s[28:29], vcc
	s_cbranch_execz .LBB6_9814
; %bb.9809:                             ;   in Loop: Header=BB6_9456 Depth=3
	v_cmp_ne_u16_e32 vcc, s80, v0
	v_bfrev_b32_e32 v2, 1
	s_and_saveexec_b64 s[34:35], vcc
	s_cbranch_execz .LBB6_9813
; %bb.9810:                             ;   in Loop: Header=BB6_9456 Depth=3
	v_and_b32_e32 v14, 0x7f, v22
	v_cmp_ne_u32_e32 vcc, s81, v14
	v_mov_b32_e32 v2, 0x7f800001
	s_and_saveexec_b64 s[36:37], vcc
	s_cbranch_execz .LBB6_9812
; %bb.9811:                             ;   in Loop: Header=BB6_9456 Depth=3
	v_and_b32_e32 v2, 7, v0
	v_lshrrev_b32_e32 v17, 3, v14
	v_cmp_gt_u32_e32 vcc, 8, v14
	v_ffbh_u32_e32 v14, v2
	v_min_u32_e32 v18, 32, v14
	v_subrev_u32_e32 v14, 28, v18
	v_lshlrev_b64 v[14:15], v14, v[0:1]
	v_sub_u32_e32 v0, 29, v18
	v_and_b32_e32 v14, 7, v14
	v_cndmask_b32_e32 v0, v17, v0, vcc
	v_cndmask_b32_e32 v2, v2, v14, vcc
	v_lshlrev_b32_e32 v14, 24, v22
	v_bfrev_b32_e32 v15, 60
	v_lshlrev_b32_e32 v2, 20, v2
	v_and_b32_e32 v14, 0x80000000, v14
	v_lshl_add_u32 v0, v0, 23, v15
	v_or3_b32 v2, v14, v0, v2
.LBB6_9812:                             ;   in Loop: Header=BB6_9456 Depth=3
	s_or_b64 exec, exec, s[36:37]
.LBB6_9813:                             ;   in Loop: Header=BB6_9456 Depth=3
	s_or_b64 exec, exec, s[34:35]
.LBB6_9814:                             ;   in Loop: Header=BB6_9456 Depth=3
	s_or_b64 exec, exec, s[28:29]
	v_and_b32_e32 v0, 0xff, v43
	v_cmp_ne_u16_e32 vcc, 0, v0
	s_and_saveexec_b64 s[28:29], vcc
	s_cbranch_execz .LBB6_9820
; %bb.9815:                             ;   in Loop: Header=BB6_9456 Depth=3
	v_cmp_ne_u16_e32 vcc, s80, v0
	v_bfrev_b32_e32 v1, 1
	s_and_saveexec_b64 s[34:35], vcc
	s_cbranch_execz .LBB6_9819
; %bb.9816:                             ;   in Loop: Header=BB6_9456 Depth=3
	v_and_b32_e32 v14, 0x7f, v43
	v_cmp_ne_u32_e32 vcc, s81, v14
	v_mov_b32_e32 v1, 0x7f800001
	s_and_saveexec_b64 s[36:37], vcc
	s_cbranch_execz .LBB6_9818
; %bb.9817:                             ;   in Loop: Header=BB6_9456 Depth=3
	v_and_b32_e32 v15, 7, v0
	v_ffbh_u32_e32 v1, v15
	v_lshrrev_b32_e32 v17, 3, v14
	v_cmp_gt_u32_e32 vcc, 8, v14
	v_min_u32_e32 v14, 32, v1
	v_subrev_u32_e32 v1, 28, v14
	v_lshlrev_b64 v[0:1], v1, v[0:1]
	v_sub_u32_e32 v1, 29, v14
	v_and_b32_e32 v0, 7, v0
	v_cndmask_b32_e32 v1, v17, v1, vcc
	v_cndmask_b32_e32 v0, v15, v0, vcc
	v_lshlrev_b32_e32 v14, 24, v43
	v_bfrev_b32_e32 v15, 60
	v_lshlrev_b32_e32 v0, 20, v0
	v_and_b32_e32 v14, 0x80000000, v14
	v_lshl_add_u32 v1, v1, 23, v15
	v_or3_b32 v1, v14, v1, v0
.LBB6_9818:                             ;   in Loop: Header=BB6_9456 Depth=3
	s_or_b64 exec, exec, s[36:37]
.LBB6_9819:                             ;   in Loop: Header=BB6_9456 Depth=3
	s_or_b64 exec, exec, s[34:35]
.LBB6_9820:                             ;   in Loop: Header=BB6_9456 Depth=3
	s_or_b64 exec, exec, s[28:29]
	v_mul_f32_e32 v0, v2, v1
	v_and_b32_e32 v20, 0x7f800000, v0
	v_cmp_ne_u64_e32 vcc, s[62:63], v[20:21]
                                        ; implicit-def: $vgpr43
	s_and_saveexec_b64 s[28:29], vcc
	s_xor_b64 s[34:35], exec, s[28:29]
	s_cbranch_execz .LBB6_9838
; %bb.9821:                             ;   in Loop: Header=BB6_9456 Depth=3
	v_and_b32_e32 v20, 0x7fffffff, v0
	v_cmp_gt_u64_e32 vcc, s[78:79], v[20:21]
	v_and_b32_sdwa v14, v0, s80 dst_sel:DWORD dst_unused:UNUSED_PAD src0_sel:BYTE_3 src1_sel:DWORD
                                        ; implicit-def: $vgpr43
	s_and_saveexec_b64 s[28:29], vcc
	s_xor_b64 s[36:37], exec, s[28:29]
	s_cbranch_execz .LBB6_9835
; %bb.9822:                             ;   in Loop: Header=BB6_9456 Depth=3
	v_cmp_ne_u32_e32 vcc, 0, v0
	v_mov_b32_e32 v43, 0
	s_and_saveexec_b64 s[38:39], vcc
	s_cbranch_execz .LBB6_9834
; %bb.9823:                             ;   in Loop: Header=BB6_9456 Depth=3
	v_bfe_u32 v15, v0, 23, 8
	v_and_b32_e32 v1, 0x7fffff, v0
	v_cmp_gt_u32_e64 s[28:29], s47, v15
	v_sub_u32_e32 v0, 0x79, v15
	v_cmp_eq_u32_e32 vcc, 0, v15
	v_cndmask_b32_e64 v0, 0, v0, s[28:29]
	v_mov_b32_e32 v17, 0x78
	v_cndmask_b32_e32 v17, v0, v17, vcc
	v_or_b32_e32 v2, 0x800000, v1
	v_add_u32_e32 v0, 20, v17
	v_cndmask_b32_e32 v20, v2, v1, vcc
	v_lshlrev_b64 v[0:1], v0, -1
	v_add_u32_e32 v2, 19, v17
	v_lshlrev_b64 v[22:23], v2, 1
	v_bfi_b32 v1, v1, 0, 0
	v_bfi_b32 v0, v0, 0, v20
	v_cmp_eq_u64_e64 s[28:29], v[0:1], v[22:23]
	v_lshrrev_b64 v[0:1], v17, v[20:21]
	v_mov_b32_e32 v2, v1
	v_mov_b32_e32 v1, v0
	s_and_saveexec_b64 s[48:49], s[28:29]
; %bb.9824:                             ;   in Loop: Header=BB6_9456 Depth=3
	v_bfe_u32 v1, v0, 20, 1
	v_add_co_u32_e64 v1, s[28:29], v0, v1
	v_add_co_u32_e64 v1, s[28:29], -1, v1
; %bb.9825:                             ;   in Loop: Header=BB6_9456 Depth=3
	s_or_b64 exec, exec, s[48:49]
	v_add_u32_e32 v2, 0xffffff81, v15
	v_mov_b32_e32 v15, 0xffffff82
	v_cndmask_b32_e32 v2, v2, v15, vcc
	v_lshrrev_b32_e32 v15, 23, v0
	v_add3_u32 v17, v17, v2, v15
	v_add_u32_e32 v15, 6, v17
	v_and_b32_e32 v1, 0xfffff, v1
	v_add_u32_e32 v20, v1, v0
	v_cmp_ne_u32_e32 vcc, 0, v15
                                        ; implicit-def: $vgpr0_vgpr1
                                        ; implicit-def: $vgpr2
	s_and_saveexec_b64 s[28:29], vcc
	s_xor_b64 s[28:29], exec, s[28:29]
; %bb.9826:                             ;   in Loop: Header=BB6_9456 Depth=3
	v_cmp_lt_u64_e32 vcc, s[88:89], v[20:21]
	v_add_u32_e32 v0, 7, v17
	v_cndmask_b32_e32 v2, v15, v0, vcc
	v_cndmask_b32_e64 v0, 0, 1, vcc
	v_lshrrev_b64 v[0:1], v0, v[20:21]
; %bb.9827:                             ;   in Loop: Header=BB6_9456 Depth=3
	s_andn2_saveexec_b64 s[28:29], s[28:29]
; %bb.9828:                             ;   in Loop: Header=BB6_9456 Depth=3
	v_mov_b32_e32 v0, v20
	v_bfe_u32 v2, v20, 23, 1
	v_mov_b32_e32 v1, v21
; %bb.9829:                             ;   in Loop: Header=BB6_9456 Depth=3
	s_or_b64 exec, exec, s[28:29]
	v_lshrrev_b64 v[0:1], 20, v[0:1]
	v_cmp_gt_i32_e32 vcc, 16, v2
	v_cndmask_b32_e32 v1, 0, v1, vcc
	v_cndmask_b32_e32 v0, 7, v0, vcc
	v_cmp_ne_u64_e32 vcc, 0, v[0:1]
	v_cmp_ne_u32_e64 s[28:29], 0, v2
	s_or_b64 s[28:29], s[28:29], vcc
                                        ; implicit-def: $vgpr43
	s_and_saveexec_b64 vcc, s[28:29]
	s_xor_b64 s[28:29], exec, vcc
; %bb.9830:                             ;   in Loop: Header=BB6_9456 Depth=3
	v_min_i32_e32 v1, 15, v2
	v_lshl_or_b32 v1, v1, 3, v14
	v_and_or_b32 v43, v0, 7, v1
                                        ; implicit-def: $vgpr14
; %bb.9831:                             ;   in Loop: Header=BB6_9456 Depth=3
	s_andn2_saveexec_b64 s[28:29], s[28:29]
; %bb.9832:                             ;   in Loop: Header=BB6_9456 Depth=3
	v_mov_b32_e32 v43, v14
; %bb.9833:                             ;   in Loop: Header=BB6_9456 Depth=3
	s_or_b64 exec, exec, s[28:29]
.LBB6_9834:                             ;   in Loop: Header=BB6_9456 Depth=3
	s_or_b64 exec, exec, s[38:39]
                                        ; implicit-def: $vgpr14
.LBB6_9835:                             ;   in Loop: Header=BB6_9456 Depth=3
	s_andn2_saveexec_b64 s[28:29], s[36:37]
; %bb.9836:                             ;   in Loop: Header=BB6_9456 Depth=3
	v_or_b32_e32 v43, 0x7e, v14
; %bb.9837:                             ;   in Loop: Header=BB6_9456 Depth=3
	s_or_b64 exec, exec, s[28:29]
                                        ; implicit-def: $vgpr0
.LBB6_9838:                             ;   in Loop: Header=BB6_9456 Depth=3
	s_andn2_saveexec_b64 s[28:29], s[34:35]
; %bb.9839:                             ;   in Loop: Header=BB6_9456 Depth=3
	v_or_b32_sdwa v43, v0, s81 dst_sel:DWORD dst_unused:UNUSED_PAD src0_sel:BYTE_3 src1_sel:DWORD
; %bb.9840:                             ;   in Loop: Header=BB6_9456 Depth=3
	s_or_b64 exec, exec, s[28:29]
	v_and_b32_e32 v0, 0xff, v19
	v_cmp_ne_u16_e32 vcc, 0, v0
	v_mov_b32_e32 v1, 0
	v_mov_b32_e32 v2, 0
	s_and_saveexec_b64 s[28:29], vcc
	s_cbranch_execz .LBB6_9846
; %bb.9841:                             ;   in Loop: Header=BB6_9456 Depth=3
	v_cmp_ne_u16_e32 vcc, s80, v0
	v_bfrev_b32_e32 v2, 1
	s_and_saveexec_b64 s[34:35], vcc
	s_cbranch_execz .LBB6_9845
; %bb.9842:                             ;   in Loop: Header=BB6_9456 Depth=3
	v_and_b32_e32 v14, 0x7f, v19
	v_cmp_ne_u32_e32 vcc, s81, v14
	v_mov_b32_e32 v2, 0x7f800001
	s_and_saveexec_b64 s[36:37], vcc
	s_cbranch_execz .LBB6_9844
; %bb.9843:                             ;   in Loop: Header=BB6_9456 Depth=3
	v_and_b32_e32 v2, 7, v0
	v_lshrrev_b32_e32 v17, 3, v14
	v_cmp_gt_u32_e32 vcc, 8, v14
	v_ffbh_u32_e32 v14, v2
	v_min_u32_e32 v18, 32, v14
	v_subrev_u32_e32 v14, 28, v18
	v_lshlrev_b64 v[14:15], v14, v[0:1]
	v_sub_u32_e32 v0, 29, v18
	v_and_b32_e32 v14, 7, v14
	v_cndmask_b32_e32 v0, v17, v0, vcc
	v_cndmask_b32_e32 v2, v2, v14, vcc
	v_lshlrev_b32_e32 v14, 24, v19
	v_bfrev_b32_e32 v15, 60
	v_lshlrev_b32_e32 v2, 20, v2
	v_and_b32_e32 v14, 0x80000000, v14
	v_lshl_add_u32 v0, v0, 23, v15
	v_or3_b32 v2, v14, v0, v2
.LBB6_9844:                             ;   in Loop: Header=BB6_9456 Depth=3
	s_or_b64 exec, exec, s[36:37]
.LBB6_9845:                             ;   in Loop: Header=BB6_9456 Depth=3
	s_or_b64 exec, exec, s[34:35]
.LBB6_9846:                             ;   in Loop: Header=BB6_9456 Depth=3
	s_or_b64 exec, exec, s[28:29]
	v_and_b32_e32 v0, 0xff, v56
	v_cmp_ne_u16_e32 vcc, 0, v0
	s_and_saveexec_b64 s[28:29], vcc
	s_cbranch_execz .LBB6_9852
; %bb.9847:                             ;   in Loop: Header=BB6_9456 Depth=3
	v_cmp_ne_u16_e32 vcc, s80, v0
	v_bfrev_b32_e32 v1, 1
	s_and_saveexec_b64 s[34:35], vcc
	s_cbranch_execz .LBB6_9851
; %bb.9848:                             ;   in Loop: Header=BB6_9456 Depth=3
	v_and_b32_e32 v14, 0x7f, v56
	v_cmp_ne_u32_e32 vcc, s81, v14
	v_mov_b32_e32 v1, 0x7f800001
	s_and_saveexec_b64 s[36:37], vcc
	s_cbranch_execz .LBB6_9850
; %bb.9849:                             ;   in Loop: Header=BB6_9456 Depth=3
	v_and_b32_e32 v15, 7, v0
	v_ffbh_u32_e32 v1, v15
	v_lshrrev_b32_e32 v17, 3, v14
	v_cmp_gt_u32_e32 vcc, 8, v14
	v_min_u32_e32 v14, 32, v1
	v_subrev_u32_e32 v1, 28, v14
	v_lshlrev_b64 v[0:1], v1, v[0:1]
	v_sub_u32_e32 v1, 29, v14
	v_and_b32_e32 v0, 7, v0
	v_cndmask_b32_e32 v1, v17, v1, vcc
	v_cndmask_b32_e32 v0, v15, v0, vcc
	v_lshlrev_b32_e32 v14, 24, v56
	v_bfrev_b32_e32 v15, 60
	v_lshlrev_b32_e32 v0, 20, v0
	v_and_b32_e32 v14, 0x80000000, v14
	v_lshl_add_u32 v1, v1, 23, v15
	v_or3_b32 v1, v14, v1, v0
.LBB6_9850:                             ;   in Loop: Header=BB6_9456 Depth=3
	s_or_b64 exec, exec, s[36:37]
.LBB6_9851:                             ;   in Loop: Header=BB6_9456 Depth=3
	s_or_b64 exec, exec, s[34:35]
.LBB6_9852:                             ;   in Loop: Header=BB6_9456 Depth=3
	s_or_b64 exec, exec, s[28:29]
	v_mul_f32_e32 v0, v2, v1
	v_and_b32_e32 v20, 0x7f800000, v0
	v_cmp_ne_u64_e32 vcc, s[62:63], v[20:21]
                                        ; implicit-def: $vgpr56
	s_and_saveexec_b64 s[28:29], vcc
	s_xor_b64 s[34:35], exec, s[28:29]
	s_cbranch_execz .LBB6_9870
; %bb.9853:                             ;   in Loop: Header=BB6_9456 Depth=3
	v_and_b32_e32 v20, 0x7fffffff, v0
	v_cmp_gt_u64_e32 vcc, s[78:79], v[20:21]
	v_and_b32_sdwa v14, v0, s80 dst_sel:DWORD dst_unused:UNUSED_PAD src0_sel:BYTE_3 src1_sel:DWORD
                                        ; implicit-def: $vgpr56
	s_and_saveexec_b64 s[28:29], vcc
	s_xor_b64 s[36:37], exec, s[28:29]
	s_cbranch_execz .LBB6_9867
; %bb.9854:                             ;   in Loop: Header=BB6_9456 Depth=3
	v_cmp_ne_u32_e32 vcc, 0, v0
	v_mov_b32_e32 v56, 0
	s_and_saveexec_b64 s[38:39], vcc
	s_cbranch_execz .LBB6_9866
; %bb.9855:                             ;   in Loop: Header=BB6_9456 Depth=3
	v_bfe_u32 v15, v0, 23, 8
	v_and_b32_e32 v1, 0x7fffff, v0
	v_cmp_gt_u32_e64 s[28:29], s47, v15
	v_sub_u32_e32 v0, 0x79, v15
	v_cmp_eq_u32_e32 vcc, 0, v15
	v_cndmask_b32_e64 v0, 0, v0, s[28:29]
	v_mov_b32_e32 v17, 0x78
	v_cndmask_b32_e32 v17, v0, v17, vcc
	v_or_b32_e32 v2, 0x800000, v1
	v_add_u32_e32 v0, 20, v17
	v_cndmask_b32_e32 v20, v2, v1, vcc
	v_lshlrev_b64 v[0:1], v0, -1
	v_add_u32_e32 v2, 19, v17
	v_lshlrev_b64 v[18:19], v2, 1
	v_bfi_b32 v1, v1, 0, 0
	v_bfi_b32 v0, v0, 0, v20
	v_cmp_eq_u64_e64 s[28:29], v[0:1], v[18:19]
	v_lshrrev_b64 v[0:1], v17, v[20:21]
	v_mov_b32_e32 v2, v1
	v_mov_b32_e32 v1, v0
	s_and_saveexec_b64 s[48:49], s[28:29]
; %bb.9856:                             ;   in Loop: Header=BB6_9456 Depth=3
	v_bfe_u32 v1, v0, 20, 1
	v_add_co_u32_e64 v1, s[28:29], v0, v1
	v_add_co_u32_e64 v1, s[28:29], -1, v1
; %bb.9857:                             ;   in Loop: Header=BB6_9456 Depth=3
	s_or_b64 exec, exec, s[48:49]
	v_add_u32_e32 v2, 0xffffff81, v15
	v_mov_b32_e32 v15, 0xffffff82
	v_cndmask_b32_e32 v2, v2, v15, vcc
	v_lshrrev_b32_e32 v15, 23, v0
	v_add3_u32 v17, v17, v2, v15
	v_add_u32_e32 v15, 6, v17
	v_and_b32_e32 v1, 0xfffff, v1
	v_add_u32_e32 v20, v1, v0
	v_cmp_ne_u32_e32 vcc, 0, v15
                                        ; implicit-def: $vgpr0_vgpr1
                                        ; implicit-def: $vgpr2
	s_and_saveexec_b64 s[28:29], vcc
	s_xor_b64 s[28:29], exec, s[28:29]
; %bb.9858:                             ;   in Loop: Header=BB6_9456 Depth=3
	v_cmp_lt_u64_e32 vcc, s[88:89], v[20:21]
	v_add_u32_e32 v0, 7, v17
	v_cndmask_b32_e32 v2, v15, v0, vcc
	v_cndmask_b32_e64 v0, 0, 1, vcc
	v_lshrrev_b64 v[0:1], v0, v[20:21]
; %bb.9859:                             ;   in Loop: Header=BB6_9456 Depth=3
	s_andn2_saveexec_b64 s[28:29], s[28:29]
; %bb.9860:                             ;   in Loop: Header=BB6_9456 Depth=3
	v_mov_b32_e32 v0, v20
	v_bfe_u32 v2, v20, 23, 1
	v_mov_b32_e32 v1, v21
; %bb.9861:                             ;   in Loop: Header=BB6_9456 Depth=3
	s_or_b64 exec, exec, s[28:29]
	v_lshrrev_b64 v[0:1], 20, v[0:1]
	v_cmp_gt_i32_e32 vcc, 16, v2
	v_cndmask_b32_e32 v1, 0, v1, vcc
	v_cndmask_b32_e32 v0, 7, v0, vcc
	v_cmp_ne_u64_e32 vcc, 0, v[0:1]
	v_cmp_ne_u32_e64 s[28:29], 0, v2
	s_or_b64 s[28:29], s[28:29], vcc
                                        ; implicit-def: $vgpr56
	s_and_saveexec_b64 vcc, s[28:29]
	s_xor_b64 s[28:29], exec, vcc
; %bb.9862:                             ;   in Loop: Header=BB6_9456 Depth=3
	v_min_i32_e32 v1, 15, v2
	v_lshl_or_b32 v1, v1, 3, v14
	v_and_or_b32 v56, v0, 7, v1
                                        ; implicit-def: $vgpr14
; %bb.9863:                             ;   in Loop: Header=BB6_9456 Depth=3
	s_andn2_saveexec_b64 s[28:29], s[28:29]
; %bb.9864:                             ;   in Loop: Header=BB6_9456 Depth=3
	v_mov_b32_e32 v56, v14
; %bb.9865:                             ;   in Loop: Header=BB6_9456 Depth=3
	s_or_b64 exec, exec, s[28:29]
.LBB6_9866:                             ;   in Loop: Header=BB6_9456 Depth=3
	s_or_b64 exec, exec, s[38:39]
                                        ; implicit-def: $vgpr14
.LBB6_9867:                             ;   in Loop: Header=BB6_9456 Depth=3
	s_andn2_saveexec_b64 s[28:29], s[36:37]
; %bb.9868:                             ;   in Loop: Header=BB6_9456 Depth=3
	v_or_b32_e32 v56, 0x7e, v14
; %bb.9869:                             ;   in Loop: Header=BB6_9456 Depth=3
	s_or_b64 exec, exec, s[28:29]
                                        ; implicit-def: $vgpr0
.LBB6_9870:                             ;   in Loop: Header=BB6_9456 Depth=3
	s_andn2_saveexec_b64 s[28:29], s[34:35]
; %bb.9871:                             ;   in Loop: Header=BB6_9456 Depth=3
	v_or_b32_sdwa v56, v0, s81 dst_sel:DWORD dst_unused:UNUSED_PAD src0_sel:BYTE_3 src1_sel:DWORD
; %bb.9872:                             ;   in Loop: Header=BB6_9456 Depth=3
	s_or_b64 exec, exec, s[28:29]
	v_and_b32_e32 v0, 0xff, v59
	v_cmp_ne_u16_e32 vcc, 0, v0
	v_mov_b32_e32 v1, 0
	v_mov_b32_e32 v2, 0
	s_and_saveexec_b64 s[28:29], vcc
	s_cbranch_execz .LBB6_9878
; %bb.9873:                             ;   in Loop: Header=BB6_9456 Depth=3
	v_cmp_ne_u16_e32 vcc, s80, v0
	v_bfrev_b32_e32 v2, 1
	s_and_saveexec_b64 s[34:35], vcc
	s_cbranch_execz .LBB6_9877
; %bb.9874:                             ;   in Loop: Header=BB6_9456 Depth=3
	v_and_b32_e32 v14, 0x7f, v59
	v_cmp_ne_u32_e32 vcc, s81, v14
	v_mov_b32_e32 v2, 0x7f800001
	s_and_saveexec_b64 s[36:37], vcc
	s_cbranch_execz .LBB6_9876
; %bb.9875:                             ;   in Loop: Header=BB6_9456 Depth=3
	v_and_b32_e32 v2, 7, v0
	v_lshrrev_b32_e32 v17, 3, v14
	v_cmp_gt_u32_e32 vcc, 8, v14
	v_ffbh_u32_e32 v14, v2
	v_min_u32_e32 v18, 32, v14
	v_subrev_u32_e32 v14, 28, v18
	v_lshlrev_b64 v[14:15], v14, v[0:1]
	v_sub_u32_e32 v0, 29, v18
	v_and_b32_e32 v14, 7, v14
	v_cndmask_b32_e32 v0, v17, v0, vcc
	v_cndmask_b32_e32 v2, v2, v14, vcc
	v_lshlrev_b32_e32 v14, 24, v59
	v_bfrev_b32_e32 v15, 60
	v_lshlrev_b32_e32 v2, 20, v2
	v_and_b32_e32 v14, 0x80000000, v14
	v_lshl_add_u32 v0, v0, 23, v15
	v_or3_b32 v2, v14, v0, v2
.LBB6_9876:                             ;   in Loop: Header=BB6_9456 Depth=3
	s_or_b64 exec, exec, s[36:37]
.LBB6_9877:                             ;   in Loop: Header=BB6_9456 Depth=3
	s_or_b64 exec, exec, s[34:35]
.LBB6_9878:                             ;   in Loop: Header=BB6_9456 Depth=3
	s_or_b64 exec, exec, s[28:29]
	v_and_b32_e32 v0, 0xff, v47
	v_cmp_ne_u16_e32 vcc, 0, v0
	s_and_saveexec_b64 s[28:29], vcc
	s_cbranch_execz .LBB6_9884
; %bb.9879:                             ;   in Loop: Header=BB6_9456 Depth=3
	v_cmp_ne_u16_e32 vcc, s80, v0
	v_bfrev_b32_e32 v1, 1
	s_and_saveexec_b64 s[34:35], vcc
	s_cbranch_execz .LBB6_9883
; %bb.9880:                             ;   in Loop: Header=BB6_9456 Depth=3
	v_and_b32_e32 v14, 0x7f, v47
	v_cmp_ne_u32_e32 vcc, s81, v14
	v_mov_b32_e32 v1, 0x7f800001
	s_and_saveexec_b64 s[36:37], vcc
	s_cbranch_execz .LBB6_9882
; %bb.9881:                             ;   in Loop: Header=BB6_9456 Depth=3
	v_and_b32_e32 v15, 7, v0
	v_ffbh_u32_e32 v1, v15
	v_lshrrev_b32_e32 v17, 3, v14
	v_cmp_gt_u32_e32 vcc, 8, v14
	v_min_u32_e32 v14, 32, v1
	v_subrev_u32_e32 v1, 28, v14
	v_lshlrev_b64 v[0:1], v1, v[0:1]
	v_sub_u32_e32 v1, 29, v14
	v_and_b32_e32 v0, 7, v0
	v_cndmask_b32_e32 v1, v17, v1, vcc
	v_cndmask_b32_e32 v0, v15, v0, vcc
	v_lshlrev_b32_e32 v14, 24, v47
	v_bfrev_b32_e32 v15, 60
	v_lshlrev_b32_e32 v0, 20, v0
	v_and_b32_e32 v14, 0x80000000, v14
	v_lshl_add_u32 v1, v1, 23, v15
	v_or3_b32 v1, v14, v1, v0
.LBB6_9882:                             ;   in Loop: Header=BB6_9456 Depth=3
	s_or_b64 exec, exec, s[36:37]
.LBB6_9883:                             ;   in Loop: Header=BB6_9456 Depth=3
	s_or_b64 exec, exec, s[34:35]
.LBB6_9884:                             ;   in Loop: Header=BB6_9456 Depth=3
	s_or_b64 exec, exec, s[28:29]
	v_mul_f32_e32 v0, v2, v1
	v_and_b32_e32 v20, 0x7f800000, v0
	v_cmp_ne_u64_e32 vcc, s[62:63], v[20:21]
                                        ; implicit-def: $vgpr59
	s_and_saveexec_b64 s[28:29], vcc
	s_xor_b64 s[34:35], exec, s[28:29]
	s_cbranch_execz .LBB6_9902
; %bb.9885:                             ;   in Loop: Header=BB6_9456 Depth=3
	v_and_b32_e32 v20, 0x7fffffff, v0
	v_cmp_gt_u64_e32 vcc, s[78:79], v[20:21]
	v_and_b32_sdwa v14, v0, s80 dst_sel:DWORD dst_unused:UNUSED_PAD src0_sel:BYTE_3 src1_sel:DWORD
                                        ; implicit-def: $vgpr59
	s_and_saveexec_b64 s[28:29], vcc
	s_xor_b64 s[36:37], exec, s[28:29]
	s_cbranch_execz .LBB6_9899
; %bb.9886:                             ;   in Loop: Header=BB6_9456 Depth=3
	v_cmp_ne_u32_e32 vcc, 0, v0
	v_mov_b32_e32 v59, 0
	s_and_saveexec_b64 s[38:39], vcc
	s_cbranch_execz .LBB6_9898
; %bb.9887:                             ;   in Loop: Header=BB6_9456 Depth=3
	v_bfe_u32 v15, v0, 23, 8
	v_and_b32_e32 v1, 0x7fffff, v0
	v_cmp_gt_u32_e64 s[28:29], s47, v15
	v_sub_u32_e32 v0, 0x79, v15
	v_cmp_eq_u32_e32 vcc, 0, v15
	v_cndmask_b32_e64 v0, 0, v0, s[28:29]
	v_mov_b32_e32 v17, 0x78
	v_cndmask_b32_e32 v17, v0, v17, vcc
	v_or_b32_e32 v2, 0x800000, v1
	v_add_u32_e32 v0, 20, v17
	v_cndmask_b32_e32 v20, v2, v1, vcc
	v_lshlrev_b64 v[0:1], v0, -1
	v_add_u32_e32 v2, 19, v17
	v_lshlrev_b64 v[18:19], v2, 1
	v_bfi_b32 v1, v1, 0, 0
	v_bfi_b32 v0, v0, 0, v20
	v_cmp_eq_u64_e64 s[28:29], v[0:1], v[18:19]
	v_lshrrev_b64 v[0:1], v17, v[20:21]
	v_mov_b32_e32 v2, v1
	v_mov_b32_e32 v1, v0
	s_and_saveexec_b64 s[48:49], s[28:29]
; %bb.9888:                             ;   in Loop: Header=BB6_9456 Depth=3
	v_bfe_u32 v1, v0, 20, 1
	v_add_co_u32_e64 v1, s[28:29], v0, v1
	v_add_co_u32_e64 v1, s[28:29], -1, v1
; %bb.9889:                             ;   in Loop: Header=BB6_9456 Depth=3
	s_or_b64 exec, exec, s[48:49]
	v_add_u32_e32 v2, 0xffffff81, v15
	v_mov_b32_e32 v15, 0xffffff82
	v_cndmask_b32_e32 v2, v2, v15, vcc
	v_lshrrev_b32_e32 v15, 23, v0
	v_add3_u32 v17, v17, v2, v15
	v_add_u32_e32 v15, 6, v17
	v_and_b32_e32 v1, 0xfffff, v1
	v_add_u32_e32 v20, v1, v0
	v_cmp_ne_u32_e32 vcc, 0, v15
                                        ; implicit-def: $vgpr0_vgpr1
                                        ; implicit-def: $vgpr2
	s_and_saveexec_b64 s[28:29], vcc
	s_xor_b64 s[28:29], exec, s[28:29]
; %bb.9890:                             ;   in Loop: Header=BB6_9456 Depth=3
	v_cmp_lt_u64_e32 vcc, s[88:89], v[20:21]
	v_add_u32_e32 v0, 7, v17
	v_cndmask_b32_e32 v2, v15, v0, vcc
	v_cndmask_b32_e64 v0, 0, 1, vcc
	v_lshrrev_b64 v[0:1], v0, v[20:21]
; %bb.9891:                             ;   in Loop: Header=BB6_9456 Depth=3
	s_andn2_saveexec_b64 s[28:29], s[28:29]
; %bb.9892:                             ;   in Loop: Header=BB6_9456 Depth=3
	v_mov_b32_e32 v0, v20
	v_bfe_u32 v2, v20, 23, 1
	v_mov_b32_e32 v1, v21
; %bb.9893:                             ;   in Loop: Header=BB6_9456 Depth=3
	s_or_b64 exec, exec, s[28:29]
	v_lshrrev_b64 v[0:1], 20, v[0:1]
	v_cmp_gt_i32_e32 vcc, 16, v2
	v_cndmask_b32_e32 v1, 0, v1, vcc
	v_cndmask_b32_e32 v0, 7, v0, vcc
	v_cmp_ne_u64_e32 vcc, 0, v[0:1]
	v_cmp_ne_u32_e64 s[28:29], 0, v2
	s_or_b64 s[28:29], s[28:29], vcc
                                        ; implicit-def: $vgpr59
	s_and_saveexec_b64 vcc, s[28:29]
	s_xor_b64 s[28:29], exec, vcc
; %bb.9894:                             ;   in Loop: Header=BB6_9456 Depth=3
	v_min_i32_e32 v1, 15, v2
	v_lshl_or_b32 v1, v1, 3, v14
	v_and_or_b32 v59, v0, 7, v1
                                        ; implicit-def: $vgpr14
; %bb.9895:                             ;   in Loop: Header=BB6_9456 Depth=3
	s_andn2_saveexec_b64 s[28:29], s[28:29]
; %bb.9896:                             ;   in Loop: Header=BB6_9456 Depth=3
	v_mov_b32_e32 v59, v14
; %bb.9897:                             ;   in Loop: Header=BB6_9456 Depth=3
	s_or_b64 exec, exec, s[28:29]
.LBB6_9898:                             ;   in Loop: Header=BB6_9456 Depth=3
	s_or_b64 exec, exec, s[38:39]
                                        ; implicit-def: $vgpr14
.LBB6_9899:                             ;   in Loop: Header=BB6_9456 Depth=3
	s_andn2_saveexec_b64 s[28:29], s[36:37]
; %bb.9900:                             ;   in Loop: Header=BB6_9456 Depth=3
	v_or_b32_e32 v59, 0x7e, v14
; %bb.9901:                             ;   in Loop: Header=BB6_9456 Depth=3
	s_or_b64 exec, exec, s[28:29]
                                        ; implicit-def: $vgpr0
.LBB6_9902:                             ;   in Loop: Header=BB6_9456 Depth=3
	s_andn2_saveexec_b64 s[28:29], s[34:35]
; %bb.9903:                             ;   in Loop: Header=BB6_9456 Depth=3
	v_or_b32_sdwa v59, v0, s81 dst_sel:DWORD dst_unused:UNUSED_PAD src0_sel:BYTE_3 src1_sel:DWORD
; %bb.9904:                             ;   in Loop: Header=BB6_9456 Depth=3
	s_or_b64 exec, exec, s[28:29]
	v_and_b32_e32 v0, 0xff, v46
	v_cmp_ne_u16_e32 vcc, 0, v0
	v_mov_b32_e32 v1, 0
	v_mov_b32_e32 v2, 0
	s_and_saveexec_b64 s[28:29], vcc
	s_cbranch_execz .LBB6_9910
; %bb.9905:                             ;   in Loop: Header=BB6_9456 Depth=3
	v_cmp_ne_u16_e32 vcc, s80, v0
	v_bfrev_b32_e32 v2, 1
	s_and_saveexec_b64 s[34:35], vcc
	s_cbranch_execz .LBB6_9909
; %bb.9906:                             ;   in Loop: Header=BB6_9456 Depth=3
	v_and_b32_e32 v14, 0x7f, v46
	v_cmp_ne_u32_e32 vcc, s81, v14
	v_mov_b32_e32 v2, 0x7f800001
	s_and_saveexec_b64 s[36:37], vcc
	s_cbranch_execz .LBB6_9908
; %bb.9907:                             ;   in Loop: Header=BB6_9456 Depth=3
	v_and_b32_e32 v2, 7, v0
	v_lshrrev_b32_e32 v17, 3, v14
	v_cmp_gt_u32_e32 vcc, 8, v14
	v_ffbh_u32_e32 v14, v2
	v_min_u32_e32 v18, 32, v14
	v_subrev_u32_e32 v14, 28, v18
	v_lshlrev_b64 v[14:15], v14, v[0:1]
	v_sub_u32_e32 v0, 29, v18
	v_and_b32_e32 v14, 7, v14
	v_cndmask_b32_e32 v0, v17, v0, vcc
	v_cndmask_b32_e32 v2, v2, v14, vcc
	v_lshlrev_b32_e32 v14, 24, v46
	v_bfrev_b32_e32 v15, 60
	v_lshlrev_b32_e32 v2, 20, v2
	v_and_b32_e32 v14, 0x80000000, v14
	v_lshl_add_u32 v0, v0, 23, v15
	v_or3_b32 v2, v14, v0, v2
.LBB6_9908:                             ;   in Loop: Header=BB6_9456 Depth=3
	s_or_b64 exec, exec, s[36:37]
.LBB6_9909:                             ;   in Loop: Header=BB6_9456 Depth=3
	s_or_b64 exec, exec, s[34:35]
.LBB6_9910:                             ;   in Loop: Header=BB6_9456 Depth=3
	s_or_b64 exec, exec, s[28:29]
	v_and_b32_e32 v0, 0xff, v13
	v_cmp_ne_u16_e32 vcc, 0, v0
	s_and_saveexec_b64 s[28:29], vcc
	s_cbranch_execz .LBB6_9916
; %bb.9911:                             ;   in Loop: Header=BB6_9456 Depth=3
	v_cmp_ne_u16_e32 vcc, s80, v0
	v_bfrev_b32_e32 v1, 1
	s_and_saveexec_b64 s[34:35], vcc
	s_cbranch_execz .LBB6_9915
; %bb.9912:                             ;   in Loop: Header=BB6_9456 Depth=3
	v_and_b32_e32 v14, 0x7f, v13
	v_cmp_ne_u32_e32 vcc, s81, v14
	v_mov_b32_e32 v1, 0x7f800001
	s_and_saveexec_b64 s[36:37], vcc
	s_cbranch_execz .LBB6_9914
; %bb.9913:                             ;   in Loop: Header=BB6_9456 Depth=3
	v_and_b32_e32 v15, 7, v0
	v_ffbh_u32_e32 v1, v15
	v_lshrrev_b32_e32 v17, 3, v14
	v_cmp_gt_u32_e32 vcc, 8, v14
	v_min_u32_e32 v14, 32, v1
	v_subrev_u32_e32 v1, 28, v14
	v_lshlrev_b64 v[0:1], v1, v[0:1]
	v_sub_u32_e32 v1, 29, v14
	v_and_b32_e32 v0, 7, v0
	v_cndmask_b32_e32 v1, v17, v1, vcc
	v_cndmask_b32_e32 v0, v15, v0, vcc
	v_lshlrev_b32_e32 v13, 24, v13
	v_bfrev_b32_e32 v14, 60
	v_lshlrev_b32_e32 v0, 20, v0
	v_and_b32_e32 v13, 0x80000000, v13
	v_lshl_add_u32 v1, v1, 23, v14
	v_or3_b32 v1, v13, v1, v0
.LBB6_9914:                             ;   in Loop: Header=BB6_9456 Depth=3
	s_or_b64 exec, exec, s[36:37]
.LBB6_9915:                             ;   in Loop: Header=BB6_9456 Depth=3
	s_or_b64 exec, exec, s[34:35]
.LBB6_9916:                             ;   in Loop: Header=BB6_9456 Depth=3
	s_or_b64 exec, exec, s[28:29]
	v_mul_f32_e32 v0, v2, v1
	v_and_b32_e32 v20, 0x7f800000, v0
	v_cmp_ne_u64_e32 vcc, s[62:63], v[20:21]
                                        ; implicit-def: $vgpr13
	s_and_saveexec_b64 s[28:29], vcc
	s_xor_b64 s[34:35], exec, s[28:29]
	s_cbranch_execz .LBB6_9934
; %bb.9917:                             ;   in Loop: Header=BB6_9456 Depth=3
	v_and_b32_e32 v20, 0x7fffffff, v0
	v_cmp_gt_u64_e32 vcc, s[78:79], v[20:21]
	v_and_b32_sdwa v14, v0, s80 dst_sel:DWORD dst_unused:UNUSED_PAD src0_sel:BYTE_3 src1_sel:DWORD
                                        ; implicit-def: $vgpr13
	s_and_saveexec_b64 s[28:29], vcc
	s_xor_b64 s[36:37], exec, s[28:29]
	s_cbranch_execz .LBB6_9931
; %bb.9918:                             ;   in Loop: Header=BB6_9456 Depth=3
	v_cmp_ne_u32_e32 vcc, 0, v0
	v_mov_b32_e32 v13, 0
	s_and_saveexec_b64 s[38:39], vcc
	s_cbranch_execz .LBB6_9930
; %bb.9919:                             ;   in Loop: Header=BB6_9456 Depth=3
	v_bfe_u32 v13, v0, 23, 8
	v_and_b32_e32 v1, 0x7fffff, v0
	v_cmp_gt_u32_e64 s[28:29], s47, v13
	v_sub_u32_e32 v0, 0x79, v13
	v_cmp_eq_u32_e32 vcc, 0, v13
	v_cndmask_b32_e64 v0, 0, v0, s[28:29]
	v_mov_b32_e32 v15, 0x78
	v_cndmask_b32_e32 v15, v0, v15, vcc
	v_or_b32_e32 v2, 0x800000, v1
	v_add_u32_e32 v0, 20, v15
	v_cndmask_b32_e32 v20, v2, v1, vcc
	v_lshlrev_b64 v[0:1], v0, -1
	v_add_u32_e32 v2, 19, v15
	v_lshlrev_b64 v[17:18], v2, 1
	v_bfi_b32 v1, v1, 0, 0
	v_bfi_b32 v0, v0, 0, v20
	v_cmp_eq_u64_e64 s[28:29], v[0:1], v[17:18]
	v_lshrrev_b64 v[0:1], v15, v[20:21]
	v_mov_b32_e32 v2, v1
	v_mov_b32_e32 v1, v0
	s_and_saveexec_b64 s[48:49], s[28:29]
; %bb.9920:                             ;   in Loop: Header=BB6_9456 Depth=3
	v_bfe_u32 v1, v0, 20, 1
	v_add_co_u32_e64 v1, s[28:29], v0, v1
	v_add_co_u32_e64 v1, s[28:29], -1, v1
; %bb.9921:                             ;   in Loop: Header=BB6_9456 Depth=3
	s_or_b64 exec, exec, s[48:49]
	v_add_u32_e32 v2, 0xffffff81, v13
	v_mov_b32_e32 v13, 0xffffff82
	v_cndmask_b32_e32 v2, v2, v13, vcc
	v_lshrrev_b32_e32 v13, 23, v0
	v_add3_u32 v15, v15, v2, v13
	v_add_u32_e32 v13, 6, v15
	v_and_b32_e32 v1, 0xfffff, v1
	v_add_u32_e32 v20, v1, v0
	v_cmp_ne_u32_e32 vcc, 0, v13
                                        ; implicit-def: $vgpr0_vgpr1
                                        ; implicit-def: $vgpr2
	s_and_saveexec_b64 s[28:29], vcc
	s_xor_b64 s[28:29], exec, s[28:29]
; %bb.9922:                             ;   in Loop: Header=BB6_9456 Depth=3
	v_cmp_lt_u64_e32 vcc, s[88:89], v[20:21]
	v_add_u32_e32 v0, 7, v15
	v_cndmask_b32_e32 v2, v13, v0, vcc
	v_cndmask_b32_e64 v0, 0, 1, vcc
	v_lshrrev_b64 v[0:1], v0, v[20:21]
; %bb.9923:                             ;   in Loop: Header=BB6_9456 Depth=3
	s_andn2_saveexec_b64 s[28:29], s[28:29]
; %bb.9924:                             ;   in Loop: Header=BB6_9456 Depth=3
	v_mov_b32_e32 v0, v20
	v_bfe_u32 v2, v20, 23, 1
	v_mov_b32_e32 v1, v21
; %bb.9925:                             ;   in Loop: Header=BB6_9456 Depth=3
	s_or_b64 exec, exec, s[28:29]
	v_lshrrev_b64 v[0:1], 20, v[0:1]
	v_cmp_gt_i32_e32 vcc, 16, v2
	v_cndmask_b32_e32 v1, 0, v1, vcc
	v_cndmask_b32_e32 v0, 7, v0, vcc
	v_cmp_ne_u64_e32 vcc, 0, v[0:1]
	v_cmp_ne_u32_e64 s[28:29], 0, v2
	s_or_b64 s[28:29], s[28:29], vcc
                                        ; implicit-def: $vgpr13
	s_and_saveexec_b64 vcc, s[28:29]
	s_xor_b64 s[28:29], exec, vcc
; %bb.9926:                             ;   in Loop: Header=BB6_9456 Depth=3
	v_min_i32_e32 v1, 15, v2
	v_lshl_or_b32 v1, v1, 3, v14
	v_and_or_b32 v13, v0, 7, v1
                                        ; implicit-def: $vgpr14
; %bb.9927:                             ;   in Loop: Header=BB6_9456 Depth=3
	s_andn2_saveexec_b64 s[28:29], s[28:29]
; %bb.9928:                             ;   in Loop: Header=BB6_9456 Depth=3
	v_mov_b32_e32 v13, v14
; %bb.9929:                             ;   in Loop: Header=BB6_9456 Depth=3
	s_or_b64 exec, exec, s[28:29]
.LBB6_9930:                             ;   in Loop: Header=BB6_9456 Depth=3
	s_or_b64 exec, exec, s[38:39]
                                        ; implicit-def: $vgpr14
.LBB6_9931:                             ;   in Loop: Header=BB6_9456 Depth=3
	s_andn2_saveexec_b64 s[28:29], s[36:37]
; %bb.9932:                             ;   in Loop: Header=BB6_9456 Depth=3
	v_or_b32_e32 v13, 0x7e, v14
; %bb.9933:                             ;   in Loop: Header=BB6_9456 Depth=3
	s_or_b64 exec, exec, s[28:29]
                                        ; implicit-def: $vgpr0
.LBB6_9934:                             ;   in Loop: Header=BB6_9456 Depth=3
	s_andn2_saveexec_b64 s[28:29], s[34:35]
; %bb.9935:                             ;   in Loop: Header=BB6_9456 Depth=3
	v_or_b32_sdwa v13, v0, s81 dst_sel:DWORD dst_unused:UNUSED_PAD src0_sel:BYTE_3 src1_sel:DWORD
; %bb.9936:                             ;   in Loop: Header=BB6_9456 Depth=3
	s_or_b64 exec, exec, s[28:29]
	v_and_b32_e32 v0, 0xff, v16
	v_cmp_ne_u16_e32 vcc, 0, v0
	v_mov_b32_e32 v1, 0
	v_mov_b32_e32 v2, 0
	s_and_saveexec_b64 s[28:29], vcc
	s_cbranch_execz .LBB6_9942
; %bb.9937:                             ;   in Loop: Header=BB6_9456 Depth=3
	v_cmp_ne_u16_e32 vcc, s80, v0
	v_bfrev_b32_e32 v2, 1
	s_and_saveexec_b64 s[34:35], vcc
	s_cbranch_execz .LBB6_9941
; %bb.9938:                             ;   in Loop: Header=BB6_9456 Depth=3
	v_and_b32_e32 v14, 0x7f, v16
	v_cmp_ne_u32_e32 vcc, s81, v14
	v_mov_b32_e32 v2, 0x7f800001
	s_and_saveexec_b64 s[36:37], vcc
	s_cbranch_execz .LBB6_9940
; %bb.9939:                             ;   in Loop: Header=BB6_9456 Depth=3
	v_and_b32_e32 v2, 7, v0
	v_lshrrev_b32_e32 v17, 3, v14
	v_cmp_gt_u32_e32 vcc, 8, v14
	v_ffbh_u32_e32 v14, v2
	v_min_u32_e32 v18, 32, v14
	v_subrev_u32_e32 v14, 28, v18
	v_lshlrev_b64 v[14:15], v14, v[0:1]
	v_sub_u32_e32 v0, 29, v18
	v_and_b32_e32 v14, 7, v14
	v_cndmask_b32_e32 v0, v17, v0, vcc
	v_cndmask_b32_e32 v2, v2, v14, vcc
	v_lshlrev_b32_e32 v14, 24, v16
	v_bfrev_b32_e32 v15, 60
	v_lshlrev_b32_e32 v2, 20, v2
	v_and_b32_e32 v14, 0x80000000, v14
	v_lshl_add_u32 v0, v0, 23, v15
	v_or3_b32 v2, v14, v0, v2
.LBB6_9940:                             ;   in Loop: Header=BB6_9456 Depth=3
	s_or_b64 exec, exec, s[36:37]
.LBB6_9941:                             ;   in Loop: Header=BB6_9456 Depth=3
	s_or_b64 exec, exec, s[34:35]
.LBB6_9942:                             ;   in Loop: Header=BB6_9456 Depth=3
	s_or_b64 exec, exec, s[28:29]
	v_and_b32_e32 v0, 0xff, v30
	v_cmp_ne_u16_e32 vcc, 0, v0
	s_and_saveexec_b64 s[28:29], vcc
	s_cbranch_execz .LBB6_9948
; %bb.9943:                             ;   in Loop: Header=BB6_9456 Depth=3
	v_cmp_ne_u16_e32 vcc, s80, v0
	v_bfrev_b32_e32 v1, 1
	s_and_saveexec_b64 s[34:35], vcc
	s_cbranch_execz .LBB6_9947
; %bb.9944:                             ;   in Loop: Header=BB6_9456 Depth=3
	v_and_b32_e32 v14, 0x7f, v30
	v_cmp_ne_u32_e32 vcc, s81, v14
	v_mov_b32_e32 v1, 0x7f800001
	s_and_saveexec_b64 s[36:37], vcc
	s_cbranch_execz .LBB6_9946
; %bb.9945:                             ;   in Loop: Header=BB6_9456 Depth=3
	v_and_b32_e32 v15, 7, v0
	v_ffbh_u32_e32 v1, v15
	v_lshrrev_b32_e32 v16, 3, v14
	v_cmp_gt_u32_e32 vcc, 8, v14
	v_min_u32_e32 v14, 32, v1
	v_subrev_u32_e32 v1, 28, v14
	v_lshlrev_b64 v[0:1], v1, v[0:1]
	v_sub_u32_e32 v1, 29, v14
	v_and_b32_e32 v0, 7, v0
	v_cndmask_b32_e32 v1, v16, v1, vcc
	v_cndmask_b32_e32 v0, v15, v0, vcc
	v_lshlrev_b32_e32 v14, 24, v30
	v_bfrev_b32_e32 v15, 60
	v_lshlrev_b32_e32 v0, 20, v0
	v_and_b32_e32 v14, 0x80000000, v14
	v_lshl_add_u32 v1, v1, 23, v15
	v_or3_b32 v1, v14, v1, v0
.LBB6_9946:                             ;   in Loop: Header=BB6_9456 Depth=3
	s_or_b64 exec, exec, s[36:37]
.LBB6_9947:                             ;   in Loop: Header=BB6_9456 Depth=3
	s_or_b64 exec, exec, s[34:35]
.LBB6_9948:                             ;   in Loop: Header=BB6_9456 Depth=3
	s_or_b64 exec, exec, s[28:29]
	v_mul_f32_e32 v0, v2, v1
	v_and_b32_e32 v20, 0x7f800000, v0
	v_cmp_ne_u64_e32 vcc, s[62:63], v[20:21]
                                        ; implicit-def: $vgpr30
	s_and_saveexec_b64 s[28:29], vcc
	s_xor_b64 s[34:35], exec, s[28:29]
	s_cbranch_execz .LBB6_9966
; %bb.9949:                             ;   in Loop: Header=BB6_9456 Depth=3
	v_and_b32_e32 v20, 0x7fffffff, v0
	v_cmp_gt_u64_e32 vcc, s[78:79], v[20:21]
	v_and_b32_sdwa v14, v0, s80 dst_sel:DWORD dst_unused:UNUSED_PAD src0_sel:BYTE_3 src1_sel:DWORD
                                        ; implicit-def: $vgpr30
	s_and_saveexec_b64 s[28:29], vcc
	s_xor_b64 s[36:37], exec, s[28:29]
	s_cbranch_execz .LBB6_9963
; %bb.9950:                             ;   in Loop: Header=BB6_9456 Depth=3
	v_cmp_ne_u32_e32 vcc, 0, v0
	v_mov_b32_e32 v30, 0
	s_and_saveexec_b64 s[38:39], vcc
	s_cbranch_execz .LBB6_9962
; %bb.9951:                             ;   in Loop: Header=BB6_9456 Depth=3
	v_bfe_u32 v15, v0, 23, 8
	v_and_b32_e32 v1, 0x7fffff, v0
	v_cmp_gt_u32_e64 s[28:29], s47, v15
	v_sub_u32_e32 v0, 0x79, v15
	v_cmp_eq_u32_e32 vcc, 0, v15
	v_cndmask_b32_e64 v0, 0, v0, s[28:29]
	v_mov_b32_e32 v16, 0x78
	v_cndmask_b32_e32 v16, v0, v16, vcc
	v_or_b32_e32 v2, 0x800000, v1
	v_add_u32_e32 v0, 20, v16
	v_cndmask_b32_e32 v20, v2, v1, vcc
	v_lshlrev_b64 v[0:1], v0, -1
	v_add_u32_e32 v2, 19, v16
	v_lshlrev_b64 v[17:18], v2, 1
	v_bfi_b32 v1, v1, 0, 0
	v_bfi_b32 v0, v0, 0, v20
	v_cmp_eq_u64_e64 s[28:29], v[0:1], v[17:18]
	v_lshrrev_b64 v[0:1], v16, v[20:21]
	v_mov_b32_e32 v2, v1
	v_mov_b32_e32 v1, v0
	s_and_saveexec_b64 s[48:49], s[28:29]
; %bb.9952:                             ;   in Loop: Header=BB6_9456 Depth=3
	v_bfe_u32 v1, v0, 20, 1
	v_add_co_u32_e64 v1, s[28:29], v0, v1
	v_add_co_u32_e64 v1, s[28:29], -1, v1
; %bb.9953:                             ;   in Loop: Header=BB6_9456 Depth=3
	s_or_b64 exec, exec, s[48:49]
	v_add_u32_e32 v2, 0xffffff81, v15
	v_mov_b32_e32 v15, 0xffffff82
	v_cndmask_b32_e32 v2, v2, v15, vcc
	v_lshrrev_b32_e32 v15, 23, v0
	v_add3_u32 v16, v16, v2, v15
	v_add_u32_e32 v15, 6, v16
	v_and_b32_e32 v1, 0xfffff, v1
	v_add_u32_e32 v20, v1, v0
	v_cmp_ne_u32_e32 vcc, 0, v15
                                        ; implicit-def: $vgpr0_vgpr1
                                        ; implicit-def: $vgpr2
	s_and_saveexec_b64 s[28:29], vcc
	s_xor_b64 s[28:29], exec, s[28:29]
; %bb.9954:                             ;   in Loop: Header=BB6_9456 Depth=3
	v_cmp_lt_u64_e32 vcc, s[88:89], v[20:21]
	v_add_u32_e32 v0, 7, v16
	v_cndmask_b32_e32 v2, v15, v0, vcc
	v_cndmask_b32_e64 v0, 0, 1, vcc
	v_lshrrev_b64 v[0:1], v0, v[20:21]
; %bb.9955:                             ;   in Loop: Header=BB6_9456 Depth=3
	s_andn2_saveexec_b64 s[28:29], s[28:29]
; %bb.9956:                             ;   in Loop: Header=BB6_9456 Depth=3
	v_mov_b32_e32 v0, v20
	v_bfe_u32 v2, v20, 23, 1
	v_mov_b32_e32 v1, v21
; %bb.9957:                             ;   in Loop: Header=BB6_9456 Depth=3
	s_or_b64 exec, exec, s[28:29]
	v_lshrrev_b64 v[0:1], 20, v[0:1]
	v_cmp_gt_i32_e32 vcc, 16, v2
	v_cndmask_b32_e32 v1, 0, v1, vcc
	v_cndmask_b32_e32 v0, 7, v0, vcc
	v_cmp_ne_u64_e32 vcc, 0, v[0:1]
	v_cmp_ne_u32_e64 s[28:29], 0, v2
	s_or_b64 s[28:29], s[28:29], vcc
                                        ; implicit-def: $vgpr30
	s_and_saveexec_b64 vcc, s[28:29]
	s_xor_b64 s[28:29], exec, vcc
; %bb.9958:                             ;   in Loop: Header=BB6_9456 Depth=3
	v_min_i32_e32 v1, 15, v2
	v_lshl_or_b32 v1, v1, 3, v14
	v_and_or_b32 v30, v0, 7, v1
                                        ; implicit-def: $vgpr14
; %bb.9959:                             ;   in Loop: Header=BB6_9456 Depth=3
	s_andn2_saveexec_b64 s[28:29], s[28:29]
; %bb.9960:                             ;   in Loop: Header=BB6_9456 Depth=3
	v_mov_b32_e32 v30, v14
; %bb.9961:                             ;   in Loop: Header=BB6_9456 Depth=3
	s_or_b64 exec, exec, s[28:29]
.LBB6_9962:                             ;   in Loop: Header=BB6_9456 Depth=3
	s_or_b64 exec, exec, s[38:39]
                                        ; implicit-def: $vgpr14
.LBB6_9963:                             ;   in Loop: Header=BB6_9456 Depth=3
	s_andn2_saveexec_b64 s[28:29], s[36:37]
; %bb.9964:                             ;   in Loop: Header=BB6_9456 Depth=3
	v_or_b32_e32 v30, 0x7e, v14
; %bb.9965:                             ;   in Loop: Header=BB6_9456 Depth=3
	s_or_b64 exec, exec, s[28:29]
                                        ; implicit-def: $vgpr0
.LBB6_9966:                             ;   in Loop: Header=BB6_9456 Depth=3
	s_andn2_saveexec_b64 s[28:29], s[34:35]
; %bb.9967:                             ;   in Loop: Header=BB6_9456 Depth=3
	v_or_b32_sdwa v30, v0, s81 dst_sel:DWORD dst_unused:UNUSED_PAD src0_sel:BYTE_3 src1_sel:DWORD
; %bb.9968:                             ;   in Loop: Header=BB6_9456 Depth=3
	s_or_b64 exec, exec, s[28:29]
	v_and_b32_e32 v0, 0xff, v42
	v_cmp_ne_u16_e32 vcc, 0, v0
	v_mov_b32_e32 v1, 0
	v_mov_b32_e32 v2, 0
	s_and_saveexec_b64 s[28:29], vcc
	s_cbranch_execz .LBB6_9974
; %bb.9969:                             ;   in Loop: Header=BB6_9456 Depth=3
	v_cmp_ne_u16_e32 vcc, s80, v0
	v_bfrev_b32_e32 v2, 1
	s_and_saveexec_b64 s[34:35], vcc
	s_cbranch_execz .LBB6_9973
; %bb.9970:                             ;   in Loop: Header=BB6_9456 Depth=3
	v_and_b32_e32 v14, 0x7f, v42
	v_cmp_ne_u32_e32 vcc, s81, v14
	v_mov_b32_e32 v2, 0x7f800001
	s_and_saveexec_b64 s[36:37], vcc
	s_cbranch_execz .LBB6_9972
; %bb.9971:                             ;   in Loop: Header=BB6_9456 Depth=3
	v_and_b32_e32 v2, 7, v0
	v_lshrrev_b32_e32 v16, 3, v14
	v_cmp_gt_u32_e32 vcc, 8, v14
	v_ffbh_u32_e32 v14, v2
	v_min_u32_e32 v17, 32, v14
	v_subrev_u32_e32 v14, 28, v17
	v_lshlrev_b64 v[14:15], v14, v[0:1]
	v_sub_u32_e32 v0, 29, v17
	v_and_b32_e32 v14, 7, v14
	v_cndmask_b32_e32 v0, v16, v0, vcc
	v_cndmask_b32_e32 v2, v2, v14, vcc
	v_lshlrev_b32_e32 v14, 24, v42
	v_bfrev_b32_e32 v15, 60
	v_lshlrev_b32_e32 v2, 20, v2
	v_and_b32_e32 v14, 0x80000000, v14
	v_lshl_add_u32 v0, v0, 23, v15
	v_or3_b32 v2, v14, v0, v2
.LBB6_9972:                             ;   in Loop: Header=BB6_9456 Depth=3
	s_or_b64 exec, exec, s[36:37]
.LBB6_9973:                             ;   in Loop: Header=BB6_9456 Depth=3
	s_or_b64 exec, exec, s[34:35]
.LBB6_9974:                             ;   in Loop: Header=BB6_9456 Depth=3
	s_or_b64 exec, exec, s[28:29]
	v_and_b32_e32 v0, 0xff, v7
	v_cmp_ne_u16_e32 vcc, 0, v0
	s_and_saveexec_b64 s[28:29], vcc
	s_cbranch_execz .LBB6_9980
; %bb.9975:                             ;   in Loop: Header=BB6_9456 Depth=3
	v_cmp_ne_u16_e32 vcc, s80, v0
	v_bfrev_b32_e32 v1, 1
	s_and_saveexec_b64 s[34:35], vcc
	s_cbranch_execz .LBB6_9979
; %bb.9976:                             ;   in Loop: Header=BB6_9456 Depth=3
	v_and_b32_e32 v14, 0x7f, v7
	v_cmp_ne_u32_e32 vcc, s81, v14
	v_mov_b32_e32 v1, 0x7f800001
	s_and_saveexec_b64 s[36:37], vcc
	s_cbranch_execz .LBB6_9978
; %bb.9977:                             ;   in Loop: Header=BB6_9456 Depth=3
	v_and_b32_e32 v15, 7, v0
	v_ffbh_u32_e32 v1, v15
	v_lshrrev_b32_e32 v16, 3, v14
	v_cmp_gt_u32_e32 vcc, 8, v14
	v_min_u32_e32 v14, 32, v1
	v_subrev_u32_e32 v1, 28, v14
	v_lshlrev_b64 v[0:1], v1, v[0:1]
	v_sub_u32_e32 v1, 29, v14
	v_and_b32_e32 v0, 7, v0
	v_cndmask_b32_e32 v1, v16, v1, vcc
	v_cndmask_b32_e32 v0, v15, v0, vcc
	v_lshlrev_b32_e32 v7, 24, v7
	v_bfrev_b32_e32 v14, 60
	v_lshlrev_b32_e32 v0, 20, v0
	v_and_b32_e32 v7, 0x80000000, v7
	v_lshl_add_u32 v1, v1, 23, v14
	v_or3_b32 v1, v7, v1, v0
.LBB6_9978:                             ;   in Loop: Header=BB6_9456 Depth=3
	s_or_b64 exec, exec, s[36:37]
.LBB6_9979:                             ;   in Loop: Header=BB6_9456 Depth=3
	s_or_b64 exec, exec, s[34:35]
.LBB6_9980:                             ;   in Loop: Header=BB6_9456 Depth=3
	s_or_b64 exec, exec, s[28:29]
	v_mul_f32_e32 v0, v2, v1
	v_and_b32_e32 v20, 0x7f800000, v0
	v_cmp_ne_u64_e32 vcc, s[62:63], v[20:21]
                                        ; implicit-def: $vgpr7
	s_and_saveexec_b64 s[28:29], vcc
	s_xor_b64 s[34:35], exec, s[28:29]
	s_cbranch_execz .LBB6_9998
; %bb.9981:                             ;   in Loop: Header=BB6_9456 Depth=3
	v_and_b32_e32 v20, 0x7fffffff, v0
	v_cmp_gt_u64_e32 vcc, s[78:79], v[20:21]
	v_and_b32_sdwa v14, v0, s80 dst_sel:DWORD dst_unused:UNUSED_PAD src0_sel:BYTE_3 src1_sel:DWORD
                                        ; implicit-def: $vgpr7
	s_and_saveexec_b64 s[28:29], vcc
	s_xor_b64 s[36:37], exec, s[28:29]
	s_cbranch_execz .LBB6_9995
; %bb.9982:                             ;   in Loop: Header=BB6_9456 Depth=3
	v_cmp_ne_u32_e32 vcc, 0, v0
	v_mov_b32_e32 v7, 0
	s_and_saveexec_b64 s[38:39], vcc
	s_cbranch_execz .LBB6_9994
; %bb.9983:                             ;   in Loop: Header=BB6_9456 Depth=3
	v_bfe_u32 v7, v0, 23, 8
	v_and_b32_e32 v1, 0x7fffff, v0
	v_cmp_gt_u32_e64 s[28:29], s47, v7
	v_sub_u32_e32 v0, 0x79, v7
	v_cmp_eq_u32_e32 vcc, 0, v7
	v_cndmask_b32_e64 v0, 0, v0, s[28:29]
	v_mov_b32_e32 v15, 0x78
	v_cndmask_b32_e32 v15, v0, v15, vcc
	v_or_b32_e32 v2, 0x800000, v1
	v_add_u32_e32 v0, 20, v15
	v_cndmask_b32_e32 v20, v2, v1, vcc
	v_lshlrev_b64 v[0:1], v0, -1
	v_add_u32_e32 v2, 19, v15
	v_lshlrev_b64 v[16:17], v2, 1
	v_bfi_b32 v1, v1, 0, 0
	v_bfi_b32 v0, v0, 0, v20
	v_cmp_eq_u64_e64 s[28:29], v[0:1], v[16:17]
	v_lshrrev_b64 v[0:1], v15, v[20:21]
	v_mov_b32_e32 v2, v1
	v_mov_b32_e32 v1, v0
	s_and_saveexec_b64 s[48:49], s[28:29]
; %bb.9984:                             ;   in Loop: Header=BB6_9456 Depth=3
	v_bfe_u32 v1, v0, 20, 1
	v_add_co_u32_e64 v1, s[28:29], v0, v1
	v_add_co_u32_e64 v1, s[28:29], -1, v1
; %bb.9985:                             ;   in Loop: Header=BB6_9456 Depth=3
	s_or_b64 exec, exec, s[48:49]
	v_add_u32_e32 v2, 0xffffff81, v7
	v_mov_b32_e32 v7, 0xffffff82
	v_cndmask_b32_e32 v2, v2, v7, vcc
	v_lshrrev_b32_e32 v7, 23, v0
	v_add3_u32 v15, v15, v2, v7
	v_add_u32_e32 v7, 6, v15
	v_and_b32_e32 v1, 0xfffff, v1
	v_add_u32_e32 v20, v1, v0
	v_cmp_ne_u32_e32 vcc, 0, v7
                                        ; implicit-def: $vgpr0_vgpr1
                                        ; implicit-def: $vgpr2
	s_and_saveexec_b64 s[28:29], vcc
	s_xor_b64 s[28:29], exec, s[28:29]
; %bb.9986:                             ;   in Loop: Header=BB6_9456 Depth=3
	v_cmp_lt_u64_e32 vcc, s[88:89], v[20:21]
	v_add_u32_e32 v0, 7, v15
	v_cndmask_b32_e32 v2, v7, v0, vcc
	v_cndmask_b32_e64 v0, 0, 1, vcc
	v_lshrrev_b64 v[0:1], v0, v[20:21]
; %bb.9987:                             ;   in Loop: Header=BB6_9456 Depth=3
	s_andn2_saveexec_b64 s[28:29], s[28:29]
; %bb.9988:                             ;   in Loop: Header=BB6_9456 Depth=3
	v_mov_b32_e32 v0, v20
	v_bfe_u32 v2, v20, 23, 1
	v_mov_b32_e32 v1, v21
; %bb.9989:                             ;   in Loop: Header=BB6_9456 Depth=3
	s_or_b64 exec, exec, s[28:29]
	v_lshrrev_b64 v[0:1], 20, v[0:1]
	v_cmp_gt_i32_e32 vcc, 16, v2
	v_cndmask_b32_e32 v1, 0, v1, vcc
	v_cndmask_b32_e32 v0, 7, v0, vcc
	v_cmp_ne_u64_e32 vcc, 0, v[0:1]
	v_cmp_ne_u32_e64 s[28:29], 0, v2
	s_or_b64 s[28:29], s[28:29], vcc
                                        ; implicit-def: $vgpr7
	s_and_saveexec_b64 vcc, s[28:29]
	s_xor_b64 s[28:29], exec, vcc
; %bb.9990:                             ;   in Loop: Header=BB6_9456 Depth=3
	v_min_i32_e32 v1, 15, v2
	v_lshl_or_b32 v1, v1, 3, v14
	v_and_or_b32 v7, v0, 7, v1
                                        ; implicit-def: $vgpr14
; %bb.9991:                             ;   in Loop: Header=BB6_9456 Depth=3
	s_andn2_saveexec_b64 s[28:29], s[28:29]
; %bb.9992:                             ;   in Loop: Header=BB6_9456 Depth=3
	v_mov_b32_e32 v7, v14
; %bb.9993:                             ;   in Loop: Header=BB6_9456 Depth=3
	s_or_b64 exec, exec, s[28:29]
.LBB6_9994:                             ;   in Loop: Header=BB6_9456 Depth=3
	s_or_b64 exec, exec, s[38:39]
                                        ; implicit-def: $vgpr14
.LBB6_9995:                             ;   in Loop: Header=BB6_9456 Depth=3
	s_andn2_saveexec_b64 s[28:29], s[36:37]
; %bb.9996:                             ;   in Loop: Header=BB6_9456 Depth=3
	v_or_b32_e32 v7, 0x7e, v14
; %bb.9997:                             ;   in Loop: Header=BB6_9456 Depth=3
	s_or_b64 exec, exec, s[28:29]
                                        ; implicit-def: $vgpr0
.LBB6_9998:                             ;   in Loop: Header=BB6_9456 Depth=3
	s_andn2_saveexec_b64 s[28:29], s[34:35]
; %bb.9999:                             ;   in Loop: Header=BB6_9456 Depth=3
	v_or_b32_sdwa v7, v0, s81 dst_sel:DWORD dst_unused:UNUSED_PAD src0_sel:BYTE_3 src1_sel:DWORD
; %bb.10000:                            ;   in Loop: Header=BB6_9456 Depth=3
	s_or_b64 exec, exec, s[28:29]
	v_and_b32_e32 v0, 0xff, v12
	v_cmp_ne_u16_e32 vcc, 0, v0
	v_mov_b32_e32 v1, 0
	v_mov_b32_e32 v2, 0
	s_and_saveexec_b64 s[28:29], vcc
	s_cbranch_execz .LBB6_10006
; %bb.10001:                            ;   in Loop: Header=BB6_9456 Depth=3
	v_cmp_ne_u16_e32 vcc, s80, v0
	v_bfrev_b32_e32 v2, 1
	s_and_saveexec_b64 s[34:35], vcc
	s_cbranch_execz .LBB6_10005
; %bb.10002:                            ;   in Loop: Header=BB6_9456 Depth=3
	v_and_b32_e32 v14, 0x7f, v12
	v_cmp_ne_u32_e32 vcc, s81, v14
	v_mov_b32_e32 v2, 0x7f800001
	s_and_saveexec_b64 s[36:37], vcc
	s_cbranch_execz .LBB6_10004
; %bb.10003:                            ;   in Loop: Header=BB6_9456 Depth=3
	v_and_b32_e32 v2, 7, v0
	v_lshrrev_b32_e32 v16, 3, v14
	v_cmp_gt_u32_e32 vcc, 8, v14
	v_ffbh_u32_e32 v14, v2
	v_min_u32_e32 v17, 32, v14
	v_subrev_u32_e32 v14, 28, v17
	v_lshlrev_b64 v[14:15], v14, v[0:1]
	v_sub_u32_e32 v0, 29, v17
	v_and_b32_e32 v14, 7, v14
	v_cndmask_b32_e32 v0, v16, v0, vcc
	v_cndmask_b32_e32 v2, v2, v14, vcc
	v_lshlrev_b32_e32 v12, 24, v12
	v_bfrev_b32_e32 v14, 60
	v_lshlrev_b32_e32 v2, 20, v2
	v_and_b32_e32 v12, 0x80000000, v12
	v_lshl_add_u32 v0, v0, 23, v14
	v_or3_b32 v2, v12, v0, v2
.LBB6_10004:                            ;   in Loop: Header=BB6_9456 Depth=3
	s_or_b64 exec, exec, s[36:37]
.LBB6_10005:                            ;   in Loop: Header=BB6_9456 Depth=3
	s_or_b64 exec, exec, s[34:35]
.LBB6_10006:                            ;   in Loop: Header=BB6_9456 Depth=3
	s_or_b64 exec, exec, s[28:29]
	v_and_b32_e32 v0, 0xff, v6
	v_cmp_ne_u16_e32 vcc, 0, v0
	s_and_saveexec_b64 s[28:29], vcc
	s_cbranch_execz .LBB6_10012
; %bb.10007:                            ;   in Loop: Header=BB6_9456 Depth=3
	v_cmp_ne_u16_e32 vcc, s80, v0
	v_bfrev_b32_e32 v1, 1
	s_and_saveexec_b64 s[34:35], vcc
	s_cbranch_execz .LBB6_10011
; %bb.10008:                            ;   in Loop: Header=BB6_9456 Depth=3
	v_and_b32_e32 v12, 0x7f, v6
	v_cmp_ne_u32_e32 vcc, s81, v12
	v_mov_b32_e32 v1, 0x7f800001
	s_and_saveexec_b64 s[36:37], vcc
	s_cbranch_execz .LBB6_10010
; %bb.10009:                            ;   in Loop: Header=BB6_9456 Depth=3
	v_and_b32_e32 v14, 7, v0
	v_ffbh_u32_e32 v1, v14
	v_lshrrev_b32_e32 v15, 3, v12
	v_cmp_gt_u32_e32 vcc, 8, v12
	v_min_u32_e32 v12, 32, v1
	v_subrev_u32_e32 v1, 28, v12
	v_lshlrev_b64 v[0:1], v1, v[0:1]
	v_sub_u32_e32 v1, 29, v12
	v_and_b32_e32 v0, 7, v0
	v_cndmask_b32_e32 v1, v15, v1, vcc
	v_cndmask_b32_e32 v0, v14, v0, vcc
	v_lshlrev_b32_e32 v6, 24, v6
	v_bfrev_b32_e32 v12, 60
	v_lshlrev_b32_e32 v0, 20, v0
	v_and_b32_e32 v6, 0x80000000, v6
	v_lshl_add_u32 v1, v1, 23, v12
	v_or3_b32 v1, v6, v1, v0
.LBB6_10010:                            ;   in Loop: Header=BB6_9456 Depth=3
	s_or_b64 exec, exec, s[36:37]
.LBB6_10011:                            ;   in Loop: Header=BB6_9456 Depth=3
	s_or_b64 exec, exec, s[34:35]
.LBB6_10012:                            ;   in Loop: Header=BB6_9456 Depth=3
	s_or_b64 exec, exec, s[28:29]
	v_mul_f32_e32 v0, v2, v1
	v_and_b32_e32 v20, 0x7f800000, v0
	v_cmp_ne_u64_e32 vcc, s[62:63], v[20:21]
                                        ; implicit-def: $vgpr6
	s_and_saveexec_b64 s[28:29], vcc
	s_xor_b64 s[34:35], exec, s[28:29]
	s_cbranch_execz .LBB6_10030
; %bb.10013:                            ;   in Loop: Header=BB6_9456 Depth=3
	v_and_b32_e32 v20, 0x7fffffff, v0
	v_cmp_gt_u64_e32 vcc, s[78:79], v[20:21]
	v_and_b32_sdwa v12, v0, s80 dst_sel:DWORD dst_unused:UNUSED_PAD src0_sel:BYTE_3 src1_sel:DWORD
                                        ; implicit-def: $vgpr6
	s_and_saveexec_b64 s[28:29], vcc
	s_xor_b64 s[36:37], exec, s[28:29]
	s_cbranch_execz .LBB6_10027
; %bb.10014:                            ;   in Loop: Header=BB6_9456 Depth=3
	v_cmp_ne_u32_e32 vcc, 0, v0
	v_mov_b32_e32 v6, 0
	s_and_saveexec_b64 s[38:39], vcc
	s_cbranch_execz .LBB6_10026
; %bb.10015:                            ;   in Loop: Header=BB6_9456 Depth=3
	v_bfe_u32 v6, v0, 23, 8
	v_and_b32_e32 v1, 0x7fffff, v0
	v_cmp_gt_u32_e64 s[28:29], s47, v6
	v_sub_u32_e32 v0, 0x79, v6
	v_cmp_eq_u32_e32 vcc, 0, v6
	v_cndmask_b32_e64 v0, 0, v0, s[28:29]
	v_mov_b32_e32 v14, 0x78
	v_cndmask_b32_e32 v14, v0, v14, vcc
	v_or_b32_e32 v2, 0x800000, v1
	v_add_u32_e32 v0, 20, v14
	v_cndmask_b32_e32 v20, v2, v1, vcc
	v_lshlrev_b64 v[0:1], v0, -1
	v_add_u32_e32 v2, 19, v14
	v_lshlrev_b64 v[15:16], v2, 1
	v_bfi_b32 v1, v1, 0, 0
	v_bfi_b32 v0, v0, 0, v20
	v_cmp_eq_u64_e64 s[28:29], v[0:1], v[15:16]
	v_lshrrev_b64 v[0:1], v14, v[20:21]
	v_mov_b32_e32 v2, v1
	v_mov_b32_e32 v1, v0
	s_and_saveexec_b64 s[48:49], s[28:29]
; %bb.10016:                            ;   in Loop: Header=BB6_9456 Depth=3
	v_bfe_u32 v1, v0, 20, 1
	v_add_co_u32_e64 v1, s[28:29], v0, v1
	v_add_co_u32_e64 v1, s[28:29], -1, v1
; %bb.10017:                            ;   in Loop: Header=BB6_9456 Depth=3
	s_or_b64 exec, exec, s[48:49]
	v_add_u32_e32 v2, 0xffffff81, v6
	v_mov_b32_e32 v6, 0xffffff82
	v_cndmask_b32_e32 v2, v2, v6, vcc
	v_lshrrev_b32_e32 v6, 23, v0
	v_add3_u32 v14, v14, v2, v6
	v_add_u32_e32 v6, 6, v14
	v_and_b32_e32 v1, 0xfffff, v1
	v_add_u32_e32 v20, v1, v0
	v_cmp_ne_u32_e32 vcc, 0, v6
                                        ; implicit-def: $vgpr0_vgpr1
                                        ; implicit-def: $vgpr2
	s_and_saveexec_b64 s[28:29], vcc
	s_xor_b64 s[28:29], exec, s[28:29]
; %bb.10018:                            ;   in Loop: Header=BB6_9456 Depth=3
	v_cmp_lt_u64_e32 vcc, s[88:89], v[20:21]
	v_add_u32_e32 v0, 7, v14
	v_cndmask_b32_e32 v2, v6, v0, vcc
	v_cndmask_b32_e64 v0, 0, 1, vcc
	v_lshrrev_b64 v[0:1], v0, v[20:21]
; %bb.10019:                            ;   in Loop: Header=BB6_9456 Depth=3
	s_andn2_saveexec_b64 s[28:29], s[28:29]
; %bb.10020:                            ;   in Loop: Header=BB6_9456 Depth=3
	v_mov_b32_e32 v0, v20
	v_bfe_u32 v2, v20, 23, 1
	v_mov_b32_e32 v1, v21
; %bb.10021:                            ;   in Loop: Header=BB6_9456 Depth=3
	s_or_b64 exec, exec, s[28:29]
	v_lshrrev_b64 v[0:1], 20, v[0:1]
	v_cmp_gt_i32_e32 vcc, 16, v2
	v_cndmask_b32_e32 v1, 0, v1, vcc
	v_cndmask_b32_e32 v0, 7, v0, vcc
	v_cmp_ne_u64_e32 vcc, 0, v[0:1]
	v_cmp_ne_u32_e64 s[28:29], 0, v2
	s_or_b64 s[28:29], s[28:29], vcc
                                        ; implicit-def: $vgpr6
	s_and_saveexec_b64 vcc, s[28:29]
	s_xor_b64 s[28:29], exec, vcc
; %bb.10022:                            ;   in Loop: Header=BB6_9456 Depth=3
	v_min_i32_e32 v1, 15, v2
	v_lshl_or_b32 v1, v1, 3, v12
	v_and_or_b32 v6, v0, 7, v1
                                        ; implicit-def: $vgpr12
; %bb.10023:                            ;   in Loop: Header=BB6_9456 Depth=3
	s_andn2_saveexec_b64 s[28:29], s[28:29]
; %bb.10024:                            ;   in Loop: Header=BB6_9456 Depth=3
	v_mov_b32_e32 v6, v12
; %bb.10025:                            ;   in Loop: Header=BB6_9456 Depth=3
	s_or_b64 exec, exec, s[28:29]
.LBB6_10026:                            ;   in Loop: Header=BB6_9456 Depth=3
	s_or_b64 exec, exec, s[38:39]
                                        ; implicit-def: $vgpr12
.LBB6_10027:                            ;   in Loop: Header=BB6_9456 Depth=3
	s_andn2_saveexec_b64 s[28:29], s[36:37]
; %bb.10028:                            ;   in Loop: Header=BB6_9456 Depth=3
	v_or_b32_e32 v6, 0x7e, v12
; %bb.10029:                            ;   in Loop: Header=BB6_9456 Depth=3
	s_or_b64 exec, exec, s[28:29]
                                        ; implicit-def: $vgpr0
.LBB6_10030:                            ;   in Loop: Header=BB6_9456 Depth=3
	s_andn2_saveexec_b64 s[28:29], s[34:35]
; %bb.10031:                            ;   in Loop: Header=BB6_9456 Depth=3
	v_or_b32_sdwa v6, v0, s81 dst_sel:DWORD dst_unused:UNUSED_PAD src0_sel:BYTE_3 src1_sel:DWORD
; %bb.10032:                            ;   in Loop: Header=BB6_9456 Depth=3
	s_or_b64 exec, exec, s[28:29]
	v_and_b32_e32 v0, 0xff, v61
	v_cmp_ne_u16_e32 vcc, 0, v0
	v_mov_b32_e32 v1, 0
	v_mov_b32_e32 v2, 0
	s_and_saveexec_b64 s[28:29], vcc
	s_cbranch_execz .LBB6_10038
; %bb.10033:                            ;   in Loop: Header=BB6_9456 Depth=3
	v_cmp_ne_u16_e32 vcc, s80, v0
	v_bfrev_b32_e32 v2, 1
	s_and_saveexec_b64 s[34:35], vcc
	s_cbranch_execz .LBB6_10037
; %bb.10034:                            ;   in Loop: Header=BB6_9456 Depth=3
	v_and_b32_e32 v12, 0x7f, v61
	v_cmp_ne_u32_e32 vcc, s81, v12
	v_mov_b32_e32 v2, 0x7f800001
	s_and_saveexec_b64 s[36:37], vcc
	s_cbranch_execz .LBB6_10036
; %bb.10035:                            ;   in Loop: Header=BB6_9456 Depth=3
	v_and_b32_e32 v2, 7, v0
	v_lshrrev_b32_e32 v16, 3, v12
	v_cmp_gt_u32_e32 vcc, 8, v12
	v_ffbh_u32_e32 v12, v2
	v_min_u32_e32 v12, 32, v12
	v_subrev_u32_e32 v14, 28, v12
	v_lshlrev_b64 v[14:15], v14, v[0:1]
	v_sub_u32_e32 v0, 29, v12
	v_and_b32_e32 v12, 7, v14
	v_cndmask_b32_e32 v0, v16, v0, vcc
	v_cndmask_b32_e32 v2, v2, v12, vcc
	v_lshlrev_b32_e32 v12, 24, v61
	v_bfrev_b32_e32 v14, 60
	v_lshlrev_b32_e32 v2, 20, v2
	v_and_b32_e32 v12, 0x80000000, v12
	v_lshl_add_u32 v0, v0, 23, v14
	v_or3_b32 v2, v12, v0, v2
.LBB6_10036:                            ;   in Loop: Header=BB6_9456 Depth=3
	s_or_b64 exec, exec, s[36:37]
.LBB6_10037:                            ;   in Loop: Header=BB6_9456 Depth=3
	s_or_b64 exec, exec, s[34:35]
.LBB6_10038:                            ;   in Loop: Header=BB6_9456 Depth=3
	s_or_b64 exec, exec, s[28:29]
	v_and_b32_e32 v0, 0xff, v60
	v_cmp_ne_u16_e32 vcc, 0, v0
	s_and_saveexec_b64 s[28:29], vcc
	s_cbranch_execz .LBB6_10044
; %bb.10039:                            ;   in Loop: Header=BB6_9456 Depth=3
	v_cmp_ne_u16_e32 vcc, s80, v0
	v_bfrev_b32_e32 v1, 1
	s_and_saveexec_b64 s[34:35], vcc
	s_cbranch_execz .LBB6_10043
; %bb.10040:                            ;   in Loop: Header=BB6_9456 Depth=3
	v_and_b32_e32 v12, 0x7f, v60
	v_cmp_ne_u32_e32 vcc, s81, v12
	v_mov_b32_e32 v1, 0x7f800001
	s_and_saveexec_b64 s[36:37], vcc
	s_cbranch_execz .LBB6_10042
; %bb.10041:                            ;   in Loop: Header=BB6_9456 Depth=3
	v_and_b32_e32 v14, 7, v0
	v_ffbh_u32_e32 v1, v14
	v_lshrrev_b32_e32 v15, 3, v12
	v_cmp_gt_u32_e32 vcc, 8, v12
	v_min_u32_e32 v12, 32, v1
	v_subrev_u32_e32 v1, 28, v12
	v_lshlrev_b64 v[0:1], v1, v[0:1]
	v_sub_u32_e32 v1, 29, v12
	v_and_b32_e32 v0, 7, v0
	v_cndmask_b32_e32 v1, v15, v1, vcc
	v_cndmask_b32_e32 v0, v14, v0, vcc
	v_lshlrev_b32_e32 v12, 24, v60
	v_bfrev_b32_e32 v14, 60
	v_lshlrev_b32_e32 v0, 20, v0
	v_and_b32_e32 v12, 0x80000000, v12
	v_lshl_add_u32 v1, v1, 23, v14
	v_or3_b32 v1, v12, v1, v0
.LBB6_10042:                            ;   in Loop: Header=BB6_9456 Depth=3
	s_or_b64 exec, exec, s[36:37]
.LBB6_10043:                            ;   in Loop: Header=BB6_9456 Depth=3
	s_or_b64 exec, exec, s[34:35]
.LBB6_10044:                            ;   in Loop: Header=BB6_9456 Depth=3
	s_or_b64 exec, exec, s[28:29]
	v_mul_f32_e32 v0, v2, v1
	v_and_b32_e32 v20, 0x7f800000, v0
	v_cmp_ne_u64_e32 vcc, s[62:63], v[20:21]
                                        ; implicit-def: $vgpr12
	s_and_saveexec_b64 s[28:29], vcc
	s_xor_b64 s[34:35], exec, s[28:29]
	s_cbranch_execz .LBB6_10062
; %bb.10045:                            ;   in Loop: Header=BB6_9456 Depth=3
	v_and_b32_e32 v20, 0x7fffffff, v0
	v_cmp_gt_u64_e32 vcc, s[78:79], v[20:21]
	v_and_b32_sdwa v14, v0, s80 dst_sel:DWORD dst_unused:UNUSED_PAD src0_sel:BYTE_3 src1_sel:DWORD
                                        ; implicit-def: $vgpr12
	s_and_saveexec_b64 s[28:29], vcc
	s_xor_b64 s[36:37], exec, s[28:29]
	s_cbranch_execz .LBB6_10059
; %bb.10046:                            ;   in Loop: Header=BB6_9456 Depth=3
	v_cmp_ne_u32_e32 vcc, 0, v0
	v_mov_b32_e32 v12, 0
	s_and_saveexec_b64 s[38:39], vcc
	s_cbranch_execz .LBB6_10058
; %bb.10047:                            ;   in Loop: Header=BB6_9456 Depth=3
	v_bfe_u32 v12, v0, 23, 8
	v_and_b32_e32 v1, 0x7fffff, v0
	v_cmp_gt_u32_e64 s[28:29], s47, v12
	v_sub_u32_e32 v0, 0x79, v12
	v_cmp_eq_u32_e32 vcc, 0, v12
	v_cndmask_b32_e64 v0, 0, v0, s[28:29]
	v_mov_b32_e32 v15, 0x78
	v_cndmask_b32_e32 v15, v0, v15, vcc
	v_or_b32_e32 v2, 0x800000, v1
	v_add_u32_e32 v0, 20, v15
	v_cndmask_b32_e32 v20, v2, v1, vcc
	v_lshlrev_b64 v[0:1], v0, -1
	v_add_u32_e32 v2, 19, v15
	v_lshlrev_b64 v[16:17], v2, 1
	v_bfi_b32 v1, v1, 0, 0
	v_bfi_b32 v0, v0, 0, v20
	v_cmp_eq_u64_e64 s[28:29], v[0:1], v[16:17]
	v_lshrrev_b64 v[0:1], v15, v[20:21]
	v_mov_b32_e32 v2, v1
	v_mov_b32_e32 v1, v0
	s_and_saveexec_b64 s[48:49], s[28:29]
; %bb.10048:                            ;   in Loop: Header=BB6_9456 Depth=3
	v_bfe_u32 v1, v0, 20, 1
	v_add_co_u32_e64 v1, s[28:29], v0, v1
	v_add_co_u32_e64 v1, s[28:29], -1, v1
; %bb.10049:                            ;   in Loop: Header=BB6_9456 Depth=3
	s_or_b64 exec, exec, s[48:49]
	v_add_u32_e32 v2, 0xffffff81, v12
	v_mov_b32_e32 v12, 0xffffff82
	v_cndmask_b32_e32 v2, v2, v12, vcc
	v_lshrrev_b32_e32 v12, 23, v0
	v_add3_u32 v15, v15, v2, v12
	v_add_u32_e32 v12, 6, v15
	v_and_b32_e32 v1, 0xfffff, v1
	v_add_u32_e32 v20, v1, v0
	v_cmp_ne_u32_e32 vcc, 0, v12
                                        ; implicit-def: $vgpr0_vgpr1
                                        ; implicit-def: $vgpr2
	s_and_saveexec_b64 s[28:29], vcc
	s_xor_b64 s[28:29], exec, s[28:29]
; %bb.10050:                            ;   in Loop: Header=BB6_9456 Depth=3
	v_cmp_lt_u64_e32 vcc, s[88:89], v[20:21]
	v_add_u32_e32 v0, 7, v15
	v_cndmask_b32_e32 v2, v12, v0, vcc
	v_cndmask_b32_e64 v0, 0, 1, vcc
	v_lshrrev_b64 v[0:1], v0, v[20:21]
; %bb.10051:                            ;   in Loop: Header=BB6_9456 Depth=3
	s_andn2_saveexec_b64 s[28:29], s[28:29]
; %bb.10052:                            ;   in Loop: Header=BB6_9456 Depth=3
	v_mov_b32_e32 v0, v20
	v_bfe_u32 v2, v20, 23, 1
	v_mov_b32_e32 v1, v21
; %bb.10053:                            ;   in Loop: Header=BB6_9456 Depth=3
	s_or_b64 exec, exec, s[28:29]
	v_lshrrev_b64 v[0:1], 20, v[0:1]
	v_cmp_gt_i32_e32 vcc, 16, v2
	v_cndmask_b32_e32 v1, 0, v1, vcc
	v_cndmask_b32_e32 v0, 7, v0, vcc
	v_cmp_ne_u64_e32 vcc, 0, v[0:1]
	v_cmp_ne_u32_e64 s[28:29], 0, v2
	s_or_b64 s[28:29], s[28:29], vcc
                                        ; implicit-def: $vgpr12
	s_and_saveexec_b64 vcc, s[28:29]
	s_xor_b64 s[28:29], exec, vcc
; %bb.10054:                            ;   in Loop: Header=BB6_9456 Depth=3
	v_min_i32_e32 v1, 15, v2
	v_lshl_or_b32 v1, v1, 3, v14
	v_and_or_b32 v12, v0, 7, v1
                                        ; implicit-def: $vgpr14
; %bb.10055:                            ;   in Loop: Header=BB6_9456 Depth=3
	s_andn2_saveexec_b64 s[28:29], s[28:29]
; %bb.10056:                            ;   in Loop: Header=BB6_9456 Depth=3
	v_mov_b32_e32 v12, v14
; %bb.10057:                            ;   in Loop: Header=BB6_9456 Depth=3
	s_or_b64 exec, exec, s[28:29]
.LBB6_10058:                            ;   in Loop: Header=BB6_9456 Depth=3
	s_or_b64 exec, exec, s[38:39]
                                        ; implicit-def: $vgpr14
.LBB6_10059:                            ;   in Loop: Header=BB6_9456 Depth=3
	s_andn2_saveexec_b64 s[28:29], s[36:37]
; %bb.10060:                            ;   in Loop: Header=BB6_9456 Depth=3
	v_or_b32_e32 v12, 0x7e, v14
; %bb.10061:                            ;   in Loop: Header=BB6_9456 Depth=3
	s_or_b64 exec, exec, s[28:29]
                                        ; implicit-def: $vgpr0
.LBB6_10062:                            ;   in Loop: Header=BB6_9456 Depth=3
	s_andn2_saveexec_b64 s[28:29], s[34:35]
; %bb.10063:                            ;   in Loop: Header=BB6_9456 Depth=3
	v_or_b32_sdwa v12, v0, s81 dst_sel:DWORD dst_unused:UNUSED_PAD src0_sel:BYTE_3 src1_sel:DWORD
; %bb.10064:                            ;   in Loop: Header=BB6_9456 Depth=3
	s_or_b64 exec, exec, s[28:29]
	v_and_b32_e32 v0, 0xff, v58
	v_cmp_ne_u16_e32 vcc, 0, v0
	v_mov_b32_e32 v1, 0
	v_mov_b32_e32 v2, 0
	s_and_saveexec_b64 s[28:29], vcc
	s_cbranch_execz .LBB6_10070
; %bb.10065:                            ;   in Loop: Header=BB6_9456 Depth=3
	v_cmp_ne_u16_e32 vcc, s80, v0
	v_bfrev_b32_e32 v2, 1
	s_and_saveexec_b64 s[34:35], vcc
	s_cbranch_execz .LBB6_10069
; %bb.10066:                            ;   in Loop: Header=BB6_9456 Depth=3
	v_and_b32_e32 v14, 0x7f, v58
	v_cmp_ne_u32_e32 vcc, s81, v14
	v_mov_b32_e32 v2, 0x7f800001
	s_and_saveexec_b64 s[36:37], vcc
	s_cbranch_execz .LBB6_10068
; %bb.10067:                            ;   in Loop: Header=BB6_9456 Depth=3
	v_and_b32_e32 v2, 7, v0
	v_lshrrev_b32_e32 v16, 3, v14
	v_cmp_gt_u32_e32 vcc, 8, v14
	v_ffbh_u32_e32 v14, v2
	v_min_u32_e32 v17, 32, v14
	v_subrev_u32_e32 v14, 28, v17
	v_lshlrev_b64 v[14:15], v14, v[0:1]
	v_sub_u32_e32 v0, 29, v17
	v_and_b32_e32 v14, 7, v14
	v_cndmask_b32_e32 v0, v16, v0, vcc
	v_cndmask_b32_e32 v2, v2, v14, vcc
	v_lshlrev_b32_e32 v14, 24, v58
	v_bfrev_b32_e32 v15, 60
	v_lshlrev_b32_e32 v2, 20, v2
	v_and_b32_e32 v14, 0x80000000, v14
	v_lshl_add_u32 v0, v0, 23, v15
	v_or3_b32 v2, v14, v0, v2
.LBB6_10068:                            ;   in Loop: Header=BB6_9456 Depth=3
	s_or_b64 exec, exec, s[36:37]
.LBB6_10069:                            ;   in Loop: Header=BB6_9456 Depth=3
	s_or_b64 exec, exec, s[34:35]
.LBB6_10070:                            ;   in Loop: Header=BB6_9456 Depth=3
	s_or_b64 exec, exec, s[28:29]
	v_and_b32_e32 v0, 0xff, v57
	v_cmp_ne_u16_e32 vcc, 0, v0
	s_and_saveexec_b64 s[28:29], vcc
	s_cbranch_execz .LBB6_10076
; %bb.10071:                            ;   in Loop: Header=BB6_9456 Depth=3
	v_cmp_ne_u16_e32 vcc, s80, v0
	v_bfrev_b32_e32 v1, 1
	s_and_saveexec_b64 s[34:35], vcc
	s_cbranch_execz .LBB6_10075
; %bb.10072:                            ;   in Loop: Header=BB6_9456 Depth=3
	v_and_b32_e32 v14, 0x7f, v57
	v_cmp_ne_u32_e32 vcc, s81, v14
	v_mov_b32_e32 v1, 0x7f800001
	s_and_saveexec_b64 s[36:37], vcc
	s_cbranch_execz .LBB6_10074
; %bb.10073:                            ;   in Loop: Header=BB6_9456 Depth=3
	v_and_b32_e32 v15, 7, v0
	v_ffbh_u32_e32 v1, v15
	v_lshrrev_b32_e32 v16, 3, v14
	v_cmp_gt_u32_e32 vcc, 8, v14
	v_min_u32_e32 v14, 32, v1
	v_subrev_u32_e32 v1, 28, v14
	v_lshlrev_b64 v[0:1], v1, v[0:1]
	v_sub_u32_e32 v1, 29, v14
	v_and_b32_e32 v0, 7, v0
	v_cndmask_b32_e32 v1, v16, v1, vcc
	v_cndmask_b32_e32 v0, v15, v0, vcc
	v_lshlrev_b32_e32 v14, 24, v57
	v_bfrev_b32_e32 v15, 60
	v_lshlrev_b32_e32 v0, 20, v0
	v_and_b32_e32 v14, 0x80000000, v14
	v_lshl_add_u32 v1, v1, 23, v15
	v_or3_b32 v1, v14, v1, v0
.LBB6_10074:                            ;   in Loop: Header=BB6_9456 Depth=3
	s_or_b64 exec, exec, s[36:37]
.LBB6_10075:                            ;   in Loop: Header=BB6_9456 Depth=3
	s_or_b64 exec, exec, s[34:35]
.LBB6_10076:                            ;   in Loop: Header=BB6_9456 Depth=3
	s_or_b64 exec, exec, s[28:29]
	v_mul_f32_e32 v0, v2, v1
	v_and_b32_e32 v20, 0x7f800000, v0
	v_cmp_ne_u64_e32 vcc, s[62:63], v[20:21]
                                        ; implicit-def: $vgpr16
	s_and_saveexec_b64 s[28:29], vcc
	s_xor_b64 s[34:35], exec, s[28:29]
	s_cbranch_execz .LBB6_10094
; %bb.10077:                            ;   in Loop: Header=BB6_9456 Depth=3
	v_and_b32_e32 v20, 0x7fffffff, v0
	v_cmp_gt_u64_e32 vcc, s[78:79], v[20:21]
	v_and_b32_sdwa v14, v0, s80 dst_sel:DWORD dst_unused:UNUSED_PAD src0_sel:BYTE_3 src1_sel:DWORD
                                        ; implicit-def: $vgpr16
	s_and_saveexec_b64 s[28:29], vcc
	s_xor_b64 s[36:37], exec, s[28:29]
	s_cbranch_execz .LBB6_10091
; %bb.10078:                            ;   in Loop: Header=BB6_9456 Depth=3
	v_cmp_ne_u32_e32 vcc, 0, v0
	v_mov_b32_e32 v16, 0
	s_and_saveexec_b64 s[38:39], vcc
	s_cbranch_execz .LBB6_10090
; %bb.10079:                            ;   in Loop: Header=BB6_9456 Depth=3
	v_bfe_u32 v15, v0, 23, 8
	v_and_b32_e32 v1, 0x7fffff, v0
	v_cmp_gt_u32_e64 s[28:29], s47, v15
	v_sub_u32_e32 v0, 0x79, v15
	v_cmp_eq_u32_e32 vcc, 0, v15
	v_cndmask_b32_e64 v0, 0, v0, s[28:29]
	v_mov_b32_e32 v16, 0x78
	v_cndmask_b32_e32 v16, v0, v16, vcc
	v_or_b32_e32 v2, 0x800000, v1
	v_add_u32_e32 v0, 20, v16
	v_cndmask_b32_e32 v20, v2, v1, vcc
	v_lshlrev_b64 v[0:1], v0, -1
	v_add_u32_e32 v2, 19, v16
	v_lshlrev_b64 v[17:18], v2, 1
	v_bfi_b32 v1, v1, 0, 0
	v_bfi_b32 v0, v0, 0, v20
	v_cmp_eq_u64_e64 s[28:29], v[0:1], v[17:18]
	v_lshrrev_b64 v[0:1], v16, v[20:21]
	v_mov_b32_e32 v2, v1
	v_mov_b32_e32 v1, v0
	s_and_saveexec_b64 s[48:49], s[28:29]
; %bb.10080:                            ;   in Loop: Header=BB6_9456 Depth=3
	v_bfe_u32 v1, v0, 20, 1
	v_add_co_u32_e64 v1, s[28:29], v0, v1
	v_add_co_u32_e64 v1, s[28:29], -1, v1
; %bb.10081:                            ;   in Loop: Header=BB6_9456 Depth=3
	s_or_b64 exec, exec, s[48:49]
	v_add_u32_e32 v2, 0xffffff81, v15
	v_mov_b32_e32 v15, 0xffffff82
	v_cndmask_b32_e32 v2, v2, v15, vcc
	v_lshrrev_b32_e32 v15, 23, v0
	v_add3_u32 v16, v16, v2, v15
	v_add_u32_e32 v15, 6, v16
	v_and_b32_e32 v1, 0xfffff, v1
	v_add_u32_e32 v20, v1, v0
	v_cmp_ne_u32_e32 vcc, 0, v15
                                        ; implicit-def: $vgpr0_vgpr1
                                        ; implicit-def: $vgpr2
	s_and_saveexec_b64 s[28:29], vcc
	s_xor_b64 s[28:29], exec, s[28:29]
; %bb.10082:                            ;   in Loop: Header=BB6_9456 Depth=3
	v_cmp_lt_u64_e32 vcc, s[88:89], v[20:21]
	v_add_u32_e32 v0, 7, v16
	v_cndmask_b32_e32 v2, v15, v0, vcc
	v_cndmask_b32_e64 v0, 0, 1, vcc
	v_lshrrev_b64 v[0:1], v0, v[20:21]
; %bb.10083:                            ;   in Loop: Header=BB6_9456 Depth=3
	s_andn2_saveexec_b64 s[28:29], s[28:29]
; %bb.10084:                            ;   in Loop: Header=BB6_9456 Depth=3
	v_mov_b32_e32 v0, v20
	v_bfe_u32 v2, v20, 23, 1
	v_mov_b32_e32 v1, v21
; %bb.10085:                            ;   in Loop: Header=BB6_9456 Depth=3
	s_or_b64 exec, exec, s[28:29]
	v_lshrrev_b64 v[0:1], 20, v[0:1]
	v_cmp_gt_i32_e32 vcc, 16, v2
	v_cndmask_b32_e32 v1, 0, v1, vcc
	v_cndmask_b32_e32 v0, 7, v0, vcc
	v_cmp_ne_u64_e32 vcc, 0, v[0:1]
	v_cmp_ne_u32_e64 s[28:29], 0, v2
	s_or_b64 s[28:29], s[28:29], vcc
                                        ; implicit-def: $vgpr16
	s_and_saveexec_b64 vcc, s[28:29]
	s_xor_b64 s[28:29], exec, vcc
; %bb.10086:                            ;   in Loop: Header=BB6_9456 Depth=3
	v_min_i32_e32 v1, 15, v2
	v_lshl_or_b32 v1, v1, 3, v14
	v_and_or_b32 v16, v0, 7, v1
                                        ; implicit-def: $vgpr14
; %bb.10087:                            ;   in Loop: Header=BB6_9456 Depth=3
	s_andn2_saveexec_b64 s[28:29], s[28:29]
; %bb.10088:                            ;   in Loop: Header=BB6_9456 Depth=3
	v_mov_b32_e32 v16, v14
; %bb.10089:                            ;   in Loop: Header=BB6_9456 Depth=3
	s_or_b64 exec, exec, s[28:29]
.LBB6_10090:                            ;   in Loop: Header=BB6_9456 Depth=3
	s_or_b64 exec, exec, s[38:39]
                                        ; implicit-def: $vgpr14
.LBB6_10091:                            ;   in Loop: Header=BB6_9456 Depth=3
	s_andn2_saveexec_b64 s[28:29], s[36:37]
; %bb.10092:                            ;   in Loop: Header=BB6_9456 Depth=3
	v_or_b32_e32 v16, 0x7e, v14
; %bb.10093:                            ;   in Loop: Header=BB6_9456 Depth=3
	s_or_b64 exec, exec, s[28:29]
                                        ; implicit-def: $vgpr0
.LBB6_10094:                            ;   in Loop: Header=BB6_9456 Depth=3
	s_andn2_saveexec_b64 s[28:29], s[34:35]
; %bb.10095:                            ;   in Loop: Header=BB6_9456 Depth=3
	v_or_b32_sdwa v16, v0, s81 dst_sel:DWORD dst_unused:UNUSED_PAD src0_sel:BYTE_3 src1_sel:DWORD
; %bb.10096:                            ;   in Loop: Header=BB6_9456 Depth=3
	s_or_b64 exec, exec, s[28:29]
	v_and_b32_e32 v0, 0xff, v45
	v_cmp_ne_u16_e32 vcc, 0, v0
	v_mov_b32_e32 v1, 0
	v_mov_b32_e32 v2, 0
	s_and_saveexec_b64 s[28:29], vcc
	s_cbranch_execz .LBB6_10102
; %bb.10097:                            ;   in Loop: Header=BB6_9456 Depth=3
	v_cmp_ne_u16_e32 vcc, s80, v0
	v_bfrev_b32_e32 v2, 1
	s_and_saveexec_b64 s[34:35], vcc
	s_cbranch_execz .LBB6_10101
; %bb.10098:                            ;   in Loop: Header=BB6_9456 Depth=3
	v_and_b32_e32 v14, 0x7f, v45
	v_cmp_ne_u32_e32 vcc, s81, v14
	v_mov_b32_e32 v2, 0x7f800001
	s_and_saveexec_b64 s[36:37], vcc
	s_cbranch_execz .LBB6_10100
; %bb.10099:                            ;   in Loop: Header=BB6_9456 Depth=3
	v_and_b32_e32 v2, 7, v0
	v_lshrrev_b32_e32 v17, 3, v14
	v_cmp_gt_u32_e32 vcc, 8, v14
	v_ffbh_u32_e32 v14, v2
	v_min_u32_e32 v18, 32, v14
	v_subrev_u32_e32 v14, 28, v18
	v_lshlrev_b64 v[14:15], v14, v[0:1]
	v_sub_u32_e32 v0, 29, v18
	v_and_b32_e32 v14, 7, v14
	v_cndmask_b32_e32 v0, v17, v0, vcc
	v_cndmask_b32_e32 v2, v2, v14, vcc
	v_lshlrev_b32_e32 v14, 24, v45
	v_bfrev_b32_e32 v15, 60
	v_lshlrev_b32_e32 v2, 20, v2
	v_and_b32_e32 v14, 0x80000000, v14
	v_lshl_add_u32 v0, v0, 23, v15
	v_or3_b32 v2, v14, v0, v2
.LBB6_10100:                            ;   in Loop: Header=BB6_9456 Depth=3
	s_or_b64 exec, exec, s[36:37]
.LBB6_10101:                            ;   in Loop: Header=BB6_9456 Depth=3
	s_or_b64 exec, exec, s[34:35]
.LBB6_10102:                            ;   in Loop: Header=BB6_9456 Depth=3
	s_or_b64 exec, exec, s[28:29]
	v_and_b32_e32 v0, 0xff, v44
	v_cmp_ne_u16_e32 vcc, 0, v0
	s_and_saveexec_b64 s[28:29], vcc
	s_cbranch_execz .LBB6_10108
; %bb.10103:                            ;   in Loop: Header=BB6_9456 Depth=3
	v_cmp_ne_u16_e32 vcc, s80, v0
	v_bfrev_b32_e32 v1, 1
	s_and_saveexec_b64 s[34:35], vcc
	s_cbranch_execz .LBB6_10107
; %bb.10104:                            ;   in Loop: Header=BB6_9456 Depth=3
	v_and_b32_e32 v14, 0x7f, v44
	v_cmp_ne_u32_e32 vcc, s81, v14
	v_mov_b32_e32 v1, 0x7f800001
	s_and_saveexec_b64 s[36:37], vcc
	s_cbranch_execz .LBB6_10106
; %bb.10105:                            ;   in Loop: Header=BB6_9456 Depth=3
	v_and_b32_e32 v15, 7, v0
	v_ffbh_u32_e32 v1, v15
	v_lshrrev_b32_e32 v17, 3, v14
	v_cmp_gt_u32_e32 vcc, 8, v14
	v_min_u32_e32 v14, 32, v1
	v_subrev_u32_e32 v1, 28, v14
	v_lshlrev_b64 v[0:1], v1, v[0:1]
	v_sub_u32_e32 v1, 29, v14
	v_and_b32_e32 v0, 7, v0
	v_cndmask_b32_e32 v1, v17, v1, vcc
	v_cndmask_b32_e32 v0, v15, v0, vcc
	v_lshlrev_b32_e32 v14, 24, v44
	v_bfrev_b32_e32 v15, 60
	v_lshlrev_b32_e32 v0, 20, v0
	v_and_b32_e32 v14, 0x80000000, v14
	v_lshl_add_u32 v1, v1, 23, v15
	v_or3_b32 v1, v14, v1, v0
.LBB6_10106:                            ;   in Loop: Header=BB6_9456 Depth=3
	s_or_b64 exec, exec, s[36:37]
.LBB6_10107:                            ;   in Loop: Header=BB6_9456 Depth=3
	s_or_b64 exec, exec, s[34:35]
.LBB6_10108:                            ;   in Loop: Header=BB6_9456 Depth=3
	s_or_b64 exec, exec, s[28:29]
	v_mul_f32_e32 v0, v2, v1
	v_and_b32_e32 v20, 0x7f800000, v0
	v_cmp_ne_u64_e32 vcc, s[62:63], v[20:21]
                                        ; implicit-def: $vgpr19
	s_and_saveexec_b64 s[28:29], vcc
	s_xor_b64 s[34:35], exec, s[28:29]
	s_cbranch_execz .LBB6_10126
; %bb.10109:                            ;   in Loop: Header=BB6_9456 Depth=3
	v_and_b32_e32 v20, 0x7fffffff, v0
	v_cmp_gt_u64_e32 vcc, s[78:79], v[20:21]
	v_and_b32_sdwa v14, v0, s80 dst_sel:DWORD dst_unused:UNUSED_PAD src0_sel:BYTE_3 src1_sel:DWORD
                                        ; implicit-def: $vgpr19
	s_and_saveexec_b64 s[28:29], vcc
	s_xor_b64 s[36:37], exec, s[28:29]
	s_cbranch_execz .LBB6_10123
; %bb.10110:                            ;   in Loop: Header=BB6_9456 Depth=3
	v_cmp_ne_u32_e32 vcc, 0, v0
	v_mov_b32_e32 v19, 0
	s_and_saveexec_b64 s[38:39], vcc
	s_cbranch_execz .LBB6_10122
; %bb.10111:                            ;   in Loop: Header=BB6_9456 Depth=3
	v_bfe_u32 v15, v0, 23, 8
	v_and_b32_e32 v1, 0x7fffff, v0
	v_cmp_gt_u32_e64 s[28:29], s47, v15
	v_sub_u32_e32 v0, 0x79, v15
	v_cmp_eq_u32_e32 vcc, 0, v15
	v_cndmask_b32_e64 v0, 0, v0, s[28:29]
	v_mov_b32_e32 v17, 0x78
	v_cndmask_b32_e32 v17, v0, v17, vcc
	v_or_b32_e32 v2, 0x800000, v1
	v_add_u32_e32 v0, 20, v17
	v_cndmask_b32_e32 v20, v2, v1, vcc
	v_lshlrev_b64 v[0:1], v0, -1
	v_add_u32_e32 v2, 19, v17
	v_lshlrev_b64 v[18:19], v2, 1
	v_bfi_b32 v1, v1, 0, 0
	v_bfi_b32 v0, v0, 0, v20
	v_cmp_eq_u64_e64 s[28:29], v[0:1], v[18:19]
	v_lshrrev_b64 v[0:1], v17, v[20:21]
	v_mov_b32_e32 v2, v1
	v_mov_b32_e32 v1, v0
	s_and_saveexec_b64 s[48:49], s[28:29]
; %bb.10112:                            ;   in Loop: Header=BB6_9456 Depth=3
	v_bfe_u32 v1, v0, 20, 1
	v_add_co_u32_e64 v1, s[28:29], v0, v1
	v_add_co_u32_e64 v1, s[28:29], -1, v1
; %bb.10113:                            ;   in Loop: Header=BB6_9456 Depth=3
	s_or_b64 exec, exec, s[48:49]
	v_add_u32_e32 v2, 0xffffff81, v15
	v_mov_b32_e32 v15, 0xffffff82
	v_cndmask_b32_e32 v2, v2, v15, vcc
	v_lshrrev_b32_e32 v15, 23, v0
	v_add3_u32 v17, v17, v2, v15
	v_add_u32_e32 v15, 6, v17
	v_and_b32_e32 v1, 0xfffff, v1
	v_add_u32_e32 v20, v1, v0
	v_cmp_ne_u32_e32 vcc, 0, v15
                                        ; implicit-def: $vgpr0_vgpr1
                                        ; implicit-def: $vgpr2
	s_and_saveexec_b64 s[28:29], vcc
	s_xor_b64 s[28:29], exec, s[28:29]
; %bb.10114:                            ;   in Loop: Header=BB6_9456 Depth=3
	v_cmp_lt_u64_e32 vcc, s[88:89], v[20:21]
	v_add_u32_e32 v0, 7, v17
	v_cndmask_b32_e32 v2, v15, v0, vcc
	v_cndmask_b32_e64 v0, 0, 1, vcc
	v_lshrrev_b64 v[0:1], v0, v[20:21]
; %bb.10115:                            ;   in Loop: Header=BB6_9456 Depth=3
	s_andn2_saveexec_b64 s[28:29], s[28:29]
; %bb.10116:                            ;   in Loop: Header=BB6_9456 Depth=3
	v_mov_b32_e32 v0, v20
	v_bfe_u32 v2, v20, 23, 1
	v_mov_b32_e32 v1, v21
; %bb.10117:                            ;   in Loop: Header=BB6_9456 Depth=3
	s_or_b64 exec, exec, s[28:29]
	v_lshrrev_b64 v[0:1], 20, v[0:1]
	v_cmp_gt_i32_e32 vcc, 16, v2
	v_cndmask_b32_e32 v1, 0, v1, vcc
	v_cndmask_b32_e32 v0, 7, v0, vcc
	v_cmp_ne_u64_e32 vcc, 0, v[0:1]
	v_cmp_ne_u32_e64 s[28:29], 0, v2
	s_or_b64 s[28:29], s[28:29], vcc
                                        ; implicit-def: $vgpr19
	s_and_saveexec_b64 vcc, s[28:29]
	s_xor_b64 s[28:29], exec, vcc
; %bb.10118:                            ;   in Loop: Header=BB6_9456 Depth=3
	v_min_i32_e32 v1, 15, v2
	v_lshl_or_b32 v1, v1, 3, v14
	v_and_or_b32 v19, v0, 7, v1
                                        ; implicit-def: $vgpr14
; %bb.10119:                            ;   in Loop: Header=BB6_9456 Depth=3
	s_andn2_saveexec_b64 s[28:29], s[28:29]
; %bb.10120:                            ;   in Loop: Header=BB6_9456 Depth=3
	v_mov_b32_e32 v19, v14
; %bb.10121:                            ;   in Loop: Header=BB6_9456 Depth=3
	s_or_b64 exec, exec, s[28:29]
.LBB6_10122:                            ;   in Loop: Header=BB6_9456 Depth=3
	s_or_b64 exec, exec, s[38:39]
                                        ; implicit-def: $vgpr14
.LBB6_10123:                            ;   in Loop: Header=BB6_9456 Depth=3
	s_andn2_saveexec_b64 s[28:29], s[36:37]
; %bb.10124:                            ;   in Loop: Header=BB6_9456 Depth=3
	v_or_b32_e32 v19, 0x7e, v14
; %bb.10125:                            ;   in Loop: Header=BB6_9456 Depth=3
	s_or_b64 exec, exec, s[28:29]
                                        ; implicit-def: $vgpr0
.LBB6_10126:                            ;   in Loop: Header=BB6_9456 Depth=3
	s_andn2_saveexec_b64 s[28:29], s[34:35]
; %bb.10127:                            ;   in Loop: Header=BB6_9456 Depth=3
	v_or_b32_sdwa v19, v0, s81 dst_sel:DWORD dst_unused:UNUSED_PAD src0_sel:BYTE_3 src1_sel:DWORD
; %bb.10128:                            ;   in Loop: Header=BB6_9456 Depth=3
	s_or_b64 exec, exec, s[28:29]
	v_and_b32_e32 v0, 0xff, v41
	v_cmp_ne_u16_e32 vcc, 0, v0
	v_mov_b32_e32 v1, 0
	v_mov_b32_e32 v2, 0
	s_and_saveexec_b64 s[28:29], vcc
	s_cbranch_execz .LBB6_10134
; %bb.10129:                            ;   in Loop: Header=BB6_9456 Depth=3
	v_cmp_ne_u16_e32 vcc, s80, v0
	v_bfrev_b32_e32 v2, 1
	s_and_saveexec_b64 s[34:35], vcc
	s_cbranch_execz .LBB6_10133
; %bb.10130:                            ;   in Loop: Header=BB6_9456 Depth=3
	v_and_b32_e32 v14, 0x7f, v41
	v_cmp_ne_u32_e32 vcc, s81, v14
	v_mov_b32_e32 v2, 0x7f800001
	s_and_saveexec_b64 s[36:37], vcc
	s_cbranch_execz .LBB6_10132
; %bb.10131:                            ;   in Loop: Header=BB6_9456 Depth=3
	v_and_b32_e32 v2, 7, v0
	v_lshrrev_b32_e32 v17, 3, v14
	v_cmp_gt_u32_e32 vcc, 8, v14
	v_ffbh_u32_e32 v14, v2
	v_min_u32_e32 v18, 32, v14
	v_subrev_u32_e32 v14, 28, v18
	v_lshlrev_b64 v[14:15], v14, v[0:1]
	v_sub_u32_e32 v0, 29, v18
	v_and_b32_e32 v14, 7, v14
	v_cndmask_b32_e32 v0, v17, v0, vcc
	v_cndmask_b32_e32 v2, v2, v14, vcc
	v_lshlrev_b32_e32 v14, 24, v41
	v_bfrev_b32_e32 v15, 60
	v_lshlrev_b32_e32 v2, 20, v2
	v_and_b32_e32 v14, 0x80000000, v14
	v_lshl_add_u32 v0, v0, 23, v15
	v_or3_b32 v2, v14, v0, v2
.LBB6_10132:                            ;   in Loop: Header=BB6_9456 Depth=3
	s_or_b64 exec, exec, s[36:37]
.LBB6_10133:                            ;   in Loop: Header=BB6_9456 Depth=3
	s_or_b64 exec, exec, s[34:35]
.LBB6_10134:                            ;   in Loop: Header=BB6_9456 Depth=3
	s_or_b64 exec, exec, s[28:29]
	v_and_b32_e32 v0, 0xff, v40
	v_cmp_ne_u16_e32 vcc, 0, v0
	s_and_saveexec_b64 s[28:29], vcc
	s_cbranch_execz .LBB6_10140
; %bb.10135:                            ;   in Loop: Header=BB6_9456 Depth=3
	v_cmp_ne_u16_e32 vcc, s80, v0
	v_bfrev_b32_e32 v1, 1
	s_and_saveexec_b64 s[34:35], vcc
	s_cbranch_execz .LBB6_10139
; %bb.10136:                            ;   in Loop: Header=BB6_9456 Depth=3
	v_and_b32_e32 v14, 0x7f, v40
	v_cmp_ne_u32_e32 vcc, s81, v14
	v_mov_b32_e32 v1, 0x7f800001
	s_and_saveexec_b64 s[36:37], vcc
	s_cbranch_execz .LBB6_10138
; %bb.10137:                            ;   in Loop: Header=BB6_9456 Depth=3
	v_and_b32_e32 v15, 7, v0
	v_ffbh_u32_e32 v1, v15
	v_lshrrev_b32_e32 v17, 3, v14
	v_cmp_gt_u32_e32 vcc, 8, v14
	v_min_u32_e32 v14, 32, v1
	v_subrev_u32_e32 v1, 28, v14
	v_lshlrev_b64 v[0:1], v1, v[0:1]
	v_sub_u32_e32 v1, 29, v14
	v_and_b32_e32 v0, 7, v0
	v_cndmask_b32_e32 v1, v17, v1, vcc
	v_cndmask_b32_e32 v0, v15, v0, vcc
	v_lshlrev_b32_e32 v14, 24, v40
	v_bfrev_b32_e32 v15, 60
	v_lshlrev_b32_e32 v0, 20, v0
	v_and_b32_e32 v14, 0x80000000, v14
	v_lshl_add_u32 v1, v1, 23, v15
	v_or3_b32 v1, v14, v1, v0
.LBB6_10138:                            ;   in Loop: Header=BB6_9456 Depth=3
	s_or_b64 exec, exec, s[36:37]
.LBB6_10139:                            ;   in Loop: Header=BB6_9456 Depth=3
	s_or_b64 exec, exec, s[34:35]
.LBB6_10140:                            ;   in Loop: Header=BB6_9456 Depth=3
	s_or_b64 exec, exec, s[28:29]
	v_mul_f32_e32 v0, v2, v1
	v_and_b32_e32 v20, 0x7f800000, v0
	v_cmp_ne_u64_e32 vcc, s[62:63], v[20:21]
                                        ; implicit-def: $vgpr22
	s_and_saveexec_b64 s[28:29], vcc
	s_xor_b64 s[34:35], exec, s[28:29]
	s_cbranch_execz .LBB6_10158
; %bb.10141:                            ;   in Loop: Header=BB6_9456 Depth=3
	v_and_b32_e32 v20, 0x7fffffff, v0
	v_cmp_gt_u64_e32 vcc, s[78:79], v[20:21]
	v_and_b32_sdwa v14, v0, s80 dst_sel:DWORD dst_unused:UNUSED_PAD src0_sel:BYTE_3 src1_sel:DWORD
                                        ; implicit-def: $vgpr22
	s_and_saveexec_b64 s[28:29], vcc
	s_xor_b64 s[36:37], exec, s[28:29]
	s_cbranch_execz .LBB6_10155
; %bb.10142:                            ;   in Loop: Header=BB6_9456 Depth=3
	v_cmp_ne_u32_e32 vcc, 0, v0
	v_mov_b32_e32 v22, 0
	s_and_saveexec_b64 s[38:39], vcc
	s_cbranch_execz .LBB6_10154
; %bb.10143:                            ;   in Loop: Header=BB6_9456 Depth=3
	v_bfe_u32 v15, v0, 23, 8
	v_and_b32_e32 v1, 0x7fffff, v0
	v_cmp_gt_u32_e64 s[28:29], s47, v15
	v_sub_u32_e32 v0, 0x79, v15
	v_cmp_eq_u32_e32 vcc, 0, v15
	v_cndmask_b32_e64 v0, 0, v0, s[28:29]
	v_mov_b32_e32 v17, 0x78
	v_cndmask_b32_e32 v17, v0, v17, vcc
	v_or_b32_e32 v2, 0x800000, v1
	v_add_u32_e32 v0, 20, v17
	v_cndmask_b32_e32 v20, v2, v1, vcc
	v_lshlrev_b64 v[0:1], v0, -1
	v_add_u32_e32 v2, 19, v17
	v_lshlrev_b64 v[22:23], v2, 1
	v_bfi_b32 v1, v1, 0, 0
	v_bfi_b32 v0, v0, 0, v20
	v_cmp_eq_u64_e64 s[28:29], v[0:1], v[22:23]
	v_lshrrev_b64 v[0:1], v17, v[20:21]
	v_mov_b32_e32 v2, v1
	v_mov_b32_e32 v1, v0
	s_and_saveexec_b64 s[48:49], s[28:29]
; %bb.10144:                            ;   in Loop: Header=BB6_9456 Depth=3
	v_bfe_u32 v1, v0, 20, 1
	v_add_co_u32_e64 v1, s[28:29], v0, v1
	v_add_co_u32_e64 v1, s[28:29], -1, v1
; %bb.10145:                            ;   in Loop: Header=BB6_9456 Depth=3
	s_or_b64 exec, exec, s[48:49]
	v_add_u32_e32 v2, 0xffffff81, v15
	v_mov_b32_e32 v15, 0xffffff82
	v_cndmask_b32_e32 v2, v2, v15, vcc
	v_lshrrev_b32_e32 v15, 23, v0
	v_add3_u32 v17, v17, v2, v15
	v_add_u32_e32 v15, 6, v17
	v_and_b32_e32 v1, 0xfffff, v1
	v_add_u32_e32 v20, v1, v0
	v_cmp_ne_u32_e32 vcc, 0, v15
                                        ; implicit-def: $vgpr0_vgpr1
                                        ; implicit-def: $vgpr2
	s_and_saveexec_b64 s[28:29], vcc
	s_xor_b64 s[28:29], exec, s[28:29]
; %bb.10146:                            ;   in Loop: Header=BB6_9456 Depth=3
	v_cmp_lt_u64_e32 vcc, s[88:89], v[20:21]
	v_add_u32_e32 v0, 7, v17
	v_cndmask_b32_e32 v2, v15, v0, vcc
	v_cndmask_b32_e64 v0, 0, 1, vcc
	v_lshrrev_b64 v[0:1], v0, v[20:21]
; %bb.10147:                            ;   in Loop: Header=BB6_9456 Depth=3
	s_andn2_saveexec_b64 s[28:29], s[28:29]
; %bb.10148:                            ;   in Loop: Header=BB6_9456 Depth=3
	v_mov_b32_e32 v0, v20
	v_bfe_u32 v2, v20, 23, 1
	v_mov_b32_e32 v1, v21
; %bb.10149:                            ;   in Loop: Header=BB6_9456 Depth=3
	s_or_b64 exec, exec, s[28:29]
	v_lshrrev_b64 v[0:1], 20, v[0:1]
	v_cmp_gt_i32_e32 vcc, 16, v2
	v_cndmask_b32_e32 v1, 0, v1, vcc
	v_cndmask_b32_e32 v0, 7, v0, vcc
	v_cmp_ne_u64_e32 vcc, 0, v[0:1]
	v_cmp_ne_u32_e64 s[28:29], 0, v2
	s_or_b64 s[28:29], s[28:29], vcc
                                        ; implicit-def: $vgpr22
	s_and_saveexec_b64 vcc, s[28:29]
	s_xor_b64 s[28:29], exec, vcc
; %bb.10150:                            ;   in Loop: Header=BB6_9456 Depth=3
	v_min_i32_e32 v1, 15, v2
	v_lshl_or_b32 v1, v1, 3, v14
	v_and_or_b32 v22, v0, 7, v1
                                        ; implicit-def: $vgpr14
; %bb.10151:                            ;   in Loop: Header=BB6_9456 Depth=3
	s_andn2_saveexec_b64 s[28:29], s[28:29]
; %bb.10152:                            ;   in Loop: Header=BB6_9456 Depth=3
	v_mov_b32_e32 v22, v14
; %bb.10153:                            ;   in Loop: Header=BB6_9456 Depth=3
	s_or_b64 exec, exec, s[28:29]
.LBB6_10154:                            ;   in Loop: Header=BB6_9456 Depth=3
	s_or_b64 exec, exec, s[38:39]
                                        ; implicit-def: $vgpr14
.LBB6_10155:                            ;   in Loop: Header=BB6_9456 Depth=3
	s_andn2_saveexec_b64 s[28:29], s[36:37]
; %bb.10156:                            ;   in Loop: Header=BB6_9456 Depth=3
	v_or_b32_e32 v22, 0x7e, v14
; %bb.10157:                            ;   in Loop: Header=BB6_9456 Depth=3
	s_or_b64 exec, exec, s[28:29]
                                        ; implicit-def: $vgpr0
.LBB6_10158:                            ;   in Loop: Header=BB6_9456 Depth=3
	s_andn2_saveexec_b64 s[28:29], s[34:35]
; %bb.10159:                            ;   in Loop: Header=BB6_9456 Depth=3
	v_or_b32_sdwa v22, v0, s81 dst_sel:DWORD dst_unused:UNUSED_PAD src0_sel:BYTE_3 src1_sel:DWORD
; %bb.10160:                            ;   in Loop: Header=BB6_9456 Depth=3
	s_or_b64 exec, exec, s[28:29]
	v_and_b32_e32 v0, 0xff, v54
	v_cmp_ne_u16_e32 vcc, 0, v0
	v_mov_b32_e32 v1, 0
	v_mov_b32_e32 v2, 0
	s_and_saveexec_b64 s[28:29], vcc
	s_cbranch_execz .LBB6_10166
; %bb.10161:                            ;   in Loop: Header=BB6_9456 Depth=3
	v_cmp_ne_u16_e32 vcc, s80, v0
	v_bfrev_b32_e32 v2, 1
	s_and_saveexec_b64 s[34:35], vcc
	s_cbranch_execz .LBB6_10165
; %bb.10162:                            ;   in Loop: Header=BB6_9456 Depth=3
	v_and_b32_e32 v14, 0x7f, v54
	v_cmp_ne_u32_e32 vcc, s81, v14
	v_mov_b32_e32 v2, 0x7f800001
	s_and_saveexec_b64 s[36:37], vcc
	s_cbranch_execz .LBB6_10164
; %bb.10163:                            ;   in Loop: Header=BB6_9456 Depth=3
	v_and_b32_e32 v2, 7, v0
	v_lshrrev_b32_e32 v17, 3, v14
	v_cmp_gt_u32_e32 vcc, 8, v14
	v_ffbh_u32_e32 v14, v2
	v_min_u32_e32 v18, 32, v14
	v_subrev_u32_e32 v14, 28, v18
	v_lshlrev_b64 v[14:15], v14, v[0:1]
	v_sub_u32_e32 v0, 29, v18
	v_and_b32_e32 v14, 7, v14
	v_cndmask_b32_e32 v0, v17, v0, vcc
	v_cndmask_b32_e32 v2, v2, v14, vcc
	v_lshlrev_b32_e32 v14, 24, v54
	v_bfrev_b32_e32 v15, 60
	v_lshlrev_b32_e32 v2, 20, v2
	v_and_b32_e32 v14, 0x80000000, v14
	v_lshl_add_u32 v0, v0, 23, v15
	v_or3_b32 v2, v14, v0, v2
.LBB6_10164:                            ;   in Loop: Header=BB6_9456 Depth=3
	s_or_b64 exec, exec, s[36:37]
.LBB6_10165:                            ;   in Loop: Header=BB6_9456 Depth=3
	s_or_b64 exec, exec, s[34:35]
.LBB6_10166:                            ;   in Loop: Header=BB6_9456 Depth=3
	s_or_b64 exec, exec, s[28:29]
	buffer_load_dword v0, off, s[0:3], s33 offset:160 ; 4-byte Folded Reload
	s_waitcnt vmcnt(0)
	v_and_b32_e32 v0, 0xff, v0
	v_cmp_ne_u16_e32 vcc, 0, v0
	s_and_saveexec_b64 s[28:29], vcc
	s_cbranch_execz .LBB6_10172
; %bb.10167:                            ;   in Loop: Header=BB6_9456 Depth=3
	v_cmp_ne_u16_e32 vcc, s80, v0
	v_bfrev_b32_e32 v1, 1
	s_and_saveexec_b64 s[34:35], vcc
	s_cbranch_execz .LBB6_10171
; %bb.10168:                            ;   in Loop: Header=BB6_9456 Depth=3
	buffer_load_dword v18, off, s[0:3], s33 offset:160 ; 4-byte Folded Reload
	v_mov_b32_e32 v1, 0x7f800001
	s_waitcnt vmcnt(0)
	v_and_b32_e32 v14, 0x7f, v18
	v_cmp_ne_u32_e32 vcc, s81, v14
	s_and_saveexec_b64 s[36:37], vcc
	s_cbranch_execz .LBB6_10170
; %bb.10169:                            ;   in Loop: Header=BB6_9456 Depth=3
	v_and_b32_e32 v15, 7, v0
	v_ffbh_u32_e32 v1, v15
	v_lshrrev_b32_e32 v17, 3, v14
	v_cmp_gt_u32_e32 vcc, 8, v14
	v_min_u32_e32 v14, 32, v1
	v_subrev_u32_e32 v1, 28, v14
	v_lshlrev_b64 v[0:1], v1, v[0:1]
	v_sub_u32_e32 v1, 29, v14
	v_and_b32_e32 v0, 7, v0
	v_cndmask_b32_e32 v1, v17, v1, vcc
	v_cndmask_b32_e32 v0, v15, v0, vcc
	v_lshlrev_b32_e32 v14, 24, v18
	v_bfrev_b32_e32 v15, 60
	v_lshlrev_b32_e32 v0, 20, v0
	v_and_b32_e32 v14, 0x80000000, v14
	v_lshl_add_u32 v1, v1, 23, v15
	v_or3_b32 v1, v14, v1, v0
.LBB6_10170:                            ;   in Loop: Header=BB6_9456 Depth=3
	s_or_b64 exec, exec, s[36:37]
.LBB6_10171:                            ;   in Loop: Header=BB6_9456 Depth=3
	s_or_b64 exec, exec, s[34:35]
.LBB6_10172:                            ;   in Loop: Header=BB6_9456 Depth=3
	s_or_b64 exec, exec, s[28:29]
	v_mul_f32_e32 v0, v2, v1
	v_and_b32_e32 v20, 0x7f800000, v0
	v_cmp_ne_u64_e32 vcc, s[62:63], v[20:21]
                                        ; implicit-def: $vgpr25
	s_and_saveexec_b64 s[28:29], vcc
	s_xor_b64 s[34:35], exec, s[28:29]
	s_cbranch_execz .LBB6_10190
; %bb.10173:                            ;   in Loop: Header=BB6_9456 Depth=3
	v_and_b32_e32 v20, 0x7fffffff, v0
	v_cmp_gt_u64_e32 vcc, s[78:79], v[20:21]
	v_and_b32_sdwa v14, v0, s80 dst_sel:DWORD dst_unused:UNUSED_PAD src0_sel:BYTE_3 src1_sel:DWORD
                                        ; implicit-def: $vgpr25
	s_and_saveexec_b64 s[28:29], vcc
	s_xor_b64 s[36:37], exec, s[28:29]
	s_cbranch_execz .LBB6_10187
; %bb.10174:                            ;   in Loop: Header=BB6_9456 Depth=3
	v_cmp_ne_u32_e32 vcc, 0, v0
	v_mov_b32_e32 v25, 0
	s_and_saveexec_b64 s[38:39], vcc
	s_cbranch_execz .LBB6_10186
; %bb.10175:                            ;   in Loop: Header=BB6_9456 Depth=3
	v_bfe_u32 v15, v0, 23, 8
	v_and_b32_e32 v1, 0x7fffff, v0
	v_cmp_gt_u32_e64 s[28:29], s47, v15
	v_sub_u32_e32 v0, 0x79, v15
	v_cmp_eq_u32_e32 vcc, 0, v15
	v_cndmask_b32_e64 v0, 0, v0, s[28:29]
	v_mov_b32_e32 v17, 0x78
	v_cndmask_b32_e32 v17, v0, v17, vcc
	v_or_b32_e32 v2, 0x800000, v1
	v_add_u32_e32 v0, 20, v17
	v_cndmask_b32_e32 v20, v2, v1, vcc
	v_lshlrev_b64 v[0:1], v0, -1
	v_add_u32_e32 v2, 19, v17
	v_lshlrev_b64 v[23:24], v2, 1
	v_bfi_b32 v1, v1, 0, 0
	v_bfi_b32 v0, v0, 0, v20
	v_cmp_eq_u64_e64 s[28:29], v[0:1], v[23:24]
	v_lshrrev_b64 v[0:1], v17, v[20:21]
	v_mov_b32_e32 v2, v1
	v_mov_b32_e32 v1, v0
	s_and_saveexec_b64 s[48:49], s[28:29]
; %bb.10176:                            ;   in Loop: Header=BB6_9456 Depth=3
	v_bfe_u32 v1, v0, 20, 1
	v_add_co_u32_e64 v1, s[28:29], v0, v1
	v_add_co_u32_e64 v1, s[28:29], -1, v1
; %bb.10177:                            ;   in Loop: Header=BB6_9456 Depth=3
	s_or_b64 exec, exec, s[48:49]
	v_add_u32_e32 v2, 0xffffff81, v15
	v_mov_b32_e32 v15, 0xffffff82
	v_cndmask_b32_e32 v2, v2, v15, vcc
	v_lshrrev_b32_e32 v15, 23, v0
	v_add3_u32 v17, v17, v2, v15
	v_add_u32_e32 v15, 6, v17
	v_and_b32_e32 v1, 0xfffff, v1
	v_add_u32_e32 v20, v1, v0
	v_cmp_ne_u32_e32 vcc, 0, v15
                                        ; implicit-def: $vgpr0_vgpr1
                                        ; implicit-def: $vgpr2
	s_and_saveexec_b64 s[28:29], vcc
	s_xor_b64 s[28:29], exec, s[28:29]
; %bb.10178:                            ;   in Loop: Header=BB6_9456 Depth=3
	v_cmp_lt_u64_e32 vcc, s[88:89], v[20:21]
	v_add_u32_e32 v0, 7, v17
	v_cndmask_b32_e32 v2, v15, v0, vcc
	v_cndmask_b32_e64 v0, 0, 1, vcc
	v_lshrrev_b64 v[0:1], v0, v[20:21]
; %bb.10179:                            ;   in Loop: Header=BB6_9456 Depth=3
	s_andn2_saveexec_b64 s[28:29], s[28:29]
; %bb.10180:                            ;   in Loop: Header=BB6_9456 Depth=3
	v_mov_b32_e32 v0, v20
	v_bfe_u32 v2, v20, 23, 1
	v_mov_b32_e32 v1, v21
; %bb.10181:                            ;   in Loop: Header=BB6_9456 Depth=3
	s_or_b64 exec, exec, s[28:29]
	v_lshrrev_b64 v[0:1], 20, v[0:1]
	v_cmp_gt_i32_e32 vcc, 16, v2
	v_cndmask_b32_e32 v1, 0, v1, vcc
	v_cndmask_b32_e32 v0, 7, v0, vcc
	v_cmp_ne_u64_e32 vcc, 0, v[0:1]
	v_cmp_ne_u32_e64 s[28:29], 0, v2
	s_or_b64 s[28:29], s[28:29], vcc
                                        ; implicit-def: $vgpr25
	s_and_saveexec_b64 vcc, s[28:29]
	s_xor_b64 s[28:29], exec, vcc
; %bb.10182:                            ;   in Loop: Header=BB6_9456 Depth=3
	v_min_i32_e32 v1, 15, v2
	v_lshl_or_b32 v1, v1, 3, v14
	v_and_or_b32 v25, v0, 7, v1
                                        ; implicit-def: $vgpr14
; %bb.10183:                            ;   in Loop: Header=BB6_9456 Depth=3
	s_andn2_saveexec_b64 s[28:29], s[28:29]
; %bb.10184:                            ;   in Loop: Header=BB6_9456 Depth=3
	v_mov_b32_e32 v25, v14
; %bb.10185:                            ;   in Loop: Header=BB6_9456 Depth=3
	s_or_b64 exec, exec, s[28:29]
.LBB6_10186:                            ;   in Loop: Header=BB6_9456 Depth=3
	s_or_b64 exec, exec, s[38:39]
                                        ; implicit-def: $vgpr14
.LBB6_10187:                            ;   in Loop: Header=BB6_9456 Depth=3
	s_andn2_saveexec_b64 s[28:29], s[36:37]
; %bb.10188:                            ;   in Loop: Header=BB6_9456 Depth=3
	v_or_b32_e32 v25, 0x7e, v14
; %bb.10189:                            ;   in Loop: Header=BB6_9456 Depth=3
	s_or_b64 exec, exec, s[28:29]
                                        ; implicit-def: $vgpr0
.LBB6_10190:                            ;   in Loop: Header=BB6_9456 Depth=3
	s_andn2_saveexec_b64 s[28:29], s[34:35]
; %bb.10191:                            ;   in Loop: Header=BB6_9456 Depth=3
	v_or_b32_sdwa v25, v0, s81 dst_sel:DWORD dst_unused:UNUSED_PAD src0_sel:BYTE_3 src1_sel:DWORD
; %bb.10192:                            ;   in Loop: Header=BB6_9456 Depth=3
	s_or_b64 exec, exec, s[28:29]
	buffer_load_dword v0, off, s[0:3], s33 offset:156 ; 4-byte Folded Reload
	v_mov_b32_e32 v1, 0
	v_mov_b32_e32 v2, 0
	s_waitcnt vmcnt(0)
	v_and_b32_e32 v0, 0xff, v0
	v_cmp_ne_u16_e32 vcc, 0, v0
	s_and_saveexec_b64 s[28:29], vcc
	s_cbranch_execz .LBB6_10198
; %bb.10193:                            ;   in Loop: Header=BB6_9456 Depth=3
	v_cmp_ne_u16_e32 vcc, s80, v0
	v_bfrev_b32_e32 v2, 1
	s_and_saveexec_b64 s[34:35], vcc
	s_cbranch_execz .LBB6_10197
; %bb.10194:                            ;   in Loop: Header=BB6_9456 Depth=3
	buffer_load_dword v20, off, s[0:3], s33 offset:156 ; 4-byte Folded Reload
	v_mov_b32_e32 v2, 0x7f800001
	s_waitcnt vmcnt(0)
	v_and_b32_e32 v14, 0x7f, v20
	v_cmp_ne_u32_e32 vcc, s81, v14
	s_and_saveexec_b64 s[36:37], vcc
	s_cbranch_execz .LBB6_10196
; %bb.10195:                            ;   in Loop: Header=BB6_9456 Depth=3
	v_and_b32_e32 v2, 7, v0
	v_lshrrev_b32_e32 v17, 3, v14
	v_cmp_gt_u32_e32 vcc, 8, v14
	v_ffbh_u32_e32 v14, v2
	v_min_u32_e32 v18, 32, v14
	v_subrev_u32_e32 v14, 28, v18
	v_lshlrev_b64 v[14:15], v14, v[0:1]
	v_sub_u32_e32 v0, 29, v18
	v_and_b32_e32 v14, 7, v14
	v_cndmask_b32_e32 v0, v17, v0, vcc
	v_cndmask_b32_e32 v2, v2, v14, vcc
	v_lshlrev_b32_e32 v14, 24, v20
	v_bfrev_b32_e32 v15, 60
	v_lshlrev_b32_e32 v2, 20, v2
	v_and_b32_e32 v14, 0x80000000, v14
	v_lshl_add_u32 v0, v0, 23, v15
	v_or3_b32 v2, v14, v0, v2
.LBB6_10196:                            ;   in Loop: Header=BB6_9456 Depth=3
	s_or_b64 exec, exec, s[36:37]
.LBB6_10197:                            ;   in Loop: Header=BB6_9456 Depth=3
	s_or_b64 exec, exec, s[34:35]
.LBB6_10198:                            ;   in Loop: Header=BB6_9456 Depth=3
	s_or_b64 exec, exec, s[28:29]
	buffer_load_dword v0, off, s[0:3], s33 offset:152 ; 4-byte Folded Reload
	s_waitcnt vmcnt(0)
	v_and_b32_e32 v0, 0xff, v0
	v_cmp_ne_u16_e32 vcc, 0, v0
	s_and_saveexec_b64 s[28:29], vcc
	s_cbranch_execz .LBB6_10204
; %bb.10199:                            ;   in Loop: Header=BB6_9456 Depth=3
	v_cmp_ne_u16_e32 vcc, s80, v0
	v_bfrev_b32_e32 v1, 1
	s_and_saveexec_b64 s[34:35], vcc
	s_cbranch_execz .LBB6_10203
; %bb.10200:                            ;   in Loop: Header=BB6_9456 Depth=3
	buffer_load_dword v18, off, s[0:3], s33 offset:152 ; 4-byte Folded Reload
	v_mov_b32_e32 v1, 0x7f800001
	s_waitcnt vmcnt(0)
	v_and_b32_e32 v14, 0x7f, v18
	v_cmp_ne_u32_e32 vcc, s81, v14
	s_and_saveexec_b64 s[36:37], vcc
	s_cbranch_execz .LBB6_10202
; %bb.10201:                            ;   in Loop: Header=BB6_9456 Depth=3
	v_and_b32_e32 v15, 7, v0
	v_ffbh_u32_e32 v1, v15
	v_lshrrev_b32_e32 v17, 3, v14
	v_cmp_gt_u32_e32 vcc, 8, v14
	v_min_u32_e32 v14, 32, v1
	v_subrev_u32_e32 v1, 28, v14
	v_lshlrev_b64 v[0:1], v1, v[0:1]
	v_sub_u32_e32 v1, 29, v14
	v_and_b32_e32 v0, 7, v0
	v_cndmask_b32_e32 v1, v17, v1, vcc
	v_cndmask_b32_e32 v0, v15, v0, vcc
	v_lshlrev_b32_e32 v14, 24, v18
	v_bfrev_b32_e32 v15, 60
	v_lshlrev_b32_e32 v0, 20, v0
	v_and_b32_e32 v14, 0x80000000, v14
	v_lshl_add_u32 v1, v1, 23, v15
	v_or3_b32 v1, v14, v1, v0
.LBB6_10202:                            ;   in Loop: Header=BB6_9456 Depth=3
	s_or_b64 exec, exec, s[36:37]
.LBB6_10203:                            ;   in Loop: Header=BB6_9456 Depth=3
	s_or_b64 exec, exec, s[34:35]
.LBB6_10204:                            ;   in Loop: Header=BB6_9456 Depth=3
	s_or_b64 exec, exec, s[28:29]
	v_mul_f32_e32 v0, v2, v1
	v_and_b32_e32 v20, 0x7f800000, v0
	v_cmp_ne_u64_e32 vcc, s[62:63], v[20:21]
                                        ; implicit-def: $vgpr14
	s_and_saveexec_b64 s[28:29], vcc
	s_xor_b64 s[34:35], exec, s[28:29]
	s_cbranch_execz .LBB6_10222
; %bb.10205:                            ;   in Loop: Header=BB6_9456 Depth=3
	v_and_b32_e32 v20, 0x7fffffff, v0
	v_cmp_gt_u64_e32 vcc, s[78:79], v[20:21]
	v_and_b32_sdwa v15, v0, s80 dst_sel:DWORD dst_unused:UNUSED_PAD src0_sel:BYTE_3 src1_sel:DWORD
                                        ; implicit-def: $vgpr14
	s_and_saveexec_b64 s[28:29], vcc
	s_xor_b64 s[36:37], exec, s[28:29]
	s_cbranch_execz .LBB6_10219
; %bb.10206:                            ;   in Loop: Header=BB6_9456 Depth=3
	v_cmp_ne_u32_e32 vcc, 0, v0
	v_mov_b32_e32 v14, 0
	s_and_saveexec_b64 s[38:39], vcc
	s_cbranch_execz .LBB6_10218
; %bb.10207:                            ;   in Loop: Header=BB6_9456 Depth=3
	v_bfe_u32 v14, v0, 23, 8
	v_and_b32_e32 v1, 0x7fffff, v0
	v_cmp_gt_u32_e64 s[28:29], s47, v14
	v_sub_u32_e32 v0, 0x79, v14
	v_cmp_eq_u32_e32 vcc, 0, v14
	v_cndmask_b32_e64 v0, 0, v0, s[28:29]
	v_mov_b32_e32 v17, 0x78
	v_cndmask_b32_e32 v17, v0, v17, vcc
	v_or_b32_e32 v2, 0x800000, v1
	v_add_u32_e32 v0, 20, v17
	v_cndmask_b32_e32 v20, v2, v1, vcc
	v_lshlrev_b64 v[0:1], v0, -1
	v_add_u32_e32 v2, 19, v17
	v_lshlrev_b64 v[23:24], v2, 1
	v_bfi_b32 v1, v1, 0, 0
	v_bfi_b32 v0, v0, 0, v20
	v_cmp_eq_u64_e64 s[28:29], v[0:1], v[23:24]
	v_lshrrev_b64 v[0:1], v17, v[20:21]
	v_mov_b32_e32 v2, v1
	v_mov_b32_e32 v1, v0
	s_and_saveexec_b64 s[48:49], s[28:29]
; %bb.10208:                            ;   in Loop: Header=BB6_9456 Depth=3
	v_bfe_u32 v1, v0, 20, 1
	v_add_co_u32_e64 v1, s[28:29], v0, v1
	v_add_co_u32_e64 v1, s[28:29], -1, v1
; %bb.10209:                            ;   in Loop: Header=BB6_9456 Depth=3
	s_or_b64 exec, exec, s[48:49]
	v_add_u32_e32 v2, 0xffffff81, v14
	v_mov_b32_e32 v14, 0xffffff82
	v_cndmask_b32_e32 v2, v2, v14, vcc
	v_lshrrev_b32_e32 v14, 23, v0
	v_add3_u32 v17, v17, v2, v14
	v_add_u32_e32 v14, 6, v17
	v_and_b32_e32 v1, 0xfffff, v1
	v_add_u32_e32 v20, v1, v0
	v_cmp_ne_u32_e32 vcc, 0, v14
                                        ; implicit-def: $vgpr0_vgpr1
                                        ; implicit-def: $vgpr2
	s_and_saveexec_b64 s[28:29], vcc
	s_xor_b64 s[28:29], exec, s[28:29]
; %bb.10210:                            ;   in Loop: Header=BB6_9456 Depth=3
	v_cmp_lt_u64_e32 vcc, s[88:89], v[20:21]
	v_add_u32_e32 v0, 7, v17
	v_cndmask_b32_e32 v2, v14, v0, vcc
	v_cndmask_b32_e64 v0, 0, 1, vcc
	v_lshrrev_b64 v[0:1], v0, v[20:21]
; %bb.10211:                            ;   in Loop: Header=BB6_9456 Depth=3
	s_andn2_saveexec_b64 s[28:29], s[28:29]
; %bb.10212:                            ;   in Loop: Header=BB6_9456 Depth=3
	v_mov_b32_e32 v0, v20
	v_bfe_u32 v2, v20, 23, 1
	v_mov_b32_e32 v1, v21
; %bb.10213:                            ;   in Loop: Header=BB6_9456 Depth=3
	s_or_b64 exec, exec, s[28:29]
	v_lshrrev_b64 v[0:1], 20, v[0:1]
	v_cmp_gt_i32_e32 vcc, 16, v2
	v_cndmask_b32_e32 v1, 0, v1, vcc
	v_cndmask_b32_e32 v0, 7, v0, vcc
	v_cmp_ne_u64_e32 vcc, 0, v[0:1]
	v_cmp_ne_u32_e64 s[28:29], 0, v2
	s_or_b64 s[28:29], s[28:29], vcc
                                        ; implicit-def: $vgpr14
	s_and_saveexec_b64 vcc, s[28:29]
	s_xor_b64 s[28:29], exec, vcc
; %bb.10214:                            ;   in Loop: Header=BB6_9456 Depth=3
	v_min_i32_e32 v1, 15, v2
	v_lshl_or_b32 v1, v1, 3, v15
	v_and_or_b32 v14, v0, 7, v1
                                        ; implicit-def: $vgpr15
; %bb.10215:                            ;   in Loop: Header=BB6_9456 Depth=3
	s_andn2_saveexec_b64 s[28:29], s[28:29]
; %bb.10216:                            ;   in Loop: Header=BB6_9456 Depth=3
	v_mov_b32_e32 v14, v15
; %bb.10217:                            ;   in Loop: Header=BB6_9456 Depth=3
	s_or_b64 exec, exec, s[28:29]
.LBB6_10218:                            ;   in Loop: Header=BB6_9456 Depth=3
	s_or_b64 exec, exec, s[38:39]
                                        ; implicit-def: $vgpr15
.LBB6_10219:                            ;   in Loop: Header=BB6_9456 Depth=3
	s_andn2_saveexec_b64 s[28:29], s[36:37]
; %bb.10220:                            ;   in Loop: Header=BB6_9456 Depth=3
	v_or_b32_e32 v14, 0x7e, v15
; %bb.10221:                            ;   in Loop: Header=BB6_9456 Depth=3
	s_or_b64 exec, exec, s[28:29]
                                        ; implicit-def: $vgpr0
.LBB6_10222:                            ;   in Loop: Header=BB6_9456 Depth=3
	s_andn2_saveexec_b64 s[28:29], s[34:35]
; %bb.10223:                            ;   in Loop: Header=BB6_9456 Depth=3
	v_or_b32_sdwa v14, v0, s81 dst_sel:DWORD dst_unused:UNUSED_PAD src0_sel:BYTE_3 src1_sel:DWORD
; %bb.10224:                            ;   in Loop: Header=BB6_9456 Depth=3
	s_or_b64 exec, exec, s[28:29]
	buffer_load_dword v0, off, s[0:3], s33 offset:148 ; 4-byte Folded Reload
	v_mov_b32_e32 v1, 0
	v_mov_b32_e32 v2, 0
	s_waitcnt vmcnt(0)
	v_and_b32_e32 v0, 0xff, v0
	v_cmp_ne_u16_e32 vcc, 0, v0
	s_and_saveexec_b64 s[28:29], vcc
	s_cbranch_execz .LBB6_10230
; %bb.10225:                            ;   in Loop: Header=BB6_9456 Depth=3
	v_cmp_ne_u16_e32 vcc, s80, v0
	v_bfrev_b32_e32 v2, 1
	s_and_saveexec_b64 s[34:35], vcc
	s_cbranch_execz .LBB6_10229
; %bb.10226:                            ;   in Loop: Header=BB6_9456 Depth=3
	buffer_load_dword v23, off, s[0:3], s33 offset:148 ; 4-byte Folded Reload
	v_mov_b32_e32 v2, 0x7f800001
	s_waitcnt vmcnt(0)
	v_and_b32_e32 v15, 0x7f, v23
	v_cmp_ne_u32_e32 vcc, s81, v15
	s_and_saveexec_b64 s[36:37], vcc
	s_cbranch_execz .LBB6_10228
; %bb.10227:                            ;   in Loop: Header=BB6_9456 Depth=3
	v_and_b32_e32 v2, 7, v0
	v_lshrrev_b32_e32 v20, 3, v15
	v_cmp_gt_u32_e32 vcc, 8, v15
	v_ffbh_u32_e32 v15, v2
	v_min_u32_e32 v15, 32, v15
	v_subrev_u32_e32 v17, 28, v15
	v_lshlrev_b64 v[17:18], v17, v[0:1]
	v_sub_u32_e32 v0, 29, v15
	v_and_b32_e32 v15, 7, v17
	v_cndmask_b32_e32 v0, v20, v0, vcc
	v_cndmask_b32_e32 v2, v2, v15, vcc
	v_lshlrev_b32_e32 v15, 24, v23
	v_bfrev_b32_e32 v17, 60
	v_lshlrev_b32_e32 v2, 20, v2
	v_and_b32_e32 v15, 0x80000000, v15
	v_lshl_add_u32 v0, v0, 23, v17
	v_or3_b32 v2, v15, v0, v2
.LBB6_10228:                            ;   in Loop: Header=BB6_9456 Depth=3
	s_or_b64 exec, exec, s[36:37]
.LBB6_10229:                            ;   in Loop: Header=BB6_9456 Depth=3
	s_or_b64 exec, exec, s[34:35]
.LBB6_10230:                            ;   in Loop: Header=BB6_9456 Depth=3
	s_or_b64 exec, exec, s[28:29]
	buffer_load_dword v0, off, s[0:3], s33 offset:144 ; 4-byte Folded Reload
	s_waitcnt vmcnt(0)
	v_and_b32_e32 v0, 0xff, v0
	v_cmp_ne_u16_e32 vcc, 0, v0
	s_and_saveexec_b64 s[28:29], vcc
	s_cbranch_execz .LBB6_10236
; %bb.10231:                            ;   in Loop: Header=BB6_9456 Depth=3
	v_cmp_ne_u16_e32 vcc, s80, v0
	v_bfrev_b32_e32 v1, 1
	s_and_saveexec_b64 s[34:35], vcc
	s_cbranch_execz .LBB6_10235
; %bb.10232:                            ;   in Loop: Header=BB6_9456 Depth=3
	buffer_load_dword v20, off, s[0:3], s33 offset:144 ; 4-byte Folded Reload
	v_mov_b32_e32 v1, 0x7f800001
	s_waitcnt vmcnt(0)
	v_and_b32_e32 v15, 0x7f, v20
	v_cmp_ne_u32_e32 vcc, s81, v15
	s_and_saveexec_b64 s[36:37], vcc
	s_cbranch_execz .LBB6_10234
; %bb.10233:                            ;   in Loop: Header=BB6_9456 Depth=3
	v_and_b32_e32 v17, 7, v0
	v_ffbh_u32_e32 v1, v17
	v_lshrrev_b32_e32 v18, 3, v15
	v_cmp_gt_u32_e32 vcc, 8, v15
	v_min_u32_e32 v15, 32, v1
	v_subrev_u32_e32 v1, 28, v15
	v_lshlrev_b64 v[0:1], v1, v[0:1]
	v_sub_u32_e32 v1, 29, v15
	v_and_b32_e32 v0, 7, v0
	v_cndmask_b32_e32 v1, v18, v1, vcc
	v_cndmask_b32_e32 v0, v17, v0, vcc
	v_lshlrev_b32_e32 v15, 24, v20
	v_bfrev_b32_e32 v17, 60
	v_lshlrev_b32_e32 v0, 20, v0
	v_and_b32_e32 v15, 0x80000000, v15
	v_lshl_add_u32 v1, v1, 23, v17
	v_or3_b32 v1, v15, v1, v0
.LBB6_10234:                            ;   in Loop: Header=BB6_9456 Depth=3
	s_or_b64 exec, exec, s[36:37]
.LBB6_10235:                            ;   in Loop: Header=BB6_9456 Depth=3
	s_or_b64 exec, exec, s[34:35]
.LBB6_10236:                            ;   in Loop: Header=BB6_9456 Depth=3
	s_or_b64 exec, exec, s[28:29]
	v_mul_f32_e32 v0, v2, v1
	v_and_b32_e32 v20, 0x7f800000, v0
	v_cmp_ne_u64_e32 vcc, s[62:63], v[20:21]
                                        ; implicit-def: $vgpr15
	s_and_saveexec_b64 s[28:29], vcc
	s_xor_b64 s[34:35], exec, s[28:29]
	s_cbranch_execz .LBB6_10254
; %bb.10237:                            ;   in Loop: Header=BB6_9456 Depth=3
	v_and_b32_e32 v20, 0x7fffffff, v0
	v_cmp_gt_u64_e32 vcc, s[78:79], v[20:21]
	v_and_b32_sdwa v17, v0, s80 dst_sel:DWORD dst_unused:UNUSED_PAD src0_sel:BYTE_3 src1_sel:DWORD
                                        ; implicit-def: $vgpr15
	s_and_saveexec_b64 s[28:29], vcc
	s_xor_b64 s[36:37], exec, s[28:29]
	s_cbranch_execz .LBB6_10251
; %bb.10238:                            ;   in Loop: Header=BB6_9456 Depth=3
	v_cmp_ne_u32_e32 vcc, 0, v0
	v_mov_b32_e32 v15, 0
	s_and_saveexec_b64 s[38:39], vcc
	s_cbranch_execz .LBB6_10250
; %bb.10239:                            ;   in Loop: Header=BB6_9456 Depth=3
	v_bfe_u32 v15, v0, 23, 8
	v_and_b32_e32 v1, 0x7fffff, v0
	v_cmp_gt_u32_e64 s[28:29], s47, v15
	v_sub_u32_e32 v0, 0x79, v15
	v_cmp_eq_u32_e32 vcc, 0, v15
	v_cndmask_b32_e64 v0, 0, v0, s[28:29]
	v_mov_b32_e32 v18, 0x78
	v_cndmask_b32_e32 v18, v0, v18, vcc
	v_or_b32_e32 v2, 0x800000, v1
	v_add_u32_e32 v0, 20, v18
	v_cndmask_b32_e32 v20, v2, v1, vcc
	v_lshlrev_b64 v[0:1], v0, -1
	v_add_u32_e32 v2, 19, v18
	v_lshlrev_b64 v[23:24], v2, 1
	v_bfi_b32 v1, v1, 0, 0
	v_bfi_b32 v0, v0, 0, v20
	v_cmp_eq_u64_e64 s[28:29], v[0:1], v[23:24]
	v_lshrrev_b64 v[0:1], v18, v[20:21]
	v_mov_b32_e32 v2, v1
	v_mov_b32_e32 v1, v0
	s_and_saveexec_b64 s[48:49], s[28:29]
; %bb.10240:                            ;   in Loop: Header=BB6_9456 Depth=3
	v_bfe_u32 v1, v0, 20, 1
	v_add_co_u32_e64 v1, s[28:29], v0, v1
	v_add_co_u32_e64 v1, s[28:29], -1, v1
; %bb.10241:                            ;   in Loop: Header=BB6_9456 Depth=3
	s_or_b64 exec, exec, s[48:49]
	v_add_u32_e32 v2, 0xffffff81, v15
	v_mov_b32_e32 v15, 0xffffff82
	v_cndmask_b32_e32 v2, v2, v15, vcc
	v_lshrrev_b32_e32 v15, 23, v0
	v_add3_u32 v18, v18, v2, v15
	v_add_u32_e32 v15, 6, v18
	v_and_b32_e32 v1, 0xfffff, v1
	v_add_u32_e32 v20, v1, v0
	v_cmp_ne_u32_e32 vcc, 0, v15
                                        ; implicit-def: $vgpr0_vgpr1
                                        ; implicit-def: $vgpr2
	s_and_saveexec_b64 s[28:29], vcc
	s_xor_b64 s[28:29], exec, s[28:29]
; %bb.10242:                            ;   in Loop: Header=BB6_9456 Depth=3
	v_cmp_lt_u64_e32 vcc, s[88:89], v[20:21]
	v_add_u32_e32 v0, 7, v18
	v_cndmask_b32_e32 v2, v15, v0, vcc
	v_cndmask_b32_e64 v0, 0, 1, vcc
	v_lshrrev_b64 v[0:1], v0, v[20:21]
; %bb.10243:                            ;   in Loop: Header=BB6_9456 Depth=3
	s_andn2_saveexec_b64 s[28:29], s[28:29]
; %bb.10244:                            ;   in Loop: Header=BB6_9456 Depth=3
	v_mov_b32_e32 v0, v20
	v_bfe_u32 v2, v20, 23, 1
	v_mov_b32_e32 v1, v21
; %bb.10245:                            ;   in Loop: Header=BB6_9456 Depth=3
	s_or_b64 exec, exec, s[28:29]
	v_lshrrev_b64 v[0:1], 20, v[0:1]
	v_cmp_gt_i32_e32 vcc, 16, v2
	v_cndmask_b32_e32 v1, 0, v1, vcc
	v_cndmask_b32_e32 v0, 7, v0, vcc
	v_cmp_ne_u64_e32 vcc, 0, v[0:1]
	v_cmp_ne_u32_e64 s[28:29], 0, v2
	s_or_b64 s[28:29], s[28:29], vcc
                                        ; implicit-def: $vgpr15
	s_and_saveexec_b64 vcc, s[28:29]
	s_xor_b64 s[28:29], exec, vcc
; %bb.10246:                            ;   in Loop: Header=BB6_9456 Depth=3
	v_min_i32_e32 v1, 15, v2
	v_lshl_or_b32 v1, v1, 3, v17
	v_and_or_b32 v15, v0, 7, v1
                                        ; implicit-def: $vgpr17
; %bb.10247:                            ;   in Loop: Header=BB6_9456 Depth=3
	s_andn2_saveexec_b64 s[28:29], s[28:29]
; %bb.10248:                            ;   in Loop: Header=BB6_9456 Depth=3
	v_mov_b32_e32 v15, v17
; %bb.10249:                            ;   in Loop: Header=BB6_9456 Depth=3
	s_or_b64 exec, exec, s[28:29]
.LBB6_10250:                            ;   in Loop: Header=BB6_9456 Depth=3
	s_or_b64 exec, exec, s[38:39]
                                        ; implicit-def: $vgpr17
.LBB6_10251:                            ;   in Loop: Header=BB6_9456 Depth=3
	s_andn2_saveexec_b64 s[28:29], s[36:37]
; %bb.10252:                            ;   in Loop: Header=BB6_9456 Depth=3
	v_or_b32_e32 v15, 0x7e, v17
; %bb.10253:                            ;   in Loop: Header=BB6_9456 Depth=3
	s_or_b64 exec, exec, s[28:29]
                                        ; implicit-def: $vgpr0
.LBB6_10254:                            ;   in Loop: Header=BB6_9456 Depth=3
	s_andn2_saveexec_b64 s[28:29], s[34:35]
; %bb.10255:                            ;   in Loop: Header=BB6_9456 Depth=3
	v_or_b32_sdwa v15, v0, s81 dst_sel:DWORD dst_unused:UNUSED_PAD src0_sel:BYTE_3 src1_sel:DWORD
; %bb.10256:                            ;   in Loop: Header=BB6_9456 Depth=3
	s_or_b64 exec, exec, s[28:29]
	buffer_load_dword v0, off, s[0:3], s33 offset:140 ; 4-byte Folded Reload
	v_mov_b32_e32 v1, 0
	v_mov_b32_e32 v2, 0
	s_waitcnt vmcnt(0)
	v_and_b32_e32 v0, 0xff, v0
	v_cmp_ne_u16_e32 vcc, 0, v0
	s_and_saveexec_b64 s[28:29], vcc
	s_cbranch_execz .LBB6_10262
; %bb.10257:                            ;   in Loop: Header=BB6_9456 Depth=3
	v_cmp_ne_u16_e32 vcc, s80, v0
	v_bfrev_b32_e32 v2, 1
	s_and_saveexec_b64 s[34:35], vcc
	s_cbranch_execz .LBB6_10261
; %bb.10258:                            ;   in Loop: Header=BB6_9456 Depth=3
	buffer_load_dword v24, off, s[0:3], s33 offset:140 ; 4-byte Folded Reload
	v_mov_b32_e32 v2, 0x7f800001
	s_waitcnt vmcnt(0)
	v_and_b32_e32 v17, 0x7f, v24
	v_cmp_ne_u32_e32 vcc, s81, v17
	s_and_saveexec_b64 s[36:37], vcc
	s_cbranch_execz .LBB6_10260
; %bb.10259:                            ;   in Loop: Header=BB6_9456 Depth=3
	v_and_b32_e32 v2, 7, v0
	v_lshrrev_b32_e32 v20, 3, v17
	v_cmp_gt_u32_e32 vcc, 8, v17
	v_ffbh_u32_e32 v17, v2
	v_min_u32_e32 v23, 32, v17
	v_subrev_u32_e32 v17, 28, v23
	v_lshlrev_b64 v[17:18], v17, v[0:1]
	v_sub_u32_e32 v0, 29, v23
	v_and_b32_e32 v17, 7, v17
	v_cndmask_b32_e32 v0, v20, v0, vcc
	v_cndmask_b32_e32 v2, v2, v17, vcc
	v_lshlrev_b32_e32 v17, 24, v24
	v_bfrev_b32_e32 v18, 60
	v_lshlrev_b32_e32 v2, 20, v2
	v_and_b32_e32 v17, 0x80000000, v17
	v_lshl_add_u32 v0, v0, 23, v18
	v_or3_b32 v2, v17, v0, v2
.LBB6_10260:                            ;   in Loop: Header=BB6_9456 Depth=3
	s_or_b64 exec, exec, s[36:37]
.LBB6_10261:                            ;   in Loop: Header=BB6_9456 Depth=3
	s_or_b64 exec, exec, s[34:35]
.LBB6_10262:                            ;   in Loop: Header=BB6_9456 Depth=3
	s_or_b64 exec, exec, s[28:29]
	buffer_load_dword v0, off, s[0:3], s33 offset:136 ; 4-byte Folded Reload
	s_waitcnt vmcnt(0)
	v_and_b32_e32 v0, 0xff, v0
	v_cmp_ne_u16_e32 vcc, 0, v0
	s_and_saveexec_b64 s[28:29], vcc
	s_cbranch_execz .LBB6_10268
; %bb.10263:                            ;   in Loop: Header=BB6_9456 Depth=3
	v_cmp_ne_u16_e32 vcc, s80, v0
	v_bfrev_b32_e32 v1, 1
	s_and_saveexec_b64 s[34:35], vcc
	s_cbranch_execz .LBB6_10267
; %bb.10264:                            ;   in Loop: Header=BB6_9456 Depth=3
	buffer_load_dword v23, off, s[0:3], s33 offset:136 ; 4-byte Folded Reload
	v_mov_b32_e32 v1, 0x7f800001
	s_waitcnt vmcnt(0)
	v_and_b32_e32 v17, 0x7f, v23
	v_cmp_ne_u32_e32 vcc, s81, v17
	s_and_saveexec_b64 s[36:37], vcc
	s_cbranch_execz .LBB6_10266
; %bb.10265:                            ;   in Loop: Header=BB6_9456 Depth=3
	v_and_b32_e32 v18, 7, v0
	v_ffbh_u32_e32 v1, v18
	v_lshrrev_b32_e32 v20, 3, v17
	v_cmp_gt_u32_e32 vcc, 8, v17
	v_min_u32_e32 v17, 32, v1
	v_subrev_u32_e32 v1, 28, v17
	v_lshlrev_b64 v[0:1], v1, v[0:1]
	v_sub_u32_e32 v1, 29, v17
	v_and_b32_e32 v0, 7, v0
	v_cndmask_b32_e32 v1, v20, v1, vcc
	v_cndmask_b32_e32 v0, v18, v0, vcc
	v_lshlrev_b32_e32 v17, 24, v23
	v_bfrev_b32_e32 v18, 60
	v_lshlrev_b32_e32 v0, 20, v0
	v_and_b32_e32 v17, 0x80000000, v17
	v_lshl_add_u32 v1, v1, 23, v18
	v_or3_b32 v1, v17, v1, v0
.LBB6_10266:                            ;   in Loop: Header=BB6_9456 Depth=3
	s_or_b64 exec, exec, s[36:37]
.LBB6_10267:                            ;   in Loop: Header=BB6_9456 Depth=3
	s_or_b64 exec, exec, s[34:35]
.LBB6_10268:                            ;   in Loop: Header=BB6_9456 Depth=3
	s_or_b64 exec, exec, s[28:29]
	v_mul_f32_e32 v0, v2, v1
	v_and_b32_e32 v20, 0x7f800000, v0
	v_cmp_ne_u64_e32 vcc, s[62:63], v[20:21]
                                        ; implicit-def: $vgpr17
	s_and_saveexec_b64 s[28:29], vcc
	s_xor_b64 s[34:35], exec, s[28:29]
	s_cbranch_execz .LBB6_10286
; %bb.10269:                            ;   in Loop: Header=BB6_9456 Depth=3
	v_and_b32_e32 v20, 0x7fffffff, v0
	v_cmp_gt_u64_e32 vcc, s[78:79], v[20:21]
	v_and_b32_sdwa v18, v0, s80 dst_sel:DWORD dst_unused:UNUSED_PAD src0_sel:BYTE_3 src1_sel:DWORD
                                        ; implicit-def: $vgpr17
	s_and_saveexec_b64 s[28:29], vcc
	s_xor_b64 s[36:37], exec, s[28:29]
	s_cbranch_execz .LBB6_10283
; %bb.10270:                            ;   in Loop: Header=BB6_9456 Depth=3
	v_cmp_ne_u32_e32 vcc, 0, v0
	v_mov_b32_e32 v17, 0
	s_and_saveexec_b64 s[38:39], vcc
	s_cbranch_execz .LBB6_10282
; %bb.10271:                            ;   in Loop: Header=BB6_9456 Depth=3
	v_bfe_u32 v17, v0, 23, 8
	v_and_b32_e32 v1, 0x7fffff, v0
	v_cmp_gt_u32_e64 s[28:29], s47, v17
	v_sub_u32_e32 v0, 0x79, v17
	v_cmp_eq_u32_e32 vcc, 0, v17
	v_cndmask_b32_e64 v0, 0, v0, s[28:29]
	v_mov_b32_e32 v20, 0x78
	v_cndmask_b32_e32 v23, v0, v20, vcc
	v_or_b32_e32 v2, 0x800000, v1
	v_add_u32_e32 v0, 20, v23
	v_cndmask_b32_e32 v20, v2, v1, vcc
	v_lshlrev_b64 v[0:1], v0, -1
	v_add_u32_e32 v2, 19, v23
	v_lshlrev_b64 v[26:27], v2, 1
	v_bfi_b32 v1, v1, 0, 0
	v_bfi_b32 v0, v0, 0, v20
	v_cmp_eq_u64_e64 s[28:29], v[0:1], v[26:27]
	v_lshrrev_b64 v[0:1], v23, v[20:21]
	v_mov_b32_e32 v2, v1
	v_mov_b32_e32 v1, v0
	s_and_saveexec_b64 s[48:49], s[28:29]
; %bb.10272:                            ;   in Loop: Header=BB6_9456 Depth=3
	v_bfe_u32 v1, v0, 20, 1
	v_add_co_u32_e64 v1, s[28:29], v0, v1
	v_add_co_u32_e64 v1, s[28:29], -1, v1
; %bb.10273:                            ;   in Loop: Header=BB6_9456 Depth=3
	s_or_b64 exec, exec, s[48:49]
	v_add_u32_e32 v2, 0xffffff81, v17
	v_mov_b32_e32 v17, 0xffffff82
	v_cndmask_b32_e32 v2, v2, v17, vcc
	v_lshrrev_b32_e32 v17, 23, v0
	v_add3_u32 v23, v23, v2, v17
	v_add_u32_e32 v17, 6, v23
	v_and_b32_e32 v1, 0xfffff, v1
	v_add_u32_e32 v20, v1, v0
	v_cmp_ne_u32_e32 vcc, 0, v17
                                        ; implicit-def: $vgpr0_vgpr1
                                        ; implicit-def: $vgpr2
	s_and_saveexec_b64 s[28:29], vcc
	s_xor_b64 s[28:29], exec, s[28:29]
; %bb.10274:                            ;   in Loop: Header=BB6_9456 Depth=3
	v_cmp_lt_u64_e32 vcc, s[88:89], v[20:21]
	v_add_u32_e32 v0, 7, v23
	v_cndmask_b32_e32 v2, v17, v0, vcc
	v_cndmask_b32_e64 v0, 0, 1, vcc
	v_lshrrev_b64 v[0:1], v0, v[20:21]
; %bb.10275:                            ;   in Loop: Header=BB6_9456 Depth=3
	s_andn2_saveexec_b64 s[28:29], s[28:29]
; %bb.10276:                            ;   in Loop: Header=BB6_9456 Depth=3
	v_mov_b32_e32 v0, v20
	v_bfe_u32 v2, v20, 23, 1
	v_mov_b32_e32 v1, v21
; %bb.10277:                            ;   in Loop: Header=BB6_9456 Depth=3
	s_or_b64 exec, exec, s[28:29]
	v_lshrrev_b64 v[0:1], 20, v[0:1]
	v_cmp_gt_i32_e32 vcc, 16, v2
	v_cndmask_b32_e32 v1, 0, v1, vcc
	v_cndmask_b32_e32 v0, 7, v0, vcc
	v_cmp_ne_u64_e32 vcc, 0, v[0:1]
	v_cmp_ne_u32_e64 s[28:29], 0, v2
	s_or_b64 s[28:29], s[28:29], vcc
                                        ; implicit-def: $vgpr17
	s_and_saveexec_b64 vcc, s[28:29]
	s_xor_b64 s[28:29], exec, vcc
; %bb.10278:                            ;   in Loop: Header=BB6_9456 Depth=3
	v_min_i32_e32 v1, 15, v2
	v_lshl_or_b32 v1, v1, 3, v18
	v_and_or_b32 v17, v0, 7, v1
                                        ; implicit-def: $vgpr18
; %bb.10279:                            ;   in Loop: Header=BB6_9456 Depth=3
	s_andn2_saveexec_b64 s[28:29], s[28:29]
; %bb.10280:                            ;   in Loop: Header=BB6_9456 Depth=3
	v_mov_b32_e32 v17, v18
; %bb.10281:                            ;   in Loop: Header=BB6_9456 Depth=3
	s_or_b64 exec, exec, s[28:29]
.LBB6_10282:                            ;   in Loop: Header=BB6_9456 Depth=3
	s_or_b64 exec, exec, s[38:39]
                                        ; implicit-def: $vgpr18
.LBB6_10283:                            ;   in Loop: Header=BB6_9456 Depth=3
	s_andn2_saveexec_b64 s[28:29], s[36:37]
; %bb.10284:                            ;   in Loop: Header=BB6_9456 Depth=3
	v_or_b32_e32 v17, 0x7e, v18
; %bb.10285:                            ;   in Loop: Header=BB6_9456 Depth=3
	s_or_b64 exec, exec, s[28:29]
                                        ; implicit-def: $vgpr0
.LBB6_10286:                            ;   in Loop: Header=BB6_9456 Depth=3
	s_andn2_saveexec_b64 s[28:29], s[34:35]
; %bb.10287:                            ;   in Loop: Header=BB6_9456 Depth=3
	v_or_b32_sdwa v17, v0, s81 dst_sel:DWORD dst_unused:UNUSED_PAD src0_sel:BYTE_3 src1_sel:DWORD
; %bb.10288:                            ;   in Loop: Header=BB6_9456 Depth=3
	s_or_b64 exec, exec, s[28:29]
	buffer_load_dword v0, off, s[0:3], s33 offset:132 ; 4-byte Folded Reload
	v_mov_b32_e32 v1, 0
	v_mov_b32_e32 v2, 0
	s_waitcnt vmcnt(0)
	v_and_b32_e32 v0, 0xff, v0
	v_cmp_ne_u16_e32 vcc, 0, v0
	s_and_saveexec_b64 s[28:29], vcc
	s_cbranch_execz .LBB6_10294
; %bb.10289:                            ;   in Loop: Header=BB6_9456 Depth=3
	v_cmp_ne_u16_e32 vcc, s80, v0
	v_bfrev_b32_e32 v2, 1
	s_and_saveexec_b64 s[34:35], vcc
	s_cbranch_execz .LBB6_10293
; %bb.10290:                            ;   in Loop: Header=BB6_9456 Depth=3
	buffer_load_dword v26, off, s[0:3], s33 offset:132 ; 4-byte Folded Reload
	v_mov_b32_e32 v2, 0x7f800001
	s_waitcnt vmcnt(0)
	v_and_b32_e32 v18, 0x7f, v26
	v_cmp_ne_u32_e32 vcc, s81, v18
	s_and_saveexec_b64 s[36:37], vcc
	s_cbranch_execz .LBB6_10292
; %bb.10291:                            ;   in Loop: Header=BB6_9456 Depth=3
	v_and_b32_e32 v2, 7, v0
	v_lshrrev_b32_e32 v20, 3, v18
	v_cmp_gt_u32_e32 vcc, 8, v18
	v_ffbh_u32_e32 v18, v2
	v_min_u32_e32 v18, 32, v18
	v_subrev_u32_e32 v23, 28, v18
	v_lshlrev_b64 v[23:24], v23, v[0:1]
	v_sub_u32_e32 v0, 29, v18
	v_and_b32_e32 v18, 7, v23
	v_cndmask_b32_e32 v0, v20, v0, vcc
	v_cndmask_b32_e32 v2, v2, v18, vcc
	v_lshlrev_b32_e32 v18, 24, v26
	v_bfrev_b32_e32 v20, 60
	v_lshlrev_b32_e32 v2, 20, v2
	v_and_b32_e32 v18, 0x80000000, v18
	v_lshl_add_u32 v0, v0, 23, v20
	v_or3_b32 v2, v18, v0, v2
.LBB6_10292:                            ;   in Loop: Header=BB6_9456 Depth=3
	s_or_b64 exec, exec, s[36:37]
.LBB6_10293:                            ;   in Loop: Header=BB6_9456 Depth=3
	s_or_b64 exec, exec, s[34:35]
.LBB6_10294:                            ;   in Loop: Header=BB6_9456 Depth=3
	s_or_b64 exec, exec, s[28:29]
	buffer_load_dword v0, off, s[0:3], s33 offset:128 ; 4-byte Folded Reload
	s_waitcnt vmcnt(0)
	v_and_b32_e32 v0, 0xff, v0
	v_cmp_ne_u16_e32 vcc, 0, v0
	s_and_saveexec_b64 s[28:29], vcc
	s_cbranch_execz .LBB6_10300
; %bb.10295:                            ;   in Loop: Header=BB6_9456 Depth=3
	v_cmp_ne_u16_e32 vcc, s80, v0
	v_bfrev_b32_e32 v1, 1
	s_and_saveexec_b64 s[34:35], vcc
	s_cbranch_execz .LBB6_10299
; %bb.10296:                            ;   in Loop: Header=BB6_9456 Depth=3
	buffer_load_dword v24, off, s[0:3], s33 offset:128 ; 4-byte Folded Reload
	v_mov_b32_e32 v1, 0x7f800001
	s_waitcnt vmcnt(0)
	v_and_b32_e32 v18, 0x7f, v24
	v_cmp_ne_u32_e32 vcc, s81, v18
	s_and_saveexec_b64 s[36:37], vcc
	s_cbranch_execz .LBB6_10298
; %bb.10297:                            ;   in Loop: Header=BB6_9456 Depth=3
	v_and_b32_e32 v20, 7, v0
	v_ffbh_u32_e32 v1, v20
	v_lshrrev_b32_e32 v23, 3, v18
	v_cmp_gt_u32_e32 vcc, 8, v18
	v_min_u32_e32 v18, 32, v1
	v_subrev_u32_e32 v1, 28, v18
	v_lshlrev_b64 v[0:1], v1, v[0:1]
	v_sub_u32_e32 v1, 29, v18
	v_and_b32_e32 v0, 7, v0
	v_cndmask_b32_e32 v1, v23, v1, vcc
	v_cndmask_b32_e32 v0, v20, v0, vcc
	v_lshlrev_b32_e32 v18, 24, v24
	v_bfrev_b32_e32 v20, 60
	v_lshlrev_b32_e32 v0, 20, v0
	v_and_b32_e32 v18, 0x80000000, v18
	v_lshl_add_u32 v1, v1, 23, v20
	v_or3_b32 v1, v18, v1, v0
.LBB6_10298:                            ;   in Loop: Header=BB6_9456 Depth=3
	s_or_b64 exec, exec, s[36:37]
.LBB6_10299:                            ;   in Loop: Header=BB6_9456 Depth=3
	s_or_b64 exec, exec, s[34:35]
.LBB6_10300:                            ;   in Loop: Header=BB6_9456 Depth=3
	s_or_b64 exec, exec, s[28:29]
	v_mul_f32_e32 v0, v2, v1
	v_and_b32_e32 v20, 0x7f800000, v0
	v_cmp_ne_u64_e32 vcc, s[62:63], v[20:21]
                                        ; implicit-def: $vgpr18
	s_and_saveexec_b64 s[28:29], vcc
	s_xor_b64 s[34:35], exec, s[28:29]
	s_cbranch_execz .LBB6_10318
; %bb.10301:                            ;   in Loop: Header=BB6_9456 Depth=3
	v_and_b32_e32 v20, 0x7fffffff, v0
	v_cmp_gt_u64_e32 vcc, s[78:79], v[20:21]
	v_and_b32_sdwa v23, v0, s80 dst_sel:DWORD dst_unused:UNUSED_PAD src0_sel:BYTE_3 src1_sel:DWORD
                                        ; implicit-def: $vgpr18
	s_and_saveexec_b64 s[28:29], vcc
	s_xor_b64 s[36:37], exec, s[28:29]
	s_cbranch_execz .LBB6_10315
; %bb.10302:                            ;   in Loop: Header=BB6_9456 Depth=3
	v_cmp_ne_u32_e32 vcc, 0, v0
	v_mov_b32_e32 v18, 0
	s_and_saveexec_b64 s[38:39], vcc
	s_cbranch_execz .LBB6_10314
; %bb.10303:                            ;   in Loop: Header=BB6_9456 Depth=3
	v_bfe_u32 v18, v0, 23, 8
	v_and_b32_e32 v1, 0x7fffff, v0
	v_cmp_gt_u32_e64 s[28:29], s47, v18
	v_sub_u32_e32 v0, 0x79, v18
	v_cmp_eq_u32_e32 vcc, 0, v18
	v_cndmask_b32_e64 v0, 0, v0, s[28:29]
	v_mov_b32_e32 v20, 0x78
	v_cndmask_b32_e32 v24, v0, v20, vcc
	v_or_b32_e32 v2, 0x800000, v1
	v_add_u32_e32 v0, 20, v24
	v_cndmask_b32_e32 v20, v2, v1, vcc
	v_lshlrev_b64 v[0:1], v0, -1
	v_add_u32_e32 v2, 19, v24
	v_lshlrev_b64 v[26:27], v2, 1
	v_bfi_b32 v1, v1, 0, 0
	v_bfi_b32 v0, v0, 0, v20
	v_cmp_eq_u64_e64 s[28:29], v[0:1], v[26:27]
	v_lshrrev_b64 v[0:1], v24, v[20:21]
	v_mov_b32_e32 v2, v1
	v_mov_b32_e32 v1, v0
	s_and_saveexec_b64 s[48:49], s[28:29]
; %bb.10304:                            ;   in Loop: Header=BB6_9456 Depth=3
	v_bfe_u32 v1, v0, 20, 1
	v_add_co_u32_e64 v1, s[28:29], v0, v1
	v_add_co_u32_e64 v1, s[28:29], -1, v1
; %bb.10305:                            ;   in Loop: Header=BB6_9456 Depth=3
	s_or_b64 exec, exec, s[48:49]
	v_add_u32_e32 v2, 0xffffff81, v18
	v_mov_b32_e32 v18, 0xffffff82
	v_cndmask_b32_e32 v2, v2, v18, vcc
	v_lshrrev_b32_e32 v18, 23, v0
	v_add3_u32 v24, v24, v2, v18
	v_add_u32_e32 v18, 6, v24
	v_and_b32_e32 v1, 0xfffff, v1
	v_add_u32_e32 v20, v1, v0
	v_cmp_ne_u32_e32 vcc, 0, v18
                                        ; implicit-def: $vgpr0_vgpr1
                                        ; implicit-def: $vgpr2
	s_and_saveexec_b64 s[28:29], vcc
	s_xor_b64 s[28:29], exec, s[28:29]
; %bb.10306:                            ;   in Loop: Header=BB6_9456 Depth=3
	v_cmp_lt_u64_e32 vcc, s[88:89], v[20:21]
	v_add_u32_e32 v0, 7, v24
	v_cndmask_b32_e32 v2, v18, v0, vcc
	v_cndmask_b32_e64 v0, 0, 1, vcc
	v_lshrrev_b64 v[0:1], v0, v[20:21]
; %bb.10307:                            ;   in Loop: Header=BB6_9456 Depth=3
	s_andn2_saveexec_b64 s[28:29], s[28:29]
; %bb.10308:                            ;   in Loop: Header=BB6_9456 Depth=3
	v_mov_b32_e32 v0, v20
	v_bfe_u32 v2, v20, 23, 1
	v_mov_b32_e32 v1, v21
; %bb.10309:                            ;   in Loop: Header=BB6_9456 Depth=3
	s_or_b64 exec, exec, s[28:29]
	v_lshrrev_b64 v[0:1], 20, v[0:1]
	v_cmp_gt_i32_e32 vcc, 16, v2
	v_cndmask_b32_e32 v1, 0, v1, vcc
	v_cndmask_b32_e32 v0, 7, v0, vcc
	v_cmp_ne_u64_e32 vcc, 0, v[0:1]
	v_cmp_ne_u32_e64 s[28:29], 0, v2
	s_or_b64 s[28:29], s[28:29], vcc
                                        ; implicit-def: $vgpr18
	s_and_saveexec_b64 vcc, s[28:29]
	s_xor_b64 s[28:29], exec, vcc
; %bb.10310:                            ;   in Loop: Header=BB6_9456 Depth=3
	v_min_i32_e32 v1, 15, v2
	v_lshl_or_b32 v1, v1, 3, v23
	v_and_or_b32 v18, v0, 7, v1
                                        ; implicit-def: $vgpr23
; %bb.10311:                            ;   in Loop: Header=BB6_9456 Depth=3
	s_andn2_saveexec_b64 s[28:29], s[28:29]
; %bb.10312:                            ;   in Loop: Header=BB6_9456 Depth=3
	v_mov_b32_e32 v18, v23
; %bb.10313:                            ;   in Loop: Header=BB6_9456 Depth=3
	s_or_b64 exec, exec, s[28:29]
.LBB6_10314:                            ;   in Loop: Header=BB6_9456 Depth=3
	s_or_b64 exec, exec, s[38:39]
                                        ; implicit-def: $vgpr23
.LBB6_10315:                            ;   in Loop: Header=BB6_9456 Depth=3
	s_andn2_saveexec_b64 s[28:29], s[36:37]
; %bb.10316:                            ;   in Loop: Header=BB6_9456 Depth=3
	v_or_b32_e32 v18, 0x7e, v23
; %bb.10317:                            ;   in Loop: Header=BB6_9456 Depth=3
	s_or_b64 exec, exec, s[28:29]
                                        ; implicit-def: $vgpr0
.LBB6_10318:                            ;   in Loop: Header=BB6_9456 Depth=3
	s_andn2_saveexec_b64 s[28:29], s[34:35]
; %bb.10319:                            ;   in Loop: Header=BB6_9456 Depth=3
	v_or_b32_sdwa v18, v0, s81 dst_sel:DWORD dst_unused:UNUSED_PAD src0_sel:BYTE_3 src1_sel:DWORD
; %bb.10320:                            ;   in Loop: Header=BB6_9456 Depth=3
	s_or_b64 exec, exec, s[28:29]
	buffer_load_dword v0, off, s[0:3], s33 offset:124 ; 4-byte Folded Reload
	v_mov_b32_e32 v1, 0
	v_mov_b32_e32 v2, 0
	s_waitcnt vmcnt(0)
	v_and_b32_e32 v0, 0xff, v0
	v_cmp_ne_u16_e32 vcc, 0, v0
	s_and_saveexec_b64 s[28:29], vcc
	s_cbranch_execz .LBB6_10326
; %bb.10321:                            ;   in Loop: Header=BB6_9456 Depth=3
	v_cmp_ne_u16_e32 vcc, s80, v0
	v_bfrev_b32_e32 v2, 1
	s_and_saveexec_b64 s[34:35], vcc
	s_cbranch_execz .LBB6_10325
; %bb.10322:                            ;   in Loop: Header=BB6_9456 Depth=3
	buffer_load_dword v27, off, s[0:3], s33 offset:124 ; 4-byte Folded Reload
	v_mov_b32_e32 v2, 0x7f800001
	s_waitcnt vmcnt(0)
	v_and_b32_e32 v20, 0x7f, v27
	v_cmp_ne_u32_e32 vcc, s81, v20
	s_and_saveexec_b64 s[36:37], vcc
	s_cbranch_execz .LBB6_10324
; %bb.10323:                            ;   in Loop: Header=BB6_9456 Depth=3
	v_and_b32_e32 v2, 7, v0
	v_lshrrev_b32_e32 v26, 3, v20
	v_cmp_gt_u32_e32 vcc, 8, v20
	v_ffbh_u32_e32 v20, v2
	v_min_u32_e32 v20, 32, v20
	v_subrev_u32_e32 v23, 28, v20
	v_lshlrev_b64 v[23:24], v23, v[0:1]
	v_sub_u32_e32 v0, 29, v20
	v_and_b32_e32 v20, 7, v23
	v_cndmask_b32_e32 v0, v26, v0, vcc
	v_cndmask_b32_e32 v2, v2, v20, vcc
	v_lshlrev_b32_e32 v20, 24, v27
	v_bfrev_b32_e32 v23, 60
	v_lshlrev_b32_e32 v2, 20, v2
	v_and_b32_e32 v20, 0x80000000, v20
	v_lshl_add_u32 v0, v0, 23, v23
	v_or3_b32 v2, v20, v0, v2
.LBB6_10324:                            ;   in Loop: Header=BB6_9456 Depth=3
	s_or_b64 exec, exec, s[36:37]
.LBB6_10325:                            ;   in Loop: Header=BB6_9456 Depth=3
	s_or_b64 exec, exec, s[34:35]
.LBB6_10326:                            ;   in Loop: Header=BB6_9456 Depth=3
	s_or_b64 exec, exec, s[28:29]
	buffer_load_dword v0, off, s[0:3], s33 offset:120 ; 4-byte Folded Reload
	s_waitcnt vmcnt(0)
	v_and_b32_e32 v0, 0xff, v0
	v_cmp_ne_u16_e32 vcc, 0, v0
	s_and_saveexec_b64 s[28:29], vcc
	s_cbranch_execz .LBB6_10332
; %bb.10327:                            ;   in Loop: Header=BB6_9456 Depth=3
	v_cmp_ne_u16_e32 vcc, s80, v0
	v_bfrev_b32_e32 v1, 1
	s_and_saveexec_b64 s[34:35], vcc
	s_cbranch_execz .LBB6_10331
; %bb.10328:                            ;   in Loop: Header=BB6_9456 Depth=3
	buffer_load_dword v26, off, s[0:3], s33 offset:120 ; 4-byte Folded Reload
	v_mov_b32_e32 v1, 0x7f800001
	s_waitcnt vmcnt(0)
	v_and_b32_e32 v20, 0x7f, v26
	v_cmp_ne_u32_e32 vcc, s81, v20
	s_and_saveexec_b64 s[36:37], vcc
	s_cbranch_execz .LBB6_10330
; %bb.10329:                            ;   in Loop: Header=BB6_9456 Depth=3
	v_and_b32_e32 v23, 7, v0
	v_ffbh_u32_e32 v1, v23
	v_lshrrev_b32_e32 v24, 3, v20
	v_cmp_gt_u32_e32 vcc, 8, v20
	v_min_u32_e32 v20, 32, v1
	v_subrev_u32_e32 v1, 28, v20
	v_lshlrev_b64 v[0:1], v1, v[0:1]
	v_sub_u32_e32 v1, 29, v20
	v_and_b32_e32 v0, 7, v0
	v_cndmask_b32_e32 v1, v24, v1, vcc
	v_cndmask_b32_e32 v0, v23, v0, vcc
	v_lshlrev_b32_e32 v20, 24, v26
	v_bfrev_b32_e32 v23, 60
	v_lshlrev_b32_e32 v0, 20, v0
	v_and_b32_e32 v20, 0x80000000, v20
	v_lshl_add_u32 v1, v1, 23, v23
	v_or3_b32 v1, v20, v1, v0
.LBB6_10330:                            ;   in Loop: Header=BB6_9456 Depth=3
	s_or_b64 exec, exec, s[36:37]
.LBB6_10331:                            ;   in Loop: Header=BB6_9456 Depth=3
	s_or_b64 exec, exec, s[34:35]
.LBB6_10332:                            ;   in Loop: Header=BB6_9456 Depth=3
	s_or_b64 exec, exec, s[28:29]
	v_mul_f32_e32 v0, v2, v1
	v_and_b32_e32 v20, 0x7f800000, v0
	v_cmp_ne_u64_e32 vcc, s[62:63], v[20:21]
                                        ; implicit-def: $vgpr28
	s_and_saveexec_b64 s[28:29], vcc
	s_xor_b64 s[34:35], exec, s[28:29]
	s_cbranch_execz .LBB6_10350
; %bb.10333:                            ;   in Loop: Header=BB6_9456 Depth=3
	v_and_b32_e32 v20, 0x7fffffff, v0
	v_cmp_gt_u64_e32 vcc, s[78:79], v[20:21]
	v_and_b32_sdwa v23, v0, s80 dst_sel:DWORD dst_unused:UNUSED_PAD src0_sel:BYTE_3 src1_sel:DWORD
                                        ; implicit-def: $vgpr28
	s_and_saveexec_b64 s[28:29], vcc
	s_xor_b64 s[36:37], exec, s[28:29]
	s_cbranch_execz .LBB6_10347
; %bb.10334:                            ;   in Loop: Header=BB6_9456 Depth=3
	v_cmp_ne_u32_e32 vcc, 0, v0
	v_mov_b32_e32 v28, 0
	s_and_saveexec_b64 s[38:39], vcc
	s_cbranch_execz .LBB6_10346
; %bb.10335:                            ;   in Loop: Header=BB6_9456 Depth=3
	v_bfe_u32 v24, v0, 23, 8
	v_and_b32_e32 v1, 0x7fffff, v0
	v_cmp_gt_u32_e64 s[28:29], s47, v24
	v_sub_u32_e32 v0, 0x79, v24
	v_cmp_eq_u32_e32 vcc, 0, v24
	v_cndmask_b32_e64 v0, 0, v0, s[28:29]
	v_mov_b32_e32 v20, 0x78
	v_cndmask_b32_e32 v26, v0, v20, vcc
	v_or_b32_e32 v2, 0x800000, v1
	v_add_u32_e32 v0, 20, v26
	v_cndmask_b32_e32 v20, v2, v1, vcc
	v_lshlrev_b64 v[0:1], v0, -1
	v_add_u32_e32 v2, 19, v26
	v_lshlrev_b64 v[27:28], v2, 1
	v_bfi_b32 v1, v1, 0, 0
	v_bfi_b32 v0, v0, 0, v20
	v_cmp_eq_u64_e64 s[28:29], v[0:1], v[27:28]
	v_lshrrev_b64 v[0:1], v26, v[20:21]
	v_mov_b32_e32 v2, v1
	v_mov_b32_e32 v1, v0
	s_and_saveexec_b64 s[48:49], s[28:29]
; %bb.10336:                            ;   in Loop: Header=BB6_9456 Depth=3
	v_bfe_u32 v1, v0, 20, 1
	v_add_co_u32_e64 v1, s[28:29], v0, v1
	v_add_co_u32_e64 v1, s[28:29], -1, v1
; %bb.10337:                            ;   in Loop: Header=BB6_9456 Depth=3
	s_or_b64 exec, exec, s[48:49]
	v_add_u32_e32 v2, 0xffffff81, v24
	v_mov_b32_e32 v20, 0xffffff82
	v_cndmask_b32_e32 v2, v2, v20, vcc
	v_lshrrev_b32_e32 v20, 23, v0
	v_add3_u32 v26, v26, v2, v20
	v_add_u32_e32 v24, 6, v26
	v_and_b32_e32 v1, 0xfffff, v1
	v_add_u32_e32 v20, v1, v0
	v_cmp_ne_u32_e32 vcc, 0, v24
                                        ; implicit-def: $vgpr0_vgpr1
                                        ; implicit-def: $vgpr2
	s_and_saveexec_b64 s[28:29], vcc
	s_xor_b64 s[28:29], exec, s[28:29]
; %bb.10338:                            ;   in Loop: Header=BB6_9456 Depth=3
	v_cmp_lt_u64_e32 vcc, s[88:89], v[20:21]
	v_add_u32_e32 v0, 7, v26
	v_cndmask_b32_e32 v2, v24, v0, vcc
	v_cndmask_b32_e64 v0, 0, 1, vcc
	v_lshrrev_b64 v[0:1], v0, v[20:21]
; %bb.10339:                            ;   in Loop: Header=BB6_9456 Depth=3
	s_andn2_saveexec_b64 s[28:29], s[28:29]
; %bb.10340:                            ;   in Loop: Header=BB6_9456 Depth=3
	v_mov_b32_e32 v0, v20
	v_bfe_u32 v2, v20, 23, 1
	v_mov_b32_e32 v1, v21
; %bb.10341:                            ;   in Loop: Header=BB6_9456 Depth=3
	s_or_b64 exec, exec, s[28:29]
	v_lshrrev_b64 v[0:1], 20, v[0:1]
	v_cmp_gt_i32_e32 vcc, 16, v2
	v_cndmask_b32_e32 v1, 0, v1, vcc
	v_cndmask_b32_e32 v0, 7, v0, vcc
	v_cmp_ne_u64_e32 vcc, 0, v[0:1]
	v_cmp_ne_u32_e64 s[28:29], 0, v2
	s_or_b64 s[28:29], s[28:29], vcc
                                        ; implicit-def: $vgpr28
	s_and_saveexec_b64 vcc, s[28:29]
	s_xor_b64 s[28:29], exec, vcc
; %bb.10342:                            ;   in Loop: Header=BB6_9456 Depth=3
	v_min_i32_e32 v1, 15, v2
	v_lshl_or_b32 v1, v1, 3, v23
	v_and_or_b32 v28, v0, 7, v1
                                        ; implicit-def: $vgpr23
; %bb.10343:                            ;   in Loop: Header=BB6_9456 Depth=3
	s_andn2_saveexec_b64 s[28:29], s[28:29]
; %bb.10344:                            ;   in Loop: Header=BB6_9456 Depth=3
	v_mov_b32_e32 v28, v23
; %bb.10345:                            ;   in Loop: Header=BB6_9456 Depth=3
	s_or_b64 exec, exec, s[28:29]
.LBB6_10346:                            ;   in Loop: Header=BB6_9456 Depth=3
	s_or_b64 exec, exec, s[38:39]
                                        ; implicit-def: $vgpr23
.LBB6_10347:                            ;   in Loop: Header=BB6_9456 Depth=3
	s_andn2_saveexec_b64 s[28:29], s[36:37]
; %bb.10348:                            ;   in Loop: Header=BB6_9456 Depth=3
	v_or_b32_e32 v28, 0x7e, v23
; %bb.10349:                            ;   in Loop: Header=BB6_9456 Depth=3
	s_or_b64 exec, exec, s[28:29]
                                        ; implicit-def: $vgpr0
.LBB6_10350:                            ;   in Loop: Header=BB6_9456 Depth=3
	s_andn2_saveexec_b64 s[28:29], s[34:35]
; %bb.10351:                            ;   in Loop: Header=BB6_9456 Depth=3
	v_or_b32_sdwa v28, v0, s81 dst_sel:DWORD dst_unused:UNUSED_PAD src0_sel:BYTE_3 src1_sel:DWORD
; %bb.10352:                            ;   in Loop: Header=BB6_9456 Depth=3
	s_or_b64 exec, exec, s[28:29]
	buffer_load_dword v0, off, s[0:3], s33 offset:116 ; 4-byte Folded Reload
	v_mov_b32_e32 v1, 0
	v_mov_b32_e32 v2, 0
	s_waitcnt vmcnt(0)
	v_and_b32_e32 v0, 0xff, v0
	v_cmp_ne_u16_e32 vcc, 0, v0
	s_and_saveexec_b64 s[28:29], vcc
	s_cbranch_execz .LBB6_10358
; %bb.10353:                            ;   in Loop: Header=BB6_9456 Depth=3
	v_cmp_ne_u16_e32 vcc, s80, v0
	v_bfrev_b32_e32 v2, 1
	s_and_saveexec_b64 s[34:35], vcc
	s_cbranch_execz .LBB6_10357
; %bb.10354:                            ;   in Loop: Header=BB6_9456 Depth=3
	buffer_load_dword v27, off, s[0:3], s33 offset:116 ; 4-byte Folded Reload
	v_mov_b32_e32 v2, 0x7f800001
	s_waitcnt vmcnt(0)
	v_and_b32_e32 v20, 0x7f, v27
	v_cmp_ne_u32_e32 vcc, s81, v20
	s_and_saveexec_b64 s[36:37], vcc
	s_cbranch_execz .LBB6_10356
; %bb.10355:                            ;   in Loop: Header=BB6_9456 Depth=3
	v_and_b32_e32 v2, 7, v0
	v_lshrrev_b32_e32 v26, 3, v20
	v_cmp_gt_u32_e32 vcc, 8, v20
	v_ffbh_u32_e32 v20, v2
	v_min_u32_e32 v20, 32, v20
	v_subrev_u32_e32 v23, 28, v20
	v_lshlrev_b64 v[23:24], v23, v[0:1]
	v_sub_u32_e32 v0, 29, v20
	v_and_b32_e32 v20, 7, v23
	v_cndmask_b32_e32 v0, v26, v0, vcc
	v_cndmask_b32_e32 v2, v2, v20, vcc
	v_lshlrev_b32_e32 v20, 24, v27
	v_bfrev_b32_e32 v23, 60
	v_lshlrev_b32_e32 v2, 20, v2
	v_and_b32_e32 v20, 0x80000000, v20
	v_lshl_add_u32 v0, v0, 23, v23
	v_or3_b32 v2, v20, v0, v2
.LBB6_10356:                            ;   in Loop: Header=BB6_9456 Depth=3
	s_or_b64 exec, exec, s[36:37]
.LBB6_10357:                            ;   in Loop: Header=BB6_9456 Depth=3
	s_or_b64 exec, exec, s[34:35]
.LBB6_10358:                            ;   in Loop: Header=BB6_9456 Depth=3
	s_or_b64 exec, exec, s[28:29]
	buffer_load_dword v0, off, s[0:3], s33 offset:112 ; 4-byte Folded Reload
	s_waitcnt vmcnt(0)
	v_and_b32_e32 v0, 0xff, v0
	v_cmp_ne_u16_e32 vcc, 0, v0
	s_and_saveexec_b64 s[28:29], vcc
	s_cbranch_execz .LBB6_10364
; %bb.10359:                            ;   in Loop: Header=BB6_9456 Depth=3
	v_cmp_ne_u16_e32 vcc, s80, v0
	v_bfrev_b32_e32 v1, 1
	s_and_saveexec_b64 s[34:35], vcc
	s_cbranch_execz .LBB6_10363
; %bb.10360:                            ;   in Loop: Header=BB6_9456 Depth=3
	buffer_load_dword v26, off, s[0:3], s33 offset:112 ; 4-byte Folded Reload
	v_mov_b32_e32 v1, 0x7f800001
	s_waitcnt vmcnt(0)
	v_and_b32_e32 v20, 0x7f, v26
	v_cmp_ne_u32_e32 vcc, s81, v20
	s_and_saveexec_b64 s[36:37], vcc
	s_cbranch_execz .LBB6_10362
; %bb.10361:                            ;   in Loop: Header=BB6_9456 Depth=3
	v_and_b32_e32 v23, 7, v0
	v_ffbh_u32_e32 v1, v23
	v_lshrrev_b32_e32 v24, 3, v20
	v_cmp_gt_u32_e32 vcc, 8, v20
	v_min_u32_e32 v20, 32, v1
	v_subrev_u32_e32 v1, 28, v20
	v_lshlrev_b64 v[0:1], v1, v[0:1]
	v_sub_u32_e32 v1, 29, v20
	v_and_b32_e32 v0, 7, v0
	v_cndmask_b32_e32 v1, v24, v1, vcc
	v_cndmask_b32_e32 v0, v23, v0, vcc
	v_lshlrev_b32_e32 v20, 24, v26
	v_bfrev_b32_e32 v23, 60
	v_lshlrev_b32_e32 v0, 20, v0
	v_and_b32_e32 v20, 0x80000000, v20
	v_lshl_add_u32 v1, v1, 23, v23
	v_or3_b32 v1, v20, v1, v0
.LBB6_10362:                            ;   in Loop: Header=BB6_9456 Depth=3
	s_or_b64 exec, exec, s[36:37]
.LBB6_10363:                            ;   in Loop: Header=BB6_9456 Depth=3
	s_or_b64 exec, exec, s[34:35]
.LBB6_10364:                            ;   in Loop: Header=BB6_9456 Depth=3
	s_or_b64 exec, exec, s[28:29]
	v_mul_f32_e32 v0, v2, v1
	v_and_b32_e32 v20, 0x7f800000, v0
	v_cmp_ne_u64_e32 vcc, s[62:63], v[20:21]
                                        ; implicit-def: $vgpr23
	s_and_saveexec_b64 s[28:29], vcc
	s_xor_b64 s[34:35], exec, s[28:29]
	s_cbranch_execz .LBB6_10382
; %bb.10365:                            ;   in Loop: Header=BB6_9456 Depth=3
	v_and_b32_e32 v20, 0x7fffffff, v0
	v_cmp_gt_u64_e32 vcc, s[78:79], v[20:21]
	v_and_b32_sdwa v24, v0, s80 dst_sel:DWORD dst_unused:UNUSED_PAD src0_sel:BYTE_3 src1_sel:DWORD
                                        ; implicit-def: $vgpr23
	s_and_saveexec_b64 s[28:29], vcc
	s_xor_b64 s[36:37], exec, s[28:29]
	s_cbranch_execz .LBB6_10379
; %bb.10366:                            ;   in Loop: Header=BB6_9456 Depth=3
	v_cmp_ne_u32_e32 vcc, 0, v0
	v_mov_b32_e32 v23, 0
	s_and_saveexec_b64 s[38:39], vcc
	s_cbranch_execz .LBB6_10378
; %bb.10367:                            ;   in Loop: Header=BB6_9456 Depth=3
	v_bfe_u32 v23, v0, 23, 8
	v_and_b32_e32 v1, 0x7fffff, v0
	v_cmp_gt_u32_e64 s[28:29], s47, v23
	v_sub_u32_e32 v0, 0x79, v23
	v_cmp_eq_u32_e32 vcc, 0, v23
	v_cndmask_b32_e64 v0, 0, v0, s[28:29]
	v_mov_b32_e32 v20, 0x78
	v_cndmask_b32_e32 v26, v0, v20, vcc
	v_or_b32_e32 v2, 0x800000, v1
	v_add_u32_e32 v0, 20, v26
	v_cndmask_b32_e32 v20, v2, v1, vcc
	v_lshlrev_b64 v[0:1], v0, -1
	v_add_u32_e32 v2, 19, v26
	v_lshlrev_b64 v[33:34], v2, 1
	v_bfi_b32 v1, v1, 0, 0
	v_bfi_b32 v0, v0, 0, v20
	v_cmp_eq_u64_e64 s[28:29], v[0:1], v[33:34]
	v_lshrrev_b64 v[0:1], v26, v[20:21]
	v_mov_b32_e32 v2, v1
	v_mov_b32_e32 v1, v0
	s_and_saveexec_b64 s[48:49], s[28:29]
; %bb.10368:                            ;   in Loop: Header=BB6_9456 Depth=3
	v_bfe_u32 v1, v0, 20, 1
	v_add_co_u32_e64 v1, s[28:29], v0, v1
	v_add_co_u32_e64 v1, s[28:29], -1, v1
; %bb.10369:                            ;   in Loop: Header=BB6_9456 Depth=3
	s_or_b64 exec, exec, s[48:49]
	v_add_u32_e32 v2, 0xffffff81, v23
	v_mov_b32_e32 v20, 0xffffff82
	v_cndmask_b32_e32 v2, v2, v20, vcc
	v_lshrrev_b32_e32 v20, 23, v0
	v_add3_u32 v26, v26, v2, v20
	v_add_u32_e32 v23, 6, v26
	v_and_b32_e32 v1, 0xfffff, v1
	v_add_u32_e32 v20, v1, v0
	v_cmp_ne_u32_e32 vcc, 0, v23
                                        ; implicit-def: $vgpr0_vgpr1
                                        ; implicit-def: $vgpr2
	s_and_saveexec_b64 s[28:29], vcc
	s_xor_b64 s[28:29], exec, s[28:29]
; %bb.10370:                            ;   in Loop: Header=BB6_9456 Depth=3
	v_cmp_lt_u64_e32 vcc, s[88:89], v[20:21]
	v_add_u32_e32 v0, 7, v26
	v_cndmask_b32_e32 v2, v23, v0, vcc
	v_cndmask_b32_e64 v0, 0, 1, vcc
	v_lshrrev_b64 v[0:1], v0, v[20:21]
; %bb.10371:                            ;   in Loop: Header=BB6_9456 Depth=3
	s_andn2_saveexec_b64 s[28:29], s[28:29]
; %bb.10372:                            ;   in Loop: Header=BB6_9456 Depth=3
	v_mov_b32_e32 v0, v20
	v_bfe_u32 v2, v20, 23, 1
	v_mov_b32_e32 v1, v21
; %bb.10373:                            ;   in Loop: Header=BB6_9456 Depth=3
	s_or_b64 exec, exec, s[28:29]
	v_lshrrev_b64 v[0:1], 20, v[0:1]
	v_cmp_gt_i32_e32 vcc, 16, v2
	v_cndmask_b32_e32 v1, 0, v1, vcc
	v_cndmask_b32_e32 v0, 7, v0, vcc
	v_cmp_ne_u64_e32 vcc, 0, v[0:1]
	v_cmp_ne_u32_e64 s[28:29], 0, v2
	s_or_b64 s[28:29], s[28:29], vcc
                                        ; implicit-def: $vgpr23
	s_and_saveexec_b64 vcc, s[28:29]
	s_xor_b64 s[28:29], exec, vcc
; %bb.10374:                            ;   in Loop: Header=BB6_9456 Depth=3
	v_min_i32_e32 v1, 15, v2
	v_lshl_or_b32 v1, v1, 3, v24
	v_and_or_b32 v23, v0, 7, v1
                                        ; implicit-def: $vgpr24
; %bb.10375:                            ;   in Loop: Header=BB6_9456 Depth=3
	s_andn2_saveexec_b64 s[28:29], s[28:29]
; %bb.10376:                            ;   in Loop: Header=BB6_9456 Depth=3
	v_mov_b32_e32 v23, v24
; %bb.10377:                            ;   in Loop: Header=BB6_9456 Depth=3
	s_or_b64 exec, exec, s[28:29]
.LBB6_10378:                            ;   in Loop: Header=BB6_9456 Depth=3
	s_or_b64 exec, exec, s[38:39]
                                        ; implicit-def: $vgpr24
.LBB6_10379:                            ;   in Loop: Header=BB6_9456 Depth=3
	s_andn2_saveexec_b64 s[28:29], s[36:37]
; %bb.10380:                            ;   in Loop: Header=BB6_9456 Depth=3
	v_or_b32_e32 v23, 0x7e, v24
; %bb.10381:                            ;   in Loop: Header=BB6_9456 Depth=3
	s_or_b64 exec, exec, s[28:29]
                                        ; implicit-def: $vgpr0
.LBB6_10382:                            ;   in Loop: Header=BB6_9456 Depth=3
	s_andn2_saveexec_b64 s[28:29], s[34:35]
; %bb.10383:                            ;   in Loop: Header=BB6_9456 Depth=3
	v_or_b32_sdwa v23, v0, s81 dst_sel:DWORD dst_unused:UNUSED_PAD src0_sel:BYTE_3 src1_sel:DWORD
; %bb.10384:                            ;   in Loop: Header=BB6_9456 Depth=3
	s_or_b64 exec, exec, s[28:29]
	buffer_load_dword v0, off, s[0:3], s33 offset:108 ; 4-byte Folded Reload
	v_mov_b32_e32 v1, 0
	v_mov_b32_e32 v2, 0
	s_waitcnt vmcnt(0)
	v_and_b32_e32 v0, 0xff, v0
	v_cmp_ne_u16_e32 vcc, 0, v0
	s_and_saveexec_b64 s[28:29], vcc
	s_cbranch_execz .LBB6_10390
; %bb.10385:                            ;   in Loop: Header=BB6_9456 Depth=3
	v_cmp_ne_u16_e32 vcc, s80, v0
	v_bfrev_b32_e32 v2, 1
	s_and_saveexec_b64 s[34:35], vcc
	s_cbranch_execz .LBB6_10389
; %bb.10386:                            ;   in Loop: Header=BB6_9456 Depth=3
	buffer_load_dword v29, off, s[0:3], s33 offset:108 ; 4-byte Folded Reload
	v_mov_b32_e32 v2, 0x7f800001
	s_waitcnt vmcnt(0)
	v_and_b32_e32 v20, 0x7f, v29
	v_cmp_ne_u32_e32 vcc, s81, v20
	s_and_saveexec_b64 s[36:37], vcc
	s_cbranch_execz .LBB6_10388
; %bb.10387:                            ;   in Loop: Header=BB6_9456 Depth=3
	v_and_b32_e32 v2, 7, v0
	v_lshrrev_b32_e32 v24, 3, v20
	v_cmp_gt_u32_e32 vcc, 8, v20
	v_ffbh_u32_e32 v20, v2
	v_min_u32_e32 v20, 32, v20
	v_subrev_u32_e32 v26, 28, v20
	v_lshlrev_b64 v[26:27], v26, v[0:1]
	v_sub_u32_e32 v0, 29, v20
	v_and_b32_e32 v20, 7, v26
	v_cndmask_b32_e32 v0, v24, v0, vcc
	v_cndmask_b32_e32 v2, v2, v20, vcc
	v_lshlrev_b32_e32 v20, 24, v29
	v_bfrev_b32_e32 v24, 60
	v_lshlrev_b32_e32 v2, 20, v2
	v_and_b32_e32 v20, 0x80000000, v20
	v_lshl_add_u32 v0, v0, 23, v24
	v_or3_b32 v2, v20, v0, v2
.LBB6_10388:                            ;   in Loop: Header=BB6_9456 Depth=3
	s_or_b64 exec, exec, s[36:37]
.LBB6_10389:                            ;   in Loop: Header=BB6_9456 Depth=3
	s_or_b64 exec, exec, s[34:35]
.LBB6_10390:                            ;   in Loop: Header=BB6_9456 Depth=3
	s_or_b64 exec, exec, s[28:29]
	buffer_load_dword v0, off, s[0:3], s33 offset:104 ; 4-byte Folded Reload
	s_waitcnt vmcnt(0)
	v_and_b32_e32 v0, 0xff, v0
	v_cmp_ne_u16_e32 vcc, 0, v0
	s_and_saveexec_b64 s[28:29], vcc
	s_cbranch_execz .LBB6_10396
; %bb.10391:                            ;   in Loop: Header=BB6_9456 Depth=3
	v_cmp_ne_u16_e32 vcc, s80, v0
	v_bfrev_b32_e32 v1, 1
	s_and_saveexec_b64 s[34:35], vcc
	s_cbranch_execz .LBB6_10395
; %bb.10392:                            ;   in Loop: Header=BB6_9456 Depth=3
	buffer_load_dword v27, off, s[0:3], s33 offset:104 ; 4-byte Folded Reload
	v_mov_b32_e32 v1, 0x7f800001
	s_waitcnt vmcnt(0)
	v_and_b32_e32 v20, 0x7f, v27
	v_cmp_ne_u32_e32 vcc, s81, v20
	s_and_saveexec_b64 s[36:37], vcc
	s_cbranch_execz .LBB6_10394
; %bb.10393:                            ;   in Loop: Header=BB6_9456 Depth=3
	v_and_b32_e32 v24, 7, v0
	v_ffbh_u32_e32 v1, v24
	v_lshrrev_b32_e32 v26, 3, v20
	v_cmp_gt_u32_e32 vcc, 8, v20
	v_min_u32_e32 v20, 32, v1
	v_subrev_u32_e32 v1, 28, v20
	v_lshlrev_b64 v[0:1], v1, v[0:1]
	v_sub_u32_e32 v1, 29, v20
	v_and_b32_e32 v0, 7, v0
	v_cndmask_b32_e32 v1, v26, v1, vcc
	v_cndmask_b32_e32 v0, v24, v0, vcc
	v_lshlrev_b32_e32 v20, 24, v27
	v_bfrev_b32_e32 v24, 60
	v_lshlrev_b32_e32 v0, 20, v0
	v_and_b32_e32 v20, 0x80000000, v20
	v_lshl_add_u32 v1, v1, 23, v24
	v_or3_b32 v1, v20, v1, v0
.LBB6_10394:                            ;   in Loop: Header=BB6_9456 Depth=3
	s_or_b64 exec, exec, s[36:37]
.LBB6_10395:                            ;   in Loop: Header=BB6_9456 Depth=3
	s_or_b64 exec, exec, s[34:35]
.LBB6_10396:                            ;   in Loop: Header=BB6_9456 Depth=3
	s_or_b64 exec, exec, s[28:29]
	v_mul_f32_e32 v0, v2, v1
	v_and_b32_e32 v20, 0x7f800000, v0
	v_cmp_ne_u64_e32 vcc, s[62:63], v[20:21]
                                        ; implicit-def: $vgpr24
	s_and_saveexec_b64 s[28:29], vcc
	s_xor_b64 s[34:35], exec, s[28:29]
	s_cbranch_execz .LBB6_10414
; %bb.10397:                            ;   in Loop: Header=BB6_9456 Depth=3
	v_and_b32_e32 v20, 0x7fffffff, v0
	v_cmp_gt_u64_e32 vcc, s[78:79], v[20:21]
	v_and_b32_sdwa v26, v0, s80 dst_sel:DWORD dst_unused:UNUSED_PAD src0_sel:BYTE_3 src1_sel:DWORD
                                        ; implicit-def: $vgpr24
	s_and_saveexec_b64 s[28:29], vcc
	s_xor_b64 s[36:37], exec, s[28:29]
	s_cbranch_execz .LBB6_10411
; %bb.10398:                            ;   in Loop: Header=BB6_9456 Depth=3
	v_cmp_ne_u32_e32 vcc, 0, v0
	v_mov_b32_e32 v24, 0
	s_and_saveexec_b64 s[38:39], vcc
	s_cbranch_execz .LBB6_10410
; %bb.10399:                            ;   in Loop: Header=BB6_9456 Depth=3
	v_bfe_u32 v24, v0, 23, 8
	v_and_b32_e32 v1, 0x7fffff, v0
	v_cmp_gt_u32_e64 s[28:29], s47, v24
	v_sub_u32_e32 v0, 0x79, v24
	v_cmp_eq_u32_e32 vcc, 0, v24
	v_cndmask_b32_e64 v0, 0, v0, s[28:29]
	v_mov_b32_e32 v20, 0x78
	v_cndmask_b32_e32 v27, v0, v20, vcc
	v_or_b32_e32 v2, 0x800000, v1
	v_add_u32_e32 v0, 20, v27
	v_cndmask_b32_e32 v20, v2, v1, vcc
	v_lshlrev_b64 v[0:1], v0, -1
	v_add_u32_e32 v2, 19, v27
	v_lshlrev_b64 v[33:34], v2, 1
	v_bfi_b32 v1, v1, 0, 0
	v_bfi_b32 v0, v0, 0, v20
	v_cmp_eq_u64_e64 s[28:29], v[0:1], v[33:34]
	v_lshrrev_b64 v[0:1], v27, v[20:21]
	v_mov_b32_e32 v2, v1
	v_mov_b32_e32 v1, v0
	s_and_saveexec_b64 s[48:49], s[28:29]
; %bb.10400:                            ;   in Loop: Header=BB6_9456 Depth=3
	v_bfe_u32 v1, v0, 20, 1
	v_add_co_u32_e64 v1, s[28:29], v0, v1
	v_add_co_u32_e64 v1, s[28:29], -1, v1
; %bb.10401:                            ;   in Loop: Header=BB6_9456 Depth=3
	s_or_b64 exec, exec, s[48:49]
	v_add_u32_e32 v2, 0xffffff81, v24
	v_mov_b32_e32 v20, 0xffffff82
	v_cndmask_b32_e32 v2, v2, v20, vcc
	v_lshrrev_b32_e32 v20, 23, v0
	v_add3_u32 v27, v27, v2, v20
	v_add_u32_e32 v24, 6, v27
	v_and_b32_e32 v1, 0xfffff, v1
	v_add_u32_e32 v20, v1, v0
	v_cmp_ne_u32_e32 vcc, 0, v24
                                        ; implicit-def: $vgpr0_vgpr1
                                        ; implicit-def: $vgpr2
	s_and_saveexec_b64 s[28:29], vcc
	s_xor_b64 s[28:29], exec, s[28:29]
; %bb.10402:                            ;   in Loop: Header=BB6_9456 Depth=3
	v_cmp_lt_u64_e32 vcc, s[88:89], v[20:21]
	v_add_u32_e32 v0, 7, v27
	v_cndmask_b32_e32 v2, v24, v0, vcc
	v_cndmask_b32_e64 v0, 0, 1, vcc
	v_lshrrev_b64 v[0:1], v0, v[20:21]
; %bb.10403:                            ;   in Loop: Header=BB6_9456 Depth=3
	s_andn2_saveexec_b64 s[28:29], s[28:29]
; %bb.10404:                            ;   in Loop: Header=BB6_9456 Depth=3
	v_mov_b32_e32 v0, v20
	v_bfe_u32 v2, v20, 23, 1
	v_mov_b32_e32 v1, v21
; %bb.10405:                            ;   in Loop: Header=BB6_9456 Depth=3
	s_or_b64 exec, exec, s[28:29]
	v_lshrrev_b64 v[0:1], 20, v[0:1]
	v_cmp_gt_i32_e32 vcc, 16, v2
	v_cndmask_b32_e32 v1, 0, v1, vcc
	v_cndmask_b32_e32 v0, 7, v0, vcc
	v_cmp_ne_u64_e32 vcc, 0, v[0:1]
	v_cmp_ne_u32_e64 s[28:29], 0, v2
	s_or_b64 s[28:29], s[28:29], vcc
                                        ; implicit-def: $vgpr24
	s_and_saveexec_b64 vcc, s[28:29]
	s_xor_b64 s[28:29], exec, vcc
; %bb.10406:                            ;   in Loop: Header=BB6_9456 Depth=3
	v_min_i32_e32 v1, 15, v2
	v_lshl_or_b32 v1, v1, 3, v26
	v_and_or_b32 v24, v0, 7, v1
                                        ; implicit-def: $vgpr26
; %bb.10407:                            ;   in Loop: Header=BB6_9456 Depth=3
	s_andn2_saveexec_b64 s[28:29], s[28:29]
; %bb.10408:                            ;   in Loop: Header=BB6_9456 Depth=3
	v_mov_b32_e32 v24, v26
; %bb.10409:                            ;   in Loop: Header=BB6_9456 Depth=3
	s_or_b64 exec, exec, s[28:29]
.LBB6_10410:                            ;   in Loop: Header=BB6_9456 Depth=3
	s_or_b64 exec, exec, s[38:39]
                                        ; implicit-def: $vgpr26
.LBB6_10411:                            ;   in Loop: Header=BB6_9456 Depth=3
	s_andn2_saveexec_b64 s[28:29], s[36:37]
; %bb.10412:                            ;   in Loop: Header=BB6_9456 Depth=3
	v_or_b32_e32 v24, 0x7e, v26
; %bb.10413:                            ;   in Loop: Header=BB6_9456 Depth=3
	s_or_b64 exec, exec, s[28:29]
                                        ; implicit-def: $vgpr0
.LBB6_10414:                            ;   in Loop: Header=BB6_9456 Depth=3
	s_andn2_saveexec_b64 s[28:29], s[34:35]
; %bb.10415:                            ;   in Loop: Header=BB6_9456 Depth=3
	v_or_b32_sdwa v24, v0, s81 dst_sel:DWORD dst_unused:UNUSED_PAD src0_sel:BYTE_3 src1_sel:DWORD
; %bb.10416:                            ;   in Loop: Header=BB6_9456 Depth=3
	s_or_b64 exec, exec, s[28:29]
	buffer_load_dword v0, off, s[0:3], s33 offset:100 ; 4-byte Folded Reload
	v_mov_b32_e32 v1, 0
	v_mov_b32_e32 v2, 0
	s_waitcnt vmcnt(0)
	v_and_b32_e32 v0, 0xff, v0
	v_cmp_ne_u16_e32 vcc, 0, v0
	s_and_saveexec_b64 s[28:29], vcc
	s_cbranch_execz .LBB6_10422
; %bb.10417:                            ;   in Loop: Header=BB6_9456 Depth=3
	v_cmp_ne_u16_e32 vcc, s80, v0
	v_bfrev_b32_e32 v2, 1
	s_and_saveexec_b64 s[34:35], vcc
	s_cbranch_execz .LBB6_10421
; %bb.10418:                            ;   in Loop: Header=BB6_9456 Depth=3
	buffer_load_dword v31, off, s[0:3], s33 offset:100 ; 4-byte Folded Reload
	v_mov_b32_e32 v2, 0x7f800001
	s_waitcnt vmcnt(0)
	v_and_b32_e32 v20, 0x7f, v31
	v_cmp_ne_u32_e32 vcc, s81, v20
	s_and_saveexec_b64 s[36:37], vcc
	s_cbranch_execz .LBB6_10420
; %bb.10419:                            ;   in Loop: Header=BB6_9456 Depth=3
	v_and_b32_e32 v2, 7, v0
	v_lshrrev_b32_e32 v29, 3, v20
	v_cmp_gt_u32_e32 vcc, 8, v20
	v_ffbh_u32_e32 v20, v2
	v_min_u32_e32 v20, 32, v20
	v_subrev_u32_e32 v26, 28, v20
	v_lshlrev_b64 v[26:27], v26, v[0:1]
	v_sub_u32_e32 v0, 29, v20
	v_and_b32_e32 v20, 7, v26
	v_cndmask_b32_e32 v0, v29, v0, vcc
	v_cndmask_b32_e32 v2, v2, v20, vcc
	v_lshlrev_b32_e32 v20, 24, v31
	v_bfrev_b32_e32 v26, 60
	v_lshlrev_b32_e32 v2, 20, v2
	v_and_b32_e32 v20, 0x80000000, v20
	v_lshl_add_u32 v0, v0, 23, v26
	v_or3_b32 v2, v20, v0, v2
.LBB6_10420:                            ;   in Loop: Header=BB6_9456 Depth=3
	s_or_b64 exec, exec, s[36:37]
.LBB6_10421:                            ;   in Loop: Header=BB6_9456 Depth=3
	s_or_b64 exec, exec, s[34:35]
.LBB6_10422:                            ;   in Loop: Header=BB6_9456 Depth=3
	s_or_b64 exec, exec, s[28:29]
	buffer_load_dword v0, off, s[0:3], s33 offset:96 ; 4-byte Folded Reload
	s_waitcnt vmcnt(0)
	v_and_b32_e32 v0, 0xff, v0
	v_cmp_ne_u16_e32 vcc, 0, v0
	s_and_saveexec_b64 s[28:29], vcc
	s_cbranch_execz .LBB6_10428
; %bb.10423:                            ;   in Loop: Header=BB6_9456 Depth=3
	v_cmp_ne_u16_e32 vcc, s80, v0
	v_bfrev_b32_e32 v1, 1
	s_and_saveexec_b64 s[34:35], vcc
	s_cbranch_execz .LBB6_10427
; %bb.10424:                            ;   in Loop: Header=BB6_9456 Depth=3
	buffer_load_dword v29, off, s[0:3], s33 offset:96 ; 4-byte Folded Reload
	v_mov_b32_e32 v1, 0x7f800001
	s_waitcnt vmcnt(0)
	v_and_b32_e32 v20, 0x7f, v29
	v_cmp_ne_u32_e32 vcc, s81, v20
	s_and_saveexec_b64 s[36:37], vcc
	s_cbranch_execz .LBB6_10426
; %bb.10425:                            ;   in Loop: Header=BB6_9456 Depth=3
	v_and_b32_e32 v26, 7, v0
	v_ffbh_u32_e32 v1, v26
	v_lshrrev_b32_e32 v27, 3, v20
	v_cmp_gt_u32_e32 vcc, 8, v20
	v_min_u32_e32 v20, 32, v1
	v_subrev_u32_e32 v1, 28, v20
	v_lshlrev_b64 v[0:1], v1, v[0:1]
	v_sub_u32_e32 v1, 29, v20
	v_and_b32_e32 v0, 7, v0
	v_cndmask_b32_e32 v1, v27, v1, vcc
	v_cndmask_b32_e32 v0, v26, v0, vcc
	v_lshlrev_b32_e32 v20, 24, v29
	v_bfrev_b32_e32 v26, 60
	v_lshlrev_b32_e32 v0, 20, v0
	v_and_b32_e32 v20, 0x80000000, v20
	v_lshl_add_u32 v1, v1, 23, v26
	v_or3_b32 v1, v20, v1, v0
.LBB6_10426:                            ;   in Loop: Header=BB6_9456 Depth=3
	s_or_b64 exec, exec, s[36:37]
.LBB6_10427:                            ;   in Loop: Header=BB6_9456 Depth=3
	s_or_b64 exec, exec, s[34:35]
.LBB6_10428:                            ;   in Loop: Header=BB6_9456 Depth=3
	s_or_b64 exec, exec, s[28:29]
	v_mul_f32_e32 v0, v2, v1
	v_and_b32_e32 v20, 0x7f800000, v0
	v_cmp_ne_u64_e32 vcc, s[62:63], v[20:21]
                                        ; implicit-def: $vgpr26
	s_and_saveexec_b64 s[28:29], vcc
	s_xor_b64 s[34:35], exec, s[28:29]
	s_cbranch_execz .LBB6_10446
; %bb.10429:                            ;   in Loop: Header=BB6_9456 Depth=3
	v_and_b32_e32 v20, 0x7fffffff, v0
	v_cmp_gt_u64_e32 vcc, s[78:79], v[20:21]
	v_and_b32_sdwa v27, v0, s80 dst_sel:DWORD dst_unused:UNUSED_PAD src0_sel:BYTE_3 src1_sel:DWORD
                                        ; implicit-def: $vgpr26
	s_and_saveexec_b64 s[28:29], vcc
	s_xor_b64 s[36:37], exec, s[28:29]
	s_cbranch_execz .LBB6_10443
; %bb.10430:                            ;   in Loop: Header=BB6_9456 Depth=3
	v_cmp_ne_u32_e32 vcc, 0, v0
	v_mov_b32_e32 v26, 0
	s_and_saveexec_b64 s[38:39], vcc
	s_cbranch_execz .LBB6_10442
; %bb.10431:                            ;   in Loop: Header=BB6_9456 Depth=3
	v_bfe_u32 v26, v0, 23, 8
	v_and_b32_e32 v1, 0x7fffff, v0
	v_cmp_gt_u32_e64 s[28:29], s47, v26
	v_sub_u32_e32 v0, 0x79, v26
	v_cmp_eq_u32_e32 vcc, 0, v26
	v_cndmask_b32_e64 v0, 0, v0, s[28:29]
	v_mov_b32_e32 v20, 0x78
	v_cndmask_b32_e32 v29, v0, v20, vcc
	v_or_b32_e32 v2, 0x800000, v1
	v_add_u32_e32 v0, 20, v29
	v_cndmask_b32_e32 v20, v2, v1, vcc
	v_lshlrev_b64 v[0:1], v0, -1
	v_add_u32_e32 v2, 19, v29
	v_lshlrev_b64 v[33:34], v2, 1
	v_bfi_b32 v1, v1, 0, 0
	v_bfi_b32 v0, v0, 0, v20
	v_cmp_eq_u64_e64 s[28:29], v[0:1], v[33:34]
	v_lshrrev_b64 v[0:1], v29, v[20:21]
	v_mov_b32_e32 v2, v1
	v_mov_b32_e32 v1, v0
	s_and_saveexec_b64 s[48:49], s[28:29]
; %bb.10432:                            ;   in Loop: Header=BB6_9456 Depth=3
	v_bfe_u32 v1, v0, 20, 1
	v_add_co_u32_e64 v1, s[28:29], v0, v1
	v_add_co_u32_e64 v1, s[28:29], -1, v1
; %bb.10433:                            ;   in Loop: Header=BB6_9456 Depth=3
	s_or_b64 exec, exec, s[48:49]
	v_add_u32_e32 v2, 0xffffff81, v26
	v_mov_b32_e32 v20, 0xffffff82
	v_cndmask_b32_e32 v2, v2, v20, vcc
	v_lshrrev_b32_e32 v20, 23, v0
	v_add3_u32 v29, v29, v2, v20
	v_add_u32_e32 v26, 6, v29
	v_and_b32_e32 v1, 0xfffff, v1
	v_add_u32_e32 v20, v1, v0
	v_cmp_ne_u32_e32 vcc, 0, v26
                                        ; implicit-def: $vgpr0_vgpr1
                                        ; implicit-def: $vgpr2
	s_and_saveexec_b64 s[28:29], vcc
	s_xor_b64 s[28:29], exec, s[28:29]
; %bb.10434:                            ;   in Loop: Header=BB6_9456 Depth=3
	v_cmp_lt_u64_e32 vcc, s[88:89], v[20:21]
	v_add_u32_e32 v0, 7, v29
	v_cndmask_b32_e32 v2, v26, v0, vcc
	v_cndmask_b32_e64 v0, 0, 1, vcc
	v_lshrrev_b64 v[0:1], v0, v[20:21]
; %bb.10435:                            ;   in Loop: Header=BB6_9456 Depth=3
	s_andn2_saveexec_b64 s[28:29], s[28:29]
; %bb.10436:                            ;   in Loop: Header=BB6_9456 Depth=3
	v_mov_b32_e32 v0, v20
	v_bfe_u32 v2, v20, 23, 1
	v_mov_b32_e32 v1, v21
; %bb.10437:                            ;   in Loop: Header=BB6_9456 Depth=3
	s_or_b64 exec, exec, s[28:29]
	v_lshrrev_b64 v[0:1], 20, v[0:1]
	v_cmp_gt_i32_e32 vcc, 16, v2
	v_cndmask_b32_e32 v1, 0, v1, vcc
	v_cndmask_b32_e32 v0, 7, v0, vcc
	v_cmp_ne_u64_e32 vcc, 0, v[0:1]
	v_cmp_ne_u32_e64 s[28:29], 0, v2
	s_or_b64 s[28:29], s[28:29], vcc
                                        ; implicit-def: $vgpr26
	s_and_saveexec_b64 vcc, s[28:29]
	s_xor_b64 s[28:29], exec, vcc
; %bb.10438:                            ;   in Loop: Header=BB6_9456 Depth=3
	v_min_i32_e32 v1, 15, v2
	v_lshl_or_b32 v1, v1, 3, v27
	v_and_or_b32 v26, v0, 7, v1
                                        ; implicit-def: $vgpr27
; %bb.10439:                            ;   in Loop: Header=BB6_9456 Depth=3
	s_andn2_saveexec_b64 s[28:29], s[28:29]
; %bb.10440:                            ;   in Loop: Header=BB6_9456 Depth=3
	v_mov_b32_e32 v26, v27
; %bb.10441:                            ;   in Loop: Header=BB6_9456 Depth=3
	s_or_b64 exec, exec, s[28:29]
.LBB6_10442:                            ;   in Loop: Header=BB6_9456 Depth=3
	s_or_b64 exec, exec, s[38:39]
                                        ; implicit-def: $vgpr27
.LBB6_10443:                            ;   in Loop: Header=BB6_9456 Depth=3
	s_andn2_saveexec_b64 s[28:29], s[36:37]
; %bb.10444:                            ;   in Loop: Header=BB6_9456 Depth=3
	v_or_b32_e32 v26, 0x7e, v27
; %bb.10445:                            ;   in Loop: Header=BB6_9456 Depth=3
	s_or_b64 exec, exec, s[28:29]
                                        ; implicit-def: $vgpr0
.LBB6_10446:                            ;   in Loop: Header=BB6_9456 Depth=3
	s_andn2_saveexec_b64 s[28:29], s[34:35]
; %bb.10447:                            ;   in Loop: Header=BB6_9456 Depth=3
	v_or_b32_sdwa v26, v0, s81 dst_sel:DWORD dst_unused:UNUSED_PAD src0_sel:BYTE_3 src1_sel:DWORD
; %bb.10448:                            ;   in Loop: Header=BB6_9456 Depth=3
	s_or_b64 exec, exec, s[28:29]
	v_and_b32_e32 v0, 0xff, v51
	v_cmp_ne_u16_e32 vcc, 0, v0
	v_mov_b32_e32 v1, 0
	v_mov_b32_e32 v2, 0
	s_and_saveexec_b64 s[28:29], vcc
	s_cbranch_execz .LBB6_10454
; %bb.10449:                            ;   in Loop: Header=BB6_9456 Depth=3
	v_cmp_ne_u16_e32 vcc, s80, v0
	v_bfrev_b32_e32 v2, 1
	s_and_saveexec_b64 s[34:35], vcc
	s_cbranch_execz .LBB6_10453
; %bb.10450:                            ;   in Loop: Header=BB6_9456 Depth=3
	v_and_b32_e32 v20, 0x7f, v51
	v_cmp_ne_u32_e32 vcc, s81, v20
	v_mov_b32_e32 v2, 0x7f800001
	s_and_saveexec_b64 s[36:37], vcc
	s_cbranch_execz .LBB6_10452
; %bb.10451:                            ;   in Loop: Header=BB6_9456 Depth=3
	v_and_b32_e32 v2, 7, v0
	v_lshrrev_b32_e32 v27, 3, v20
	v_cmp_gt_u32_e32 vcc, 8, v20
	v_ffbh_u32_e32 v20, v2
	v_min_u32_e32 v20, 32, v20
	v_subrev_u32_e32 v29, 28, v20
	v_lshlrev_b64 v[33:34], v29, v[0:1]
	v_sub_u32_e32 v0, 29, v20
	v_and_b32_e32 v20, 7, v33
	v_cndmask_b32_e32 v0, v27, v0, vcc
	v_cndmask_b32_e32 v2, v2, v20, vcc
	v_lshlrev_b32_e32 v20, 24, v51
	v_bfrev_b32_e32 v27, 60
	v_lshlrev_b32_e32 v2, 20, v2
	v_and_b32_e32 v20, 0x80000000, v20
	v_lshl_add_u32 v0, v0, 23, v27
	v_or3_b32 v2, v20, v0, v2
.LBB6_10452:                            ;   in Loop: Header=BB6_9456 Depth=3
	s_or_b64 exec, exec, s[36:37]
.LBB6_10453:                            ;   in Loop: Header=BB6_9456 Depth=3
	s_or_b64 exec, exec, s[34:35]
.LBB6_10454:                            ;   in Loop: Header=BB6_9456 Depth=3
	s_or_b64 exec, exec, s[28:29]
	v_and_b32_e32 v0, 0xff, v50
	v_cmp_ne_u16_e32 vcc, 0, v0
	s_and_saveexec_b64 s[28:29], vcc
	s_cbranch_execz .LBB6_10460
; %bb.10455:                            ;   in Loop: Header=BB6_9456 Depth=3
	v_cmp_ne_u16_e32 vcc, s80, v0
	v_bfrev_b32_e32 v1, 1
	s_and_saveexec_b64 s[34:35], vcc
	s_cbranch_execz .LBB6_10459
; %bb.10456:                            ;   in Loop: Header=BB6_9456 Depth=3
	v_and_b32_e32 v20, 0x7f, v50
	v_cmp_ne_u32_e32 vcc, s81, v20
	v_mov_b32_e32 v1, 0x7f800001
	s_and_saveexec_b64 s[36:37], vcc
	s_cbranch_execz .LBB6_10458
; %bb.10457:                            ;   in Loop: Header=BB6_9456 Depth=3
	v_and_b32_e32 v27, 7, v0
	v_ffbh_u32_e32 v1, v27
	v_lshrrev_b32_e32 v29, 3, v20
	v_cmp_gt_u32_e32 vcc, 8, v20
	v_min_u32_e32 v20, 32, v1
	v_subrev_u32_e32 v1, 28, v20
	v_lshlrev_b64 v[0:1], v1, v[0:1]
	v_sub_u32_e32 v1, 29, v20
	v_and_b32_e32 v0, 7, v0
	v_cndmask_b32_e32 v1, v29, v1, vcc
	v_cndmask_b32_e32 v0, v27, v0, vcc
	v_lshlrev_b32_e32 v20, 24, v50
	v_bfrev_b32_e32 v27, 60
	v_lshlrev_b32_e32 v0, 20, v0
	v_and_b32_e32 v20, 0x80000000, v20
	v_lshl_add_u32 v1, v1, 23, v27
	v_or3_b32 v1, v20, v1, v0
.LBB6_10458:                            ;   in Loop: Header=BB6_9456 Depth=3
	s_or_b64 exec, exec, s[36:37]
.LBB6_10459:                            ;   in Loop: Header=BB6_9456 Depth=3
	s_or_b64 exec, exec, s[34:35]
.LBB6_10460:                            ;   in Loop: Header=BB6_9456 Depth=3
	s_or_b64 exec, exec, s[28:29]
	v_mul_f32_e32 v0, v2, v1
	v_and_b32_e32 v20, 0x7f800000, v0
	v_cmp_ne_u64_e32 vcc, s[62:63], v[20:21]
                                        ; implicit-def: $vgpr1
	s_and_saveexec_b64 s[28:29], vcc
	s_xor_b64 s[34:35], exec, s[28:29]
	s_cbranch_execz .LBB6_10478
; %bb.10461:                            ;   in Loop: Header=BB6_9456 Depth=3
	v_and_b32_e32 v20, 0x7fffffff, v0
	v_cmp_gt_u64_e32 vcc, s[78:79], v[20:21]
	v_and_b32_sdwa v27, v0, s80 dst_sel:DWORD dst_unused:UNUSED_PAD src0_sel:BYTE_3 src1_sel:DWORD
                                        ; implicit-def: $vgpr1
	s_and_saveexec_b64 s[28:29], vcc
	s_xor_b64 s[36:37], exec, s[28:29]
	s_cbranch_execz .LBB6_10475
; %bb.10462:                            ;   in Loop: Header=BB6_9456 Depth=3
	v_cmp_ne_u32_e32 vcc, 0, v0
	v_mov_b32_e32 v1, 0
	s_and_saveexec_b64 s[38:39], vcc
	s_cbranch_execz .LBB6_10474
; %bb.10463:                            ;   in Loop: Header=BB6_9456 Depth=3
	v_bfe_u32 v29, v0, 23, 8
	v_and_b32_e32 v1, 0x7fffff, v0
	v_cmp_gt_u32_e64 s[28:29], s47, v29
	v_sub_u32_e32 v0, 0x79, v29
	v_cmp_eq_u32_e32 vcc, 0, v29
	v_cndmask_b32_e64 v0, 0, v0, s[28:29]
	v_mov_b32_e32 v20, 0x78
	v_cndmask_b32_e32 v31, v0, v20, vcc
	v_or_b32_e32 v2, 0x800000, v1
	v_add_u32_e32 v0, 20, v31
	v_cndmask_b32_e32 v20, v2, v1, vcc
	v_lshlrev_b64 v[0:1], v0, -1
	v_add_u32_e32 v2, 19, v31
	v_lshlrev_b64 v[33:34], v2, 1
	v_bfi_b32 v1, v1, 0, 0
	v_bfi_b32 v0, v0, 0, v20
	v_cmp_eq_u64_e64 s[28:29], v[0:1], v[33:34]
	v_lshrrev_b64 v[0:1], v31, v[20:21]
	v_mov_b32_e32 v2, v1
	v_mov_b32_e32 v1, v0
	s_and_saveexec_b64 s[48:49], s[28:29]
; %bb.10464:                            ;   in Loop: Header=BB6_9456 Depth=3
	v_bfe_u32 v1, v0, 20, 1
	v_add_co_u32_e64 v1, s[28:29], v0, v1
	v_add_co_u32_e64 v1, s[28:29], -1, v1
; %bb.10465:                            ;   in Loop: Header=BB6_9456 Depth=3
	s_or_b64 exec, exec, s[48:49]
	v_add_u32_e32 v2, 0xffffff81, v29
	v_mov_b32_e32 v20, 0xffffff82
	v_cndmask_b32_e32 v2, v2, v20, vcc
	v_lshrrev_b32_e32 v20, 23, v0
	v_add3_u32 v31, v31, v2, v20
	v_add_u32_e32 v29, 6, v31
	v_and_b32_e32 v1, 0xfffff, v1
	v_add_u32_e32 v20, v1, v0
	v_cmp_ne_u32_e32 vcc, 0, v29
                                        ; implicit-def: $vgpr0_vgpr1
                                        ; implicit-def: $vgpr2
	s_and_saveexec_b64 s[28:29], vcc
	s_xor_b64 s[28:29], exec, s[28:29]
; %bb.10466:                            ;   in Loop: Header=BB6_9456 Depth=3
	v_cmp_lt_u64_e32 vcc, s[88:89], v[20:21]
	v_add_u32_e32 v0, 7, v31
	v_cndmask_b32_e32 v2, v29, v0, vcc
	v_cndmask_b32_e64 v0, 0, 1, vcc
	v_lshrrev_b64 v[0:1], v0, v[20:21]
; %bb.10467:                            ;   in Loop: Header=BB6_9456 Depth=3
	s_andn2_saveexec_b64 s[28:29], s[28:29]
; %bb.10468:                            ;   in Loop: Header=BB6_9456 Depth=3
	v_mov_b32_e32 v0, v20
	v_bfe_u32 v2, v20, 23, 1
	v_mov_b32_e32 v1, v21
; %bb.10469:                            ;   in Loop: Header=BB6_9456 Depth=3
	s_or_b64 exec, exec, s[28:29]
	v_lshrrev_b64 v[0:1], 20, v[0:1]
	v_cmp_gt_i32_e32 vcc, 16, v2
	v_cndmask_b32_e32 v1, 0, v1, vcc
	v_cndmask_b32_e32 v0, 7, v0, vcc
	v_cmp_ne_u64_e32 vcc, 0, v[0:1]
	v_cmp_ne_u32_e64 s[28:29], 0, v2
	s_or_b64 s[28:29], s[28:29], vcc
                                        ; implicit-def: $vgpr1
	s_and_saveexec_b64 vcc, s[28:29]
	s_xor_b64 s[28:29], exec, vcc
; %bb.10470:                            ;   in Loop: Header=BB6_9456 Depth=3
	v_min_i32_e32 v1, 15, v2
	v_lshl_or_b32 v1, v1, 3, v27
	v_and_or_b32 v1, v0, 7, v1
                                        ; implicit-def: $vgpr27
; %bb.10471:                            ;   in Loop: Header=BB6_9456 Depth=3
	s_andn2_saveexec_b64 s[28:29], s[28:29]
; %bb.10472:                            ;   in Loop: Header=BB6_9456 Depth=3
	v_mov_b32_e32 v1, v27
; %bb.10473:                            ;   in Loop: Header=BB6_9456 Depth=3
	s_or_b64 exec, exec, s[28:29]
.LBB6_10474:                            ;   in Loop: Header=BB6_9456 Depth=3
	s_or_b64 exec, exec, s[38:39]
                                        ; implicit-def: $vgpr27
.LBB6_10475:                            ;   in Loop: Header=BB6_9456 Depth=3
	s_andn2_saveexec_b64 s[28:29], s[36:37]
; %bb.10476:                            ;   in Loop: Header=BB6_9456 Depth=3
	v_or_b32_e32 v1, 0x7e, v27
; %bb.10477:                            ;   in Loop: Header=BB6_9456 Depth=3
	s_or_b64 exec, exec, s[28:29]
                                        ; implicit-def: $vgpr0
.LBB6_10478:                            ;   in Loop: Header=BB6_9456 Depth=3
	s_andn2_saveexec_b64 s[28:29], s[34:35]
	s_cbranch_execz .LBB6_9455
; %bb.10479:                            ;   in Loop: Header=BB6_9456 Depth=3
	v_or_b32_sdwa v1, v0, s81 dst_sel:DWORD dst_unused:UNUSED_PAD src0_sel:BYTE_3 src1_sel:DWORD
	s_branch .LBB6_9455
.LBB6_10480:                            ;   in Loop: Header=BB6_3791 Depth=2
	s_or_b64 exec, exec, s[30:31]
	buffer_load_dword v56, off, s[0:3], s33 offset:200 ; 4-byte Folded Reload
	buffer_load_dword v4, off, s[0:3], s33 offset:164 ; 4-byte Folded Reload
	;; [unrolled: 1-line block ×5, first 2 shown]
.LBB6_10481:                            ;   in Loop: Header=BB6_3791 Depth=2
	s_or_b64 exec, exec, s[42:43]
	s_waitcnt vmcnt(0)
	v_lshlrev_b32_e32 v0, 11, v1
	v_cmp_ne_u32_e32 vcc, v5, v0
	s_and_b64 exec, exec, vcc
	s_cbranch_execz .LBB6_10517
; %bb.10482:                            ;   in Loop: Header=BB6_3791 Depth=2
	v_ashrrev_i32_e32 v1, 31, v2
	v_lshrrev_b32_e32 v1, 26, v1
	v_add_u32_e32 v1, v2, v1
	v_and_b32_e32 v1, 0xffffffc0, v1
	v_sub_u32_e32 v1, v2, v1
	v_lshlrev_b32_e32 v2, 6, v3
	v_sub_u32_e32 v1, v1, v2
	v_add_u32_e32 v0, v0, v1
	v_sub_u32_e32 v3, v5, v0
	v_cmp_lt_i32_e32 vcc, 0, v3
	s_and_b64 exec, exec, vcc
	s_cbranch_execz .LBB6_10517
; %bb.10483:                            ;   in Loop: Header=BB6_3791 Depth=2
	v_add_u32_e32 v2, v0, v4
	s_trap 2
	ds_read_b128 v[4:7], v0
	ds_read_b64 v[0:1], v0
	v_ashrrev_i32_e32 v11, 31, v2
	s_mov_b64 s[42:43], 0
	s_waitcnt lgkmcnt(0)
	v_add_co_u32_e32 v4, vcc, v4, v2
	v_addc_co_u32_e32 v5, vcc, v5, v11, vcc
	v_add_co_u32_e32 v8, vcc, v6, v2
	v_addc_co_u32_e32 v9, vcc, v7, v11, vcc
	;; [unrolled: 2-line block ×3, first 2 shown]
	s_branch .LBB6_10485
.LBB6_10484:                            ;   in Loop: Header=BB6_10485 Depth=3
	s_or_b64 exec, exec, s[28:29]
	buffer_load_dword v0, off, s[0:3], s33 offset:196 ; 4-byte Folded Reload
	s_waitcnt vmcnt(0)
	v_add_co_u32_e32 v4, vcc, v4, v0
	v_addc_co_u32_e32 v5, vcc, 0, v5, vcc
	v_add_co_u32_e32 v8, vcc, v8, v0
	v_addc_co_u32_e32 v9, vcc, 0, v9, vcc
	v_sub_u32_e32 v3, v3, v0
	v_cmp_gt_i32_e32 vcc, 1, v3
	flat_store_byte v[10:11], v1 glc slc
	s_or_b64 s[42:43], vcc, s[42:43]
	v_add_co_u32_e32 v10, vcc, v10, v0
	v_addc_co_u32_e32 v11, vcc, 0, v11, vcc
	s_andn2_b64 exec, exec, s[42:43]
	s_cbranch_execz .LBB6_10517
.LBB6_10485:                            ;   Parent Loop BB6_47 Depth=1
                                        ;     Parent Loop BB6_3791 Depth=2
                                        ; =>    This Inner Loop Header: Depth=3
	flat_load_ubyte v7, v[4:5] glc slc
	flat_load_ubyte v2, v[8:9] glc slc
	v_mov_b32_e32 v1, 0
	v_mov_b32_e32 v6, 0
	s_waitcnt vmcnt(0) lgkmcnt(0)
	v_cmp_ne_u16_e32 vcc, 0, v7
	s_and_saveexec_b64 s[28:29], vcc
	s_cbranch_execz .LBB6_10491
; %bb.10486:                            ;   in Loop: Header=BB6_10485 Depth=3
	v_cmp_ne_u16_e32 vcc, s80, v7
	v_bfrev_b32_e32 v6, 1
	s_and_saveexec_b64 s[30:31], vcc
	s_cbranch_execz .LBB6_10490
; %bb.10487:                            ;   in Loop: Header=BB6_10485 Depth=3
	v_and_b32_e32 v0, 0xffff, v7
	v_and_b32_e32 v12, 0x7f, v0
	v_cmp_ne_u32_e32 vcc, s81, v12
	v_mov_b32_e32 v6, 0x7f800001
	s_and_saveexec_b64 s[34:35], vcc
	s_cbranch_execz .LBB6_10489
; %bb.10488:                            ;   in Loop: Header=BB6_10485 Depth=3
	v_and_b32_e32 v6, 7, v0
	v_lshrrev_b32_e32 v14, 3, v12
	v_cmp_gt_u32_e32 vcc, 8, v12
	v_ffbh_u32_e32 v12, v6
	v_min_u32_e32 v15, 32, v12
	v_subrev_u32_e32 v12, 28, v15
	v_lshlrev_b64 v[12:13], v12, v[0:1]
	v_sub_u32_e32 v0, 29, v15
	v_and_b32_e32 v12, 7, v12
	v_cndmask_b32_e32 v0, v14, v0, vcc
	v_cndmask_b32_e32 v6, v6, v12, vcc
	v_lshlrev_b32_e32 v7, 24, v7
	v_bfrev_b32_e32 v12, 60
	v_lshlrev_b32_e32 v6, 20, v6
	v_and_b32_e32 v7, 0x80000000, v7
	v_lshl_add_u32 v0, v0, 23, v12
	v_or3_b32 v6, v7, v0, v6
.LBB6_10489:                            ;   in Loop: Header=BB6_10485 Depth=3
	s_or_b64 exec, exec, s[34:35]
.LBB6_10490:                            ;   in Loop: Header=BB6_10485 Depth=3
	s_or_b64 exec, exec, s[30:31]
.LBB6_10491:                            ;   in Loop: Header=BB6_10485 Depth=3
	s_or_b64 exec, exec, s[28:29]
	v_and_b32_e32 v0, 0xff, v2
	v_cmp_ne_u16_e32 vcc, 0, v0
	s_and_saveexec_b64 s[28:29], vcc
	s_cbranch_execz .LBB6_10497
; %bb.10492:                            ;   in Loop: Header=BB6_10485 Depth=3
	v_cmp_ne_u16_e32 vcc, s80, v0
	v_bfrev_b32_e32 v1, 1
	s_and_saveexec_b64 s[30:31], vcc
	s_cbranch_execz .LBB6_10496
; %bb.10493:                            ;   in Loop: Header=BB6_10485 Depth=3
	v_and_b32_e32 v7, 0x7f, v2
	v_cmp_ne_u32_e32 vcc, s81, v7
	v_mov_b32_e32 v1, 0x7f800001
	s_and_saveexec_b64 s[34:35], vcc
	s_cbranch_execz .LBB6_10495
; %bb.10494:                            ;   in Loop: Header=BB6_10485 Depth=3
	v_and_b32_e32 v12, 7, v0
	v_lshlrev_b32_e32 v1, 24, v2
	v_and_b32_e32 v2, 0x80000000, v1
	v_ffbh_u32_e32 v1, v12
	v_lshrrev_b32_e32 v13, 3, v7
	v_cmp_gt_u32_e32 vcc, 8, v7
	v_min_u32_e32 v7, 32, v1
	v_subrev_u32_e32 v1, 28, v7
	v_lshlrev_b64 v[0:1], v1, v[0:1]
	v_sub_u32_e32 v1, 29, v7
	v_and_b32_e32 v0, 7, v0
	v_cndmask_b32_e32 v1, v13, v1, vcc
	v_cndmask_b32_e32 v0, v12, v0, vcc
	v_bfrev_b32_e32 v7, 60
	v_lshlrev_b32_e32 v0, 20, v0
	v_lshl_add_u32 v1, v1, 23, v7
	v_or3_b32 v1, v2, v1, v0
.LBB6_10495:                            ;   in Loop: Header=BB6_10485 Depth=3
	s_or_b64 exec, exec, s[34:35]
.LBB6_10496:                            ;   in Loop: Header=BB6_10485 Depth=3
	s_or_b64 exec, exec, s[30:31]
.LBB6_10497:                            ;   in Loop: Header=BB6_10485 Depth=3
	s_or_b64 exec, exec, s[28:29]
	v_mul_f32_e32 v0, v6, v1
	v_and_b32_e32 v20, 0x7f800000, v0
	v_cmp_ne_u64_e32 vcc, s[62:63], v[20:21]
                                        ; implicit-def: $vgpr1
	s_and_saveexec_b64 s[28:29], vcc
	s_xor_b64 s[30:31], exec, s[28:29]
	s_cbranch_execz .LBB6_10515
; %bb.10498:                            ;   in Loop: Header=BB6_10485 Depth=3
	v_and_b32_e32 v20, 0x7fffffff, v0
	v_cmp_gt_u64_e32 vcc, s[78:79], v[20:21]
	v_and_b32_sdwa v6, v0, s80 dst_sel:DWORD dst_unused:UNUSED_PAD src0_sel:BYTE_3 src1_sel:DWORD
                                        ; implicit-def: $vgpr1
	s_and_saveexec_b64 s[28:29], vcc
	s_xor_b64 s[34:35], exec, s[28:29]
	s_cbranch_execz .LBB6_10512
; %bb.10499:                            ;   in Loop: Header=BB6_10485 Depth=3
	v_cmp_ne_u32_e32 vcc, 0, v0
	v_mov_b32_e32 v1, 0
	s_and_saveexec_b64 s[36:37], vcc
	s_cbranch_execz .LBB6_10511
; %bb.10500:                            ;   in Loop: Header=BB6_10485 Depth=3
	v_bfe_u32 v7, v0, 23, 8
	v_and_b32_e32 v1, 0x7fffff, v0
	v_cmp_gt_u32_e64 s[28:29], s47, v7
	v_sub_u32_e32 v0, 0x79, v7
	v_cmp_eq_u32_e32 vcc, 0, v7
	v_cndmask_b32_e64 v0, 0, v0, s[28:29]
	v_mov_b32_e32 v12, 0x78
	v_cndmask_b32_e32 v12, v0, v12, vcc
	v_or_b32_e32 v2, 0x800000, v1
	v_add_u32_e32 v0, 20, v12
	v_cndmask_b32_e32 v20, v2, v1, vcc
	v_lshlrev_b64 v[0:1], v0, -1
	v_add_u32_e32 v2, 19, v12
	v_lshlrev_b64 v[13:14], v2, 1
	v_bfi_b32 v1, v1, 0, 0
	v_bfi_b32 v0, v0, 0, v20
	v_cmp_eq_u64_e64 s[28:29], v[0:1], v[13:14]
	v_lshrrev_b64 v[0:1], v12, v[20:21]
	v_mov_b32_e32 v2, v1
	v_mov_b32_e32 v1, v0
	s_and_saveexec_b64 s[38:39], s[28:29]
; %bb.10501:                            ;   in Loop: Header=BB6_10485 Depth=3
	v_bfe_u32 v1, v0, 20, 1
	v_add_co_u32_e64 v1, s[28:29], v0, v1
	v_add_co_u32_e64 v1, s[28:29], -1, v1
; %bb.10502:                            ;   in Loop: Header=BB6_10485 Depth=3
	s_or_b64 exec, exec, s[38:39]
	v_add_u32_e32 v2, 0xffffff81, v7
	v_mov_b32_e32 v7, 0xffffff82
	v_cndmask_b32_e32 v2, v2, v7, vcc
	v_lshrrev_b32_e32 v7, 23, v0
	v_add3_u32 v12, v12, v2, v7
	v_add_u32_e32 v7, 6, v12
	v_and_b32_e32 v1, 0xfffff, v1
	v_add_u32_e32 v20, v1, v0
	v_cmp_ne_u32_e32 vcc, 0, v7
                                        ; implicit-def: $vgpr0_vgpr1
                                        ; implicit-def: $vgpr2
	s_and_saveexec_b64 s[28:29], vcc
	s_xor_b64 s[28:29], exec, s[28:29]
; %bb.10503:                            ;   in Loop: Header=BB6_10485 Depth=3
	v_cmp_lt_u64_e32 vcc, s[88:89], v[20:21]
	v_add_u32_e32 v0, 7, v12
	v_cndmask_b32_e32 v2, v7, v0, vcc
	v_cndmask_b32_e64 v0, 0, 1, vcc
	v_lshrrev_b64 v[0:1], v0, v[20:21]
; %bb.10504:                            ;   in Loop: Header=BB6_10485 Depth=3
	s_andn2_saveexec_b64 s[28:29], s[28:29]
; %bb.10505:                            ;   in Loop: Header=BB6_10485 Depth=3
	v_mov_b32_e32 v0, v20
	v_bfe_u32 v2, v20, 23, 1
	v_mov_b32_e32 v1, v21
; %bb.10506:                            ;   in Loop: Header=BB6_10485 Depth=3
	s_or_b64 exec, exec, s[28:29]
	v_lshrrev_b64 v[0:1], 20, v[0:1]
	v_cmp_gt_i32_e32 vcc, 16, v2
	v_cndmask_b32_e32 v1, 0, v1, vcc
	v_cndmask_b32_e32 v0, 7, v0, vcc
	v_cmp_ne_u64_e32 vcc, 0, v[0:1]
	v_cmp_ne_u32_e64 s[28:29], 0, v2
	s_or_b64 s[28:29], s[28:29], vcc
                                        ; implicit-def: $vgpr1
	s_and_saveexec_b64 vcc, s[28:29]
	s_xor_b64 s[28:29], exec, vcc
; %bb.10507:                            ;   in Loop: Header=BB6_10485 Depth=3
	v_min_i32_e32 v1, 15, v2
	v_lshl_or_b32 v1, v1, 3, v6
	v_and_or_b32 v1, v0, 7, v1
                                        ; implicit-def: $vgpr6
; %bb.10508:                            ;   in Loop: Header=BB6_10485 Depth=3
	s_andn2_saveexec_b64 s[28:29], s[28:29]
; %bb.10509:                            ;   in Loop: Header=BB6_10485 Depth=3
	v_mov_b32_e32 v1, v6
; %bb.10510:                            ;   in Loop: Header=BB6_10485 Depth=3
	s_or_b64 exec, exec, s[28:29]
.LBB6_10511:                            ;   in Loop: Header=BB6_10485 Depth=3
	s_or_b64 exec, exec, s[36:37]
                                        ; implicit-def: $vgpr6
.LBB6_10512:                            ;   in Loop: Header=BB6_10485 Depth=3
	s_andn2_saveexec_b64 s[28:29], s[34:35]
; %bb.10513:                            ;   in Loop: Header=BB6_10485 Depth=3
	v_or_b32_e32 v1, 0x7e, v6
; %bb.10514:                            ;   in Loop: Header=BB6_10485 Depth=3
	s_or_b64 exec, exec, s[28:29]
                                        ; implicit-def: $vgpr0
.LBB6_10515:                            ;   in Loop: Header=BB6_10485 Depth=3
	s_andn2_saveexec_b64 s[28:29], s[30:31]
	s_cbranch_execz .LBB6_10484
; %bb.10516:                            ;   in Loop: Header=BB6_10485 Depth=3
	v_or_b32_sdwa v1, v0, s81 dst_sel:DWORD dst_unused:UNUSED_PAD src0_sel:BYTE_3 src1_sel:DWORD
	s_branch .LBB6_10484
.LBB6_10517:                            ;   in Loop: Header=BB6_3791 Depth=2
	s_or_b64 exec, exec, s[40:41]
.LBB6_10518:                            ;   in Loop: Header=BB6_3791 Depth=2
	buffer_load_dword v0, off, s[0:3], s33 offset:324 ; 4-byte Folded Reload
	s_waitcnt vmcnt(0)
	v_cmp_lt_i32_e64 s[28:29], 0, v0
	s_and_saveexec_b64 s[40:41], s[10:11]
	s_cbranch_execnz .LBB6_10519
; %bb.11167:                            ;   in Loop: Header=BB6_3791 Depth=2
	s_getpc_b64 s[98:99]
.Lpost_getpc21:
	s_add_u32 s98, s98, (.LBB6_3867-.Lpost_getpc21)&4294967295
	s_addc_u32 s99, s99, (.LBB6_3867-.Lpost_getpc21)>>32
	s_setpc_b64 s[98:99]
.LBB6_10519:                            ;   in Loop: Header=BB6_3791 Depth=2
	s_and_saveexec_b64 s[42:43], s[58:59]
	s_xor_b64 s[42:43], exec, s[42:43]
	s_cbranch_execz .LBB6_10534
; %bb.10520:                            ;   in Loop: Header=BB6_3791 Depth=2
	s_and_saveexec_b64 s[30:31], s[16:17]
	s_cbranch_execz .LBB6_10533
; %bb.10521:                            ;   in Loop: Header=BB6_3791 Depth=2
	s_mov_b64 s[36:37], exec
	v_mbcnt_lo_u32_b32 v0, s36, 0
	v_mbcnt_hi_u32_b32 v0, s37, v0
	v_cmp_eq_u32_e32 vcc, 0, v0
	s_waitcnt vmcnt(0) lgkmcnt(0)
	buffer_wbinvl1_vol
	s_and_saveexec_b64 s[34:35], vcc
	s_cbranch_execz .LBB6_10523
; %bb.10522:                            ;   in Loop: Header=BB6_3791 Depth=2
	s_bcnt1_i32_b64 s9, s[36:37]
	v_mov_b32_e32 v20, s9
	ds_add_u64 v0, v[20:21]
	s_trap 2
.LBB6_10523:                            ;   in Loop: Header=BB6_3791 Depth=2
	s_or_b64 exec, exec, s[34:35]
	s_trap 2
	ds_read_b64 v[0:1], v0
	s_waitcnt lgkmcnt(0)
	buffer_load_dword v2, off, s[0:3], s33 offset:76 ; 4-byte Folded Reload
	buffer_load_dword v3, off, s[0:3], s33 offset:80 ; 4-byte Folded Reload
	s_waitcnt vmcnt(1)
	v_add_co_u32_e32 v2, vcc, v2, v49
	s_waitcnt vmcnt(0)
	v_addc_co_u32_e32 v3, vcc, 0, v3, vcc
	buffer_store_dword v2, off, s[0:3], s33 offset:76 ; 4-byte Folded Spill
	s_nop 0
	buffer_store_dword v3, off, s[0:3], s33 offset:80 ; 4-byte Folded Spill
	v_cmp_lt_u64_e32 vcc, v[0:1], v[2:3]
	s_and_saveexec_b64 s[34:35], vcc
	s_cbranch_execz .LBB6_10532
; %bb.10524:                            ;   in Loop: Header=BB6_3791 Depth=2
	s_mov_b32 s9, 0
	s_mov_b64 s[36:37], 0
                                        ; implicit-def: $sgpr38_sgpr39
                                        ; implicit-def: $sgpr48_sgpr49
	s_branch .LBB6_10526
.LBB6_10525:                            ;   in Loop: Header=BB6_10526 Depth=3
	s_or_b64 exec, exec, s[52:53]
	s_and_b64 vcc, exec, vcc
	s_or_b64 s[36:37], vcc, s[36:37]
	s_andn2_b64 vcc, s[38:39], exec
	s_and_b64 s[38:39], s[48:49], exec
	s_or_b64 s[38:39], vcc, s[38:39]
	s_andn2_b64 exec, exec, s[36:37]
	s_cbranch_execz .LBB6_10530
.LBB6_10526:                            ;   Parent Loop BB6_47 Depth=1
                                        ;     Parent Loop BB6_3791 Depth=2
                                        ; =>    This Inner Loop Header: Depth=3
	s_add_i32 s9, s9, 1
	s_cmpk_lg_i32 s9, 0x2710
	s_cselect_b64 s[50:51], -1, 0
	s_and_b64 vcc, exec, s[50:51]
	s_cbranch_vccz .LBB6_10528
; %bb.10527:                            ;   in Loop: Header=BB6_10526 Depth=3
	s_mov_b64 vcc, -1
	s_or_b64 s[48:49], s[48:49], exec
	s_and_saveexec_b64 s[52:53], s[50:51]
	s_cbranch_execz .LBB6_10525
	s_branch .LBB6_10529
.LBB6_10528:                            ;   in Loop: Header=BB6_10526 Depth=3
	s_trap 2
	ds_read_b64 v[0:1], v0
	s_andn2_b64 s[50:51], s[50:51], exec
	s_mov_b32 s9, 0
	s_waitcnt vmcnt(0) lgkmcnt(0)
	flat_load_dword v0, v[0:1] glc
	s_waitcnt vmcnt(0) lgkmcnt(0)
	buffer_wbinvl1_vol
	v_cmp_eq_u32_e32 vcc, 0, v0
	s_and_b64 vcc, vcc, exec
	s_or_b64 s[50:51], s[50:51], vcc
	s_mov_b64 vcc, -1
	s_or_b64 s[48:49], s[48:49], exec
	s_and_saveexec_b64 s[52:53], s[50:51]
	s_cbranch_execz .LBB6_10525
.LBB6_10529:                            ;   in Loop: Header=BB6_10526 Depth=3
	s_sleep 1
	s_trap 2
	ds_read_b64 v[0:1], v0
	s_waitcnt lgkmcnt(0)
	buffer_load_dword v2, off, s[0:3], s33 offset:76 ; 4-byte Folded Reload
	buffer_load_dword v3, off, s[0:3], s33 offset:80 ; 4-byte Folded Reload
	s_andn2_b64 s[48:49], s[48:49], exec
	s_waitcnt vmcnt(0)
	v_cmp_ge_u64_e32 vcc, v[0:1], v[2:3]
	s_orn2_b64 vcc, vcc, exec
	s_branch .LBB6_10525
.LBB6_10530:                            ;   in Loop: Header=BB6_3791 Depth=2
	s_or_b64 exec, exec, s[36:37]
	s_and_saveexec_b64 vcc, s[38:39]
	s_xor_b64 vcc, exec, vcc
	s_cbranch_execz .LBB6_10532
; %bb.10531:                            ;   in Loop: Header=BB6_3791 Depth=2
	v_mov_b32_e32 v0, 1
	ds_write_b32 v0, v0
	s_trap 2
.LBB6_10532:                            ;   in Loop: Header=BB6_3791 Depth=2
	s_or_b64 exec, exec, s[34:35]
	;;#ASMSTART
	s_wakeup
	;;#ASMEND
.LBB6_10533:                            ;   in Loop: Header=BB6_3791 Depth=2
	s_or_b64 exec, exec, s[30:31]
.LBB6_10534:                            ;   in Loop: Header=BB6_3791 Depth=2
	s_andn2_saveexec_b64 s[42:43], s[42:43]
	s_cbranch_execz .LBB6_10536
; %bb.10535:                            ;   in Loop: Header=BB6_3791 Depth=2
	s_waitcnt vmcnt(0) lgkmcnt(0)
	buffer_wbinvl1_vol
	s_barrier
.LBB6_10536:                            ;   in Loop: Header=BB6_3791 Depth=2
	s_or_b64 exec, exec, s[42:43]
	s_or_b64 exec, exec, s[40:41]
                                        ; implicit-def: $vgpr0
	s_and_saveexec_b64 s[40:41], s[24:25]
	s_xor_b64 s[40:41], exec, s[40:41]
	s_cbranch_execz .LBB6_10537
; %bb.11169:                            ;   in Loop: Header=BB6_3791 Depth=2
	s_getpc_b64 s[98:99]
.Lpost_getpc22:
	s_add_u32 s98, s98, (.LBB6_3868-.Lpost_getpc22)&4294967295
	s_addc_u32 s99, s99, (.LBB6_3868-.Lpost_getpc22)>>32
	s_setpc_b64 s[98:99]
.LBB6_10537:                            ;   in Loop: Header=BB6_3791 Depth=2
	s_andn2_saveexec_b64 s[28:29], s[40:41]
	s_cbranch_execz .LBB6_10556
.LBB6_10538:                            ;   in Loop: Header=BB6_3791 Depth=2
	s_and_saveexec_b64 s[40:41], s[58:59]
	s_xor_b64 s[40:41], exec, s[40:41]
	s_cbranch_execz .LBB6_10553
; %bb.10539:                            ;   in Loop: Header=BB6_3791 Depth=2
	s_and_saveexec_b64 s[42:43], s[16:17]
	s_cbranch_execz .LBB6_10552
; %bb.10540:                            ;   in Loop: Header=BB6_3791 Depth=2
	s_mov_b64 s[34:35], exec
	v_mbcnt_lo_u32_b32 v0, s34, 0
	v_mbcnt_hi_u32_b32 v0, s35, v0
	v_cmp_eq_u32_e32 vcc, 0, v0
	;;#ASMSTART
	s_waitcnt lgkmcnt(0) vmcnt(0)
	;;#ASMEND
	s_and_saveexec_b64 s[30:31], vcc
	s_cbranch_execz .LBB6_10542
; %bb.10541:                            ;   in Loop: Header=BB6_3791 Depth=2
	s_bcnt1_i32_b64 s9, s[34:35]
	v_mov_b32_e32 v20, s9
	s_waitcnt lgkmcnt(0)
	ds_add_u64 v0, v[20:21]
	s_trap 2
.LBB6_10542:                            ;   in Loop: Header=BB6_3791 Depth=2
	s_or_b64 exec, exec, s[30:31]
	s_trap 2
	ds_read_b64 v[0:1], v0
	s_waitcnt lgkmcnt(0)
	buffer_load_dword v2, off, s[0:3], s33 offset:76 ; 4-byte Folded Reload
	buffer_load_dword v3, off, s[0:3], s33 offset:80 ; 4-byte Folded Reload
	s_waitcnt vmcnt(1)
	v_add_co_u32_e32 v2, vcc, v2, v49
	s_waitcnt vmcnt(0)
	v_addc_co_u32_e32 v3, vcc, 0, v3, vcc
	buffer_store_dword v2, off, s[0:3], s33 offset:76 ; 4-byte Folded Spill
	s_nop 0
	buffer_store_dword v3, off, s[0:3], s33 offset:80 ; 4-byte Folded Spill
	v_cmp_lt_u64_e32 vcc, v[0:1], v[2:3]
	s_and_saveexec_b64 s[30:31], vcc
	s_cbranch_execz .LBB6_10551
; %bb.10543:                            ;   in Loop: Header=BB6_3791 Depth=2
	s_mov_b32 s9, 0
	s_mov_b64 s[34:35], 0
                                        ; implicit-def: $sgpr36_sgpr37
                                        ; implicit-def: $sgpr38_sgpr39
	s_branch .LBB6_10545
.LBB6_10544:                            ;   in Loop: Header=BB6_10545 Depth=3
	s_or_b64 exec, exec, s[50:51]
	s_and_b64 vcc, exec, vcc
	s_or_b64 s[34:35], vcc, s[34:35]
	s_andn2_b64 vcc, s[36:37], exec
	s_and_b64 s[36:37], s[38:39], exec
	s_or_b64 s[36:37], vcc, s[36:37]
	s_andn2_b64 exec, exec, s[34:35]
	s_cbranch_execz .LBB6_10549
.LBB6_10545:                            ;   Parent Loop BB6_47 Depth=1
                                        ;     Parent Loop BB6_3791 Depth=2
                                        ; =>    This Inner Loop Header: Depth=3
	s_add_i32 s9, s9, 1
	s_cmpk_lg_i32 s9, 0x2710
	s_cselect_b64 s[48:49], -1, 0
	s_and_b64 vcc, exec, s[48:49]
	s_cbranch_vccz .LBB6_10547
; %bb.10546:                            ;   in Loop: Header=BB6_10545 Depth=3
	s_mov_b64 vcc, -1
	s_or_b64 s[38:39], s[38:39], exec
	s_and_saveexec_b64 s[50:51], s[48:49]
	s_cbranch_execz .LBB6_10544
	s_branch .LBB6_10548
.LBB6_10547:                            ;   in Loop: Header=BB6_10545 Depth=3
	s_trap 2
	ds_read_b64 v[0:1], v0
	s_andn2_b64 s[48:49], s[48:49], exec
	s_mov_b32 s9, 0
	s_waitcnt vmcnt(0) lgkmcnt(0)
	flat_load_dword v0, v[0:1] glc
	s_waitcnt vmcnt(0) lgkmcnt(0)
	buffer_wbinvl1_vol
	v_cmp_eq_u32_e32 vcc, 0, v0
	s_and_b64 vcc, vcc, exec
	s_or_b64 s[48:49], s[48:49], vcc
	s_mov_b64 vcc, -1
	s_or_b64 s[38:39], s[38:39], exec
	s_and_saveexec_b64 s[50:51], s[48:49]
	s_cbranch_execz .LBB6_10544
.LBB6_10548:                            ;   in Loop: Header=BB6_10545 Depth=3
	s_sleep 1
	s_trap 2
	ds_read_b64 v[0:1], v0
	s_waitcnt lgkmcnt(0)
	buffer_load_dword v2, off, s[0:3], s33 offset:76 ; 4-byte Folded Reload
	buffer_load_dword v3, off, s[0:3], s33 offset:80 ; 4-byte Folded Reload
	s_andn2_b64 s[38:39], s[38:39], exec
	s_waitcnt vmcnt(0)
	v_cmp_ge_u64_e32 vcc, v[0:1], v[2:3]
	s_orn2_b64 vcc, vcc, exec
	s_branch .LBB6_10544
.LBB6_10549:                            ;   in Loop: Header=BB6_3791 Depth=2
	s_or_b64 exec, exec, s[34:35]
	s_and_saveexec_b64 vcc, s[36:37]
	s_xor_b64 vcc, exec, vcc
	s_cbranch_execz .LBB6_10551
; %bb.10550:                            ;   in Loop: Header=BB6_3791 Depth=2
	v_mov_b32_e32 v0, 1
	ds_write_b32 v0, v0
	s_trap 2
.LBB6_10551:                            ;   in Loop: Header=BB6_3791 Depth=2
	s_or_b64 exec, exec, s[30:31]
	;;#ASMSTART
	s_wakeup
	;;#ASMEND
.LBB6_10552:                            ;   in Loop: Header=BB6_3791 Depth=2
	s_or_b64 exec, exec, s[42:43]
.LBB6_10553:                            ;   in Loop: Header=BB6_3791 Depth=2
	s_andn2_saveexec_b64 s[40:41], s[40:41]
	s_cbranch_execz .LBB6_10555
; %bb.10554:                            ;   in Loop: Header=BB6_3791 Depth=2
	;;#ASMSTART
	s_waitcnt lgkmcnt(0) vmcnt(0)
	;;#ASMEND
	s_waitcnt vmcnt(0) lgkmcnt(0)
	s_barrier
.LBB6_10555:                            ;   in Loop: Header=BB6_3791 Depth=2
	s_or_b64 exec, exec, s[40:41]
	buffer_load_dword v0, off, s[0:3], s33 offset:72 ; 4-byte Folded Reload
	s_waitcnt vmcnt(0)
	v_and_b32_e32 v0, 16, v0
.LBB6_10556:                            ;   in Loop: Header=BB6_3791 Depth=2
	s_or_b64 exec, exec, s[28:29]
	v_cmp_ne_u32_e32 vcc, 0, v0
	s_xor_b64 s[28:29], s[12:13], -1
	s_and_b64 s[40:41], vcc, s[28:29]
	s_and_saveexec_b64 s[28:29], s[40:41]
	s_cbranch_execz .LBB6_10558
; %bb.10557:                            ;   in Loop: Header=BB6_3791 Depth=2
	buffer_load_dword v0, off, s[0:3], s33 offset:228 ; 4-byte Folded Reload
	buffer_load_dword v1, off, s[0:3], s33 offset:232 ; 4-byte Folded Reload
	v_mov_b32_e32 v2, 1
	s_waitcnt vmcnt(0)
	flat_store_dword v[0:1], v2
.LBB6_10558:                            ;   in Loop: Header=BB6_3791 Depth=2
	s_or_b64 exec, exec, s[28:29]
	buffer_load_dword v0, off, s[0:3], s33 offset:72 ; 4-byte Folded Reload
	s_waitcnt vmcnt(0)
	v_and_b32_e32 v0, 48, v0
	v_cmp_ne_u32_e32 vcc, 0, v0
	s_and_saveexec_b64 s[28:29], vcc
	s_cbranch_execnz .LBB6_10559
; %bb.11171:                            ;   in Loop: Header=BB6_3791 Depth=2
	s_getpc_b64 s[98:99]
.Lpost_getpc23:
	s_add_u32 s98, s98, (.LBB6_3790-.Lpost_getpc23)&4294967295
	s_addc_u32 s99, s99, (.LBB6_3790-.Lpost_getpc23)>>32
	s_setpc_b64 s[98:99]
.LBB6_10559:                            ;   in Loop: Header=BB6_3791 Depth=2
	buffer_load_dword v2, off, s[0:3], s33 offset:84 ; 4-byte Folded Reload
	buffer_load_dword v3, off, s[0:3], s33 offset:88 ; 4-byte Folded Reload
	;; [unrolled: 1-line block ×4, first 2 shown]
	s_waitcnt vmcnt(0)
	v_add_co_u32_e32 v2, vcc, 2, v2
	v_addc_co_u32_e32 v3, vcc, 0, v3, vcc
	buffer_store_dword v2, off, s[0:3], s33 offset:84 ; 4-byte Folded Spill
	s_nop 0
	buffer_store_dword v3, off, s[0:3], s33 offset:88 ; 4-byte Folded Spill
	flat_store_dwordx2 v[0:1], v[2:3]
; %bb.11149:                            ;   in Loop: Header=BB6_3791 Depth=2
	s_getpc_b64 s[98:99]
.Lpost_getpc12:
	s_add_u32 s98, s98, (.LBB6_3790-.Lpost_getpc12)&4294967295
	s_addc_u32 s99, s99, (.LBB6_3790-.Lpost_getpc12)>>32
	s_setpc_b64 s[98:99]
.LBB6_10560:                            ;   in Loop: Header=BB6_47 Depth=1
	s_or_b64 exec, exec, s[90:91]
	v_cmp_gt_i32_e32 vcc, 2, v2
	s_and_saveexec_b64 s[40:41], vcc
	s_cbranch_execz .LBB6_10636
.LBB6_10561:                            ;   in Loop: Header=BB6_47 Depth=1
	buffer_load_dword v8, off, s[0:3], s33 offset:172 ; 4-byte Folded Reload
	buffer_load_dword v9, off, s[0:3], s33 offset:176 ; 4-byte Folded Reload
	;; [unrolled: 1-line block ×3, first 2 shown]
	v_cmp_eq_u32_e64 s[90:91], 0, v2
	s_mov_b64 s[42:43], 0
	s_branch .LBB6_10563
.LBB6_10562:                            ;   in Loop: Header=BB6_10563 Depth=2
	s_or_b64 exec, exec, s[28:29]
	v_mov_b32_e32 v1, v9
	v_add_u32_e32 v1, v8, v1
	s_mov_b64 s[90:91], 0
	s_andn2_b64 exec, exec, s[42:43]
	s_cbranch_execz .LBB6_10637
.LBB6_10563:                            ;   Parent Loop BB6_47 Depth=1
                                        ; =>  This Loop Header: Depth=2
                                        ;       Child Loop BB6_10569 Depth 3
                                        ;       Child Loop BB6_10597 Depth 3
	;; [unrolled: 1-line block ×3, first 2 shown]
	buffer_load_dword v0, off, s[0:3], s33 offset:320 ; 4-byte Folded Reload
	s_waitcnt vmcnt(0)
	v_mov_b32_e32 v9, v1
	v_sub_u32_e32 v0, v0, v1
	v_min_i32_e32 v8, v8, v0
	buffer_load_dword v0, off, s[0:3], s33 offset:72 ; 4-byte Folded Reload
	s_waitcnt vmcnt(0)
	v_and_b32_e32 v0, 12, v0
	v_cmp_ne_u32_e32 vcc, 0, v0
	s_and_saveexec_b64 s[92:93], vcc
	s_cbranch_execz .LBB6_10589
; %bb.10564:                            ;   in Loop: Header=BB6_10563 Depth=2
	buffer_load_dword v0, off, s[0:3], s33 offset:72 ; 4-byte Folded Reload
	s_waitcnt vmcnt(0)
	v_and_b32_e32 v6, 8, v0
	buffer_load_dword v0, off, s[0:3], s33 offset:56 ; 4-byte Folded Reload
	buffer_load_dword v1, off, s[0:3], s33 offset:60 ; 4-byte Folded Reload
	;; [unrolled: 1-line block ×4, first 2 shown]
	s_waitcnt vmcnt(0)
	v_add_co_u32_e32 v0, vcc, v0, v6
	v_addc_co_u32_e32 v1, vcc, 0, v1, vcc
	v_add_co_u32_e32 v4, vcc, 2, v2
	v_addc_co_u32_e32 v5, vcc, 0, v3, vcc
	v_cmp_lt_u64_e32 vcc, v[0:1], v[4:5]
	s_and_saveexec_b64 s[94:95], vcc
	s_cbranch_execz .LBB6_10576
; %bb.10565:                            ;   in Loop: Header=BB6_10563 Depth=2
	buffer_load_dword v0, off, s[0:3], s33 offset:72 ; 4-byte Folded Reload
	s_mov_b32 s44, 0
	s_mov_b64 s[30:31], 0
                                        ; implicit-def: $sgpr34_sgpr35
                                        ; implicit-def: $sgpr36_sgpr37
                                        ; implicit-def: $sgpr38_sgpr39
	s_waitcnt vmcnt(0)
	v_and_b32_e32 v0, 64, v0
	v_cmp_eq_u32_e32 vcc, 0, v0
	s_branch .LBB6_10569
.LBB6_10566:                            ;   in Loop: Header=BB6_10569 Depth=3
	buffer_load_dword v1, off, s[0:3], s33 offset:56 ; 4-byte Folded Reload
	buffer_load_dword v2, off, s[0:3], s33 offset:60 ; 4-byte Folded Reload
	s_or_b64 s[52:53], s[52:53], exec
	s_waitcnt vmcnt(1)
	v_add_co_u32_e64 v1, s[28:29], v1, v6
	s_waitcnt vmcnt(0)
	v_addc_co_u32_e64 v2, s[28:29], 0, v2, s[28:29]
	v_cmp_ge_u64_e64 s[28:29], v[1:2], v[4:5]
	s_orn2_b64 s[50:51], s[28:29], exec
.LBB6_10567:                            ;   in Loop: Header=BB6_10569 Depth=3
	s_or_b64 exec, exec, s[64:65]
	s_andn2_b64 s[28:29], s[38:39], exec
	s_and_b64 s[38:39], s[52:53], exec
	s_or_b64 s[38:39], s[28:29], s[38:39]
	s_andn2_b64 s[28:29], s[36:37], exec
	s_and_b64 s[36:37], s[50:51], exec
	s_or_b64 s[36:37], s[28:29], s[36:37]
.LBB6_10568:                            ;   in Loop: Header=BB6_10569 Depth=3
	s_or_b64 exec, exec, s[48:49]
	s_and_b64 s[28:29], exec, s[36:37]
	s_or_b64 s[30:31], s[28:29], s[30:31]
	s_andn2_b64 s[28:29], s[34:35], exec
	s_and_b64 s[34:35], s[38:39], exec
	s_or_b64 s[34:35], s[28:29], s[34:35]
	s_andn2_b64 exec, exec, s[30:31]
	s_cbranch_execz .LBB6_10573
.LBB6_10569:                            ;   Parent Loop BB6_47 Depth=1
                                        ;     Parent Loop BB6_10563 Depth=2
                                        ; =>    This Inner Loop Header: Depth=3
	s_sleep 1
	buffer_load_dword v0, off, s[0:3], s33 offset:64 ; 4-byte Folded Reload
	buffer_load_dword v1, off, s[0:3], s33 offset:68 ; 4-byte Folded Reload
	s_or_b64 s[38:39], s[38:39], exec
	s_or_b64 s[36:37], s[36:37], exec
	s_waitcnt vmcnt(0)
	flat_load_dwordx2 v[0:1], v[0:1] glc
	s_waitcnt vmcnt(0) lgkmcnt(0)
	buffer_store_dword v0, off, s[0:3], s33 offset:56 ; 4-byte Folded Spill
	s_nop 0
	buffer_store_dword v1, off, s[0:3], s33 offset:60 ; 4-byte Folded Spill
                                        ; implicit-def: $vgpr0
	s_and_saveexec_b64 s[48:49], vcc
	s_cbranch_execz .LBB6_10568
; %bb.10570:                            ;   in Loop: Header=BB6_10569 Depth=3
	s_cmpk_lt_i32 s44, 0x270f
	s_cselect_b64 s[54:55], -1, 0
	s_cmpk_gt_i32 s44, 0x270e
	s_mov_b64 s[50:51], -1
	s_cbranch_scc0 .LBB6_10572
; %bb.10571:                            ;   in Loop: Header=BB6_10569 Depth=3
	s_trap 2
	ds_read_b64 v[0:1], v0
	s_andn2_b64 s[54:55], s[54:55], exec
	s_mov_b32 s44, 0
	s_mov_b64 s[52:53], 0
	s_waitcnt vmcnt(0) lgkmcnt(0)
	flat_load_dword v0, v[0:1] glc
	s_waitcnt vmcnt(0) lgkmcnt(0)
	buffer_wbinvl1_vol
	v_cmp_eq_u32_e64 s[28:29], 0, v0
	s_and_b64 s[28:29], s[28:29], exec
	s_or_b64 s[54:55], s[54:55], s[28:29]
	s_and_saveexec_b64 s[64:65], s[54:55]
	s_cbranch_execz .LBB6_10567
	s_branch .LBB6_10566
.LBB6_10572:                            ;   in Loop: Header=BB6_10569 Depth=3
	s_add_i32 s44, s44, 1
	s_mov_b64 s[52:53], -1
                                        ; implicit-def: $vgpr0
	s_and_saveexec_b64 s[64:65], s[54:55]
	s_cbranch_execz .LBB6_10567
	s_branch .LBB6_10566
.LBB6_10573:                            ;   in Loop: Header=BB6_10563 Depth=2
	s_or_b64 exec, exec, s[30:31]
	s_xor_b64 s[28:29], s[34:35], -1
	s_and_saveexec_b64 s[44:45], s[28:29]
	s_xor_b64 s[28:29], exec, s[44:45]
	s_cbranch_execz .LBB6_10575
; %bb.10574:                            ;   in Loop: Header=BB6_10563 Depth=2
	ds_write_b32 v0, v0
	s_trap 2
	buffer_load_dword v0, off, s[0:3], s33 offset:72 ; 4-byte Folded Reload
	s_waitcnt vmcnt(0)
	v_or_b32_e32 v0, 64, v0
	buffer_store_dword v0, off, s[0:3], s33 offset:72 ; 4-byte Folded Spill
.LBB6_10575:                            ;   in Loop: Header=BB6_10563 Depth=2
	s_or_b64 exec, exec, s[28:29]
.LBB6_10576:                            ;   in Loop: Header=BB6_10563 Depth=2
	s_or_b64 exec, exec, s[94:95]
	;;#ASMSTART
	s_wakeup
	;;#ASMEND
	buffer_load_dword v0, off, s[0:3], s33 offset:72 ; 4-byte Folded Reload
	s_waitcnt vmcnt(0)
	v_and_b32_e32 v0, 0x108, v0
	v_cmp_ne_u32_e32 vcc, s71, v0
	s_and_saveexec_b64 s[28:29], vcc
	s_xor_b64 s[28:29], exec, s[28:29]
                                        ; implicit-def: $vgpr7
	s_cbranch_execz .LBB6_10578
; %bb.10577:                            ;   in Loop: Header=BB6_10563 Depth=2
	buffer_load_dword v0, off, s[0:3], s33 offset:84 ; 4-byte Folded Reload
	buffer_load_dword v1, off, s[0:3], s33 offset:88 ; 4-byte Folded Reload
	s_waitcnt vmcnt(0)
	v_and_b32_e32 v7, 7, v0
                                        ; implicit-def: $vgpr0_vgpr1
                                        ; kill: killed $vgpr0_vgpr1
.LBB6_10578:                            ;   in Loop: Header=BB6_10563 Depth=2
	s_andn2_saveexec_b64 s[28:29], s[28:29]
	s_cbranch_execz .LBB6_10580
; %bb.10579:                            ;   in Loop: Header=BB6_10563 Depth=2
	buffer_load_dword v0, off, s[0:3], s33 offset:84 ; 4-byte Folded Reload
	buffer_load_dword v1, off, s[0:3], s33 offset:88 ; 4-byte Folded Reload
	s_waitcnt vmcnt(0)
	v_and_b32_e32 v7, 7, v0
	buffer_load_dword v0, off, s[0:3], s33 offset:212 ; 4-byte Folded Reload
	buffer_load_dword v1, off, s[0:3], s33 offset:216 ; 4-byte Folded Reload
	;; [unrolled: 1-line block ×4, first 2 shown]
	s_waitcnt vmcnt(0)
	v_mov_b32_e32 v2, v8
	v_ashrrev_i32_e32 v3, 31, v2
	v_mad_u64_u32 v[0:1], s[44:45], v7, 24, v[0:1]
	flat_store_dwordx2 v[0:1], v[2:3] offset:8
.LBB6_10580:                            ;   in Loop: Header=BB6_10563 Depth=2
	s_or_b64 exec, exec, s[28:29]
	buffer_load_dword v0, off, s[0:3], s33 offset:72 ; 4-byte Folded Reload
	s_mov_b64 s[28:29], -1
	s_waitcnt vmcnt(0)
	v_and_b32_e32 v0, 0x100, v0
	v_cmp_ne_u32_e32 vcc, 0, v0
                                        ; implicit-def: $vgpr0_vgpr1
	s_and_saveexec_b64 s[94:95], vcc
	s_cbranch_execz .LBB6_10584
; %bb.10581:                            ;   in Loop: Header=BB6_10563 Depth=2
	buffer_load_dword v0, off, s[0:3], s33 offset:212 ; 4-byte Folded Reload
	buffer_load_dword v1, off, s[0:3], s33 offset:216 ; 4-byte Folded Reload
	;; [unrolled: 1-line block ×4, first 2 shown]
	s_waitcnt vmcnt(0)
	v_mad_u64_u32 v[2:3], s[28:29], v7, 24, v[0:1]
	v_mov_b32_e32 v0, v3
	v_mad_u64_u32 v[0:1], s[28:29], v21, 24, v[0:1]
	v_mov_b32_e32 v3, v0
	flat_load_dword v0, v[2:3]
	s_waitcnt vmcnt(0) lgkmcnt(0)
	v_cmp_ne_u32_e32 vcc, 1, v0
	v_cmp_eq_u32_e64 s[28:29], 1, v0
                                        ; implicit-def: $vgpr0_vgpr1
	s_and_saveexec_b64 s[30:31], s[28:29]
	s_cbranch_execz .LBB6_10583
; %bb.10582:                            ;   in Loop: Header=BB6_10563 Depth=2
	flat_load_dword v0, v[2:3] offset:4 glc
	s_waitcnt vmcnt(0) lgkmcnt(0)
	v_ashrrev_i32_e32 v1, 31, v0
.LBB6_10583:                            ;   in Loop: Header=BB6_10563 Depth=2
	s_or_b64 exec, exec, s[30:31]
	s_orn2_b64 s[28:29], vcc, exec
.LBB6_10584:                            ;   in Loop: Header=BB6_10563 Depth=2
	s_or_b64 exec, exec, s[94:95]
	s_and_saveexec_b64 s[94:95], s[28:29]
	s_cbranch_execz .LBB6_10586
; %bb.10585:                            ;   in Loop: Header=BB6_10563 Depth=2
	buffer_load_dword v0, off, s[0:3], s33 offset:244 ; 4-byte Folded Reload
	buffer_load_dword v1, off, s[0:3], s33 offset:264 ; 4-byte Folded Reload
	s_waitcnt vmcnt(0)
	v_mul_lo_u32 v2, v21, v0
	v_mul_lo_u32 v3, v7, v1
	v_mad_u64_u32 v[0:1], s[28:29], v7, v0, 0
	v_add3_u32 v1, v1, v3, v2
.LBB6_10586:                            ;   in Loop: Header=BB6_10563 Depth=2
	s_or_b64 exec, exec, s[94:95]
	v_cmp_eq_u32_e32 vcc, 0, v6
	buffer_load_dword v6, off, s[0:3], s33 offset:204 ; 4-byte Folded Reload
	buffer_load_dword v7, off, s[0:3], s33 offset:208 ; 4-byte Folded Reload
	v_mov_b32_e32 v2, 0x90
	v_mov_b32_e32 v3, 0xd0
	v_cndmask_b32_e32 v2, v3, v2, vcc
	s_waitcnt vmcnt(0)
	v_add_co_u32_e32 v0, vcc, v6, v0
	v_addc_co_u32_e32 v1, vcc, v7, v1, vcc
	v_add_u32_e32 v2, v0, v2
	ds_write_b64 v2, v[0:1] offset:584
	buffer_load_dword v0, off, s[0:3], s33 offset:72 ; 4-byte Folded Reload
	s_waitcnt vmcnt(0)
	v_and_b32_e32 v0, 0x2000, v0
	v_cmp_ne_u32_e32 vcc, 0, v0
	s_and_saveexec_b64 s[28:29], vcc
	s_cbranch_execz .LBB6_10588
; %bb.10587:                            ;   in Loop: Header=BB6_10563 Depth=2
	ds_read_b64 v[0:1], v0 offset:872
	s_waitcnt lgkmcnt(0)
	v_add_co_u32_e32 v0, vcc, 1, v0
	v_addc_co_u32_e32 v1, vcc, 0, v1, vcc
	ds_write_b64 v0, v[0:1] offset:872
.LBB6_10588:                            ;   in Loop: Header=BB6_10563 Depth=2
	s_or_b64 exec, exec, s[28:29]
	buffer_store_dword v4, off, s[0:3], s33 offset:84 ; 4-byte Folded Spill
	s_nop 0
	buffer_store_dword v5, off, s[0:3], s33 offset:88 ; 4-byte Folded Spill
.LBB6_10589:                            ;   in Loop: Header=BB6_10563 Depth=2
	s_or_b64 exec, exec, s[92:93]
	s_xor_b64 s[28:29], s[90:91], -1
	s_and_b64 s[28:29], exec, s[28:29]
	s_or_b64 s[42:43], s[28:29], s[42:43]
	s_and_saveexec_b64 s[28:29], s[10:11]
	s_cbranch_execz .LBB6_10608
; %bb.10590:                            ;   in Loop: Header=BB6_10563 Depth=2
	s_and_saveexec_b64 s[44:45], s[58:59]
	s_xor_b64 s[90:91], exec, s[44:45]
	s_cbranch_execz .LBB6_10605
; %bb.10591:                            ;   in Loop: Header=BB6_10563 Depth=2
	s_and_saveexec_b64 s[92:93], s[16:17]
	s_cbranch_execz .LBB6_10604
; %bb.10592:                            ;   in Loop: Header=BB6_10563 Depth=2
	s_mov_b64 s[30:31], exec
	v_mbcnt_lo_u32_b32 v0, s30, 0
	v_mbcnt_hi_u32_b32 v0, s31, v0
	v_cmp_eq_u32_e32 vcc, 0, v0
	s_waitcnt vmcnt(0) lgkmcnt(0)
	buffer_wbinvl1_vol
	s_and_saveexec_b64 s[94:95], vcc
	s_cbranch_execz .LBB6_10594
; %bb.10593:                            ;   in Loop: Header=BB6_10563 Depth=2
	s_bcnt1_i32_b64 s9, s[30:31]
	v_mov_b32_e32 v20, s9
	ds_add_u64 v0, v[20:21]
	s_trap 2
.LBB6_10594:                            ;   in Loop: Header=BB6_10563 Depth=2
	s_or_b64 exec, exec, s[94:95]
	s_trap 2
	ds_read_b64 v[0:1], v0
	s_waitcnt lgkmcnt(0)
	buffer_load_dword v2, off, s[0:3], s33 offset:76 ; 4-byte Folded Reload
	buffer_load_dword v3, off, s[0:3], s33 offset:80 ; 4-byte Folded Reload
	s_waitcnt vmcnt(1)
	v_add_co_u32_e32 v2, vcc, v2, v49
	s_waitcnt vmcnt(0)
	v_addc_co_u32_e32 v3, vcc, 0, v3, vcc
	buffer_store_dword v2, off, s[0:3], s33 offset:76 ; 4-byte Folded Spill
	s_nop 0
	buffer_store_dword v3, off, s[0:3], s33 offset:80 ; 4-byte Folded Spill
	v_cmp_lt_u64_e32 vcc, v[0:1], v[2:3]
	s_and_saveexec_b64 s[94:95], vcc
	s_cbranch_execz .LBB6_10603
; %bb.10595:                            ;   in Loop: Header=BB6_10563 Depth=2
	s_mov_b32 s9, 0
	s_mov_b64 s[30:31], 0
                                        ; implicit-def: $sgpr34_sgpr35
                                        ; implicit-def: $sgpr36_sgpr37
	s_branch .LBB6_10597
.LBB6_10596:                            ;   in Loop: Header=BB6_10597 Depth=3
	s_or_b64 exec, exec, s[48:49]
	s_and_b64 s[44:45], exec, vcc
	s_or_b64 s[30:31], s[44:45], s[30:31]
	s_andn2_b64 s[44:45], s[34:35], exec
	s_and_b64 vcc, s[36:37], exec
	s_or_b64 s[34:35], s[44:45], vcc
	s_andn2_b64 exec, exec, s[30:31]
	s_cbranch_execz .LBB6_10601
.LBB6_10597:                            ;   Parent Loop BB6_47 Depth=1
                                        ;     Parent Loop BB6_10563 Depth=2
                                        ; =>    This Inner Loop Header: Depth=3
	s_add_i32 s9, s9, 1
	s_cmpk_lg_i32 s9, 0x2710
	s_cselect_b64 s[38:39], -1, 0
	s_and_b64 vcc, exec, s[38:39]
	s_cbranch_vccz .LBB6_10599
; %bb.10598:                            ;   in Loop: Header=BB6_10597 Depth=3
	s_mov_b64 vcc, -1
	s_or_b64 s[36:37], s[36:37], exec
	s_and_saveexec_b64 s[48:49], s[38:39]
	s_cbranch_execz .LBB6_10596
	s_branch .LBB6_10600
.LBB6_10599:                            ;   in Loop: Header=BB6_10597 Depth=3
	s_trap 2
	ds_read_b64 v[0:1], v0
	s_andn2_b64 s[44:45], s[38:39], exec
	s_mov_b32 s9, 0
	s_waitcnt vmcnt(0) lgkmcnt(0)
	flat_load_dword v0, v[0:1] glc
	s_waitcnt vmcnt(0) lgkmcnt(0)
	buffer_wbinvl1_vol
	v_cmp_eq_u32_e32 vcc, 0, v0
	s_and_b64 vcc, vcc, exec
	s_or_b64 s[38:39], s[44:45], vcc
	s_mov_b64 vcc, -1
	s_or_b64 s[36:37], s[36:37], exec
	s_and_saveexec_b64 s[48:49], s[38:39]
	s_cbranch_execz .LBB6_10596
.LBB6_10600:                            ;   in Loop: Header=BB6_10597 Depth=3
	s_sleep 1
	s_trap 2
	ds_read_b64 v[0:1], v0
	s_waitcnt lgkmcnt(0)
	buffer_load_dword v2, off, s[0:3], s33 offset:76 ; 4-byte Folded Reload
	buffer_load_dword v3, off, s[0:3], s33 offset:80 ; 4-byte Folded Reload
	s_andn2_b64 s[36:37], s[36:37], exec
	s_waitcnt vmcnt(0)
	v_cmp_ge_u64_e32 vcc, v[0:1], v[2:3]
	s_orn2_b64 vcc, vcc, exec
	s_branch .LBB6_10596
.LBB6_10601:                            ;   in Loop: Header=BB6_10563 Depth=2
	s_or_b64 exec, exec, s[30:31]
	s_and_saveexec_b64 s[44:45], s[34:35]
	s_xor_b64 s[44:45], exec, s[44:45]
	s_cbranch_execz .LBB6_10603
; %bb.10602:                            ;   in Loop: Header=BB6_10563 Depth=2
	v_mov_b32_e32 v0, 1
	ds_write_b32 v0, v0
	s_trap 2
.LBB6_10603:                            ;   in Loop: Header=BB6_10563 Depth=2
	s_or_b64 exec, exec, s[94:95]
	;;#ASMSTART
	s_wakeup
	;;#ASMEND
.LBB6_10604:                            ;   in Loop: Header=BB6_10563 Depth=2
	s_or_b64 exec, exec, s[92:93]
.LBB6_10605:                            ;   in Loop: Header=BB6_10563 Depth=2
	s_andn2_saveexec_b64 s[90:91], s[90:91]
	s_cbranch_execz .LBB6_10607
; %bb.10606:                            ;   in Loop: Header=BB6_10563 Depth=2
	s_waitcnt vmcnt(0) lgkmcnt(0)
	buffer_wbinvl1_vol
	s_barrier
.LBB6_10607:                            ;   in Loop: Header=BB6_10563 Depth=2
	s_or_b64 exec, exec, s[90:91]
.LBB6_10608:                            ;   in Loop: Header=BB6_10563 Depth=2
	s_or_b64 exec, exec, s[28:29]
                                        ; implicit-def: $vgpr0
	s_and_saveexec_b64 s[28:29], s[24:25]
	s_xor_b64 s[28:29], exec, s[28:29]
	s_cbranch_execz .LBB6_10612
; %bb.10609:                            ;   in Loop: Header=BB6_10563 Depth=2
	s_trap 2
	buffer_load_dword v1, off, s[0:3], s33 offset:72 ; 4-byte Folded Reload
	ds_read_b32 v0, v0
	v_cmp_lt_i32_e32 vcc, 0, v8
	s_waitcnt lgkmcnt(0)
	v_readfirstlane_b32 s9, v0
	s_cmp_eq_u32 s9, 0
	s_cselect_b64 s[44:45], -1, 0
	s_and_b64 s[44:45], vcc, s[44:45]
	s_waitcnt vmcnt(0)
	v_and_b32_e32 v0, 16, v1
	v_and_b32_e32 v1, 16, v1
	v_cmp_ne_u32_e32 vcc, 0, v1
	s_and_b64 s[44:45], vcc, s[44:45]
	s_and_saveexec_b64 s[90:91], s[44:45]
	s_cbranch_execz .LBB6_10611
; %bb.10610:                            ;   in Loop: Header=BB6_10563 Depth=2
	v_mov_b32_e32 v0, 1
	buffer_wbinvl1_vol
.LBB6_10611:                            ;   in Loop: Header=BB6_10563 Depth=2
	s_or_b64 exec, exec, s[90:91]
	s_andn2_saveexec_b64 s[28:29], s[28:29]
	s_cbranch_execz .LBB6_10631
	s_branch .LBB6_10613
.LBB6_10612:                            ;   in Loop: Header=BB6_10563 Depth=2
	s_andn2_saveexec_b64 s[28:29], s[28:29]
	s_cbranch_execz .LBB6_10631
.LBB6_10613:                            ;   in Loop: Header=BB6_10563 Depth=2
	s_and_saveexec_b64 s[44:45], s[58:59]
	s_xor_b64 s[90:91], exec, s[44:45]
	s_cbranch_execz .LBB6_10628
; %bb.10614:                            ;   in Loop: Header=BB6_10563 Depth=2
	s_and_saveexec_b64 s[92:93], s[16:17]
	s_cbranch_execz .LBB6_10627
; %bb.10615:                            ;   in Loop: Header=BB6_10563 Depth=2
	s_mov_b64 s[30:31], exec
	v_mbcnt_lo_u32_b32 v0, s30, 0
	v_mbcnt_hi_u32_b32 v0, s31, v0
	v_cmp_eq_u32_e32 vcc, 0, v0
	;;#ASMSTART
	s_waitcnt lgkmcnt(0) vmcnt(0)
	;;#ASMEND
	s_and_saveexec_b64 s[94:95], vcc
	s_cbranch_execz .LBB6_10617
; %bb.10616:                            ;   in Loop: Header=BB6_10563 Depth=2
	s_bcnt1_i32_b64 s9, s[30:31]
	v_mov_b32_e32 v20, s9
	s_waitcnt lgkmcnt(0)
	ds_add_u64 v0, v[20:21]
	s_trap 2
.LBB6_10617:                            ;   in Loop: Header=BB6_10563 Depth=2
	s_or_b64 exec, exec, s[94:95]
	s_trap 2
	ds_read_b64 v[0:1], v0
	s_waitcnt lgkmcnt(0)
	buffer_load_dword v2, off, s[0:3], s33 offset:76 ; 4-byte Folded Reload
	buffer_load_dword v3, off, s[0:3], s33 offset:80 ; 4-byte Folded Reload
	s_waitcnt vmcnt(1)
	v_add_co_u32_e32 v2, vcc, v2, v49
	s_waitcnt vmcnt(0)
	v_addc_co_u32_e32 v3, vcc, 0, v3, vcc
	buffer_store_dword v2, off, s[0:3], s33 offset:76 ; 4-byte Folded Spill
	s_nop 0
	buffer_store_dword v3, off, s[0:3], s33 offset:80 ; 4-byte Folded Spill
	v_cmp_lt_u64_e32 vcc, v[0:1], v[2:3]
	s_and_saveexec_b64 s[94:95], vcc
	s_cbranch_execz .LBB6_10626
; %bb.10618:                            ;   in Loop: Header=BB6_10563 Depth=2
	s_mov_b32 s9, 0
	s_mov_b64 s[30:31], 0
                                        ; implicit-def: $sgpr34_sgpr35
                                        ; implicit-def: $sgpr36_sgpr37
	s_branch .LBB6_10620
.LBB6_10619:                            ;   in Loop: Header=BB6_10620 Depth=3
	s_or_b64 exec, exec, s[48:49]
	s_and_b64 s[44:45], exec, vcc
	s_or_b64 s[30:31], s[44:45], s[30:31]
	s_andn2_b64 s[44:45], s[34:35], exec
	s_and_b64 vcc, s[36:37], exec
	s_or_b64 s[34:35], s[44:45], vcc
	s_andn2_b64 exec, exec, s[30:31]
	s_cbranch_execz .LBB6_10624
.LBB6_10620:                            ;   Parent Loop BB6_47 Depth=1
                                        ;     Parent Loop BB6_10563 Depth=2
                                        ; =>    This Inner Loop Header: Depth=3
	s_add_i32 s9, s9, 1
	s_cmpk_lg_i32 s9, 0x2710
	s_cselect_b64 s[38:39], -1, 0
	s_and_b64 vcc, exec, s[38:39]
	s_cbranch_vccz .LBB6_10622
; %bb.10621:                            ;   in Loop: Header=BB6_10620 Depth=3
	s_mov_b64 vcc, -1
	s_or_b64 s[36:37], s[36:37], exec
	s_and_saveexec_b64 s[48:49], s[38:39]
	s_cbranch_execz .LBB6_10619
	s_branch .LBB6_10623
.LBB6_10622:                            ;   in Loop: Header=BB6_10620 Depth=3
	s_trap 2
	ds_read_b64 v[0:1], v0
	s_andn2_b64 s[44:45], s[38:39], exec
	s_mov_b32 s9, 0
	s_waitcnt vmcnt(0) lgkmcnt(0)
	flat_load_dword v0, v[0:1] glc
	s_waitcnt vmcnt(0) lgkmcnt(0)
	buffer_wbinvl1_vol
	v_cmp_eq_u32_e32 vcc, 0, v0
	s_and_b64 vcc, vcc, exec
	s_or_b64 s[38:39], s[44:45], vcc
	s_mov_b64 vcc, -1
	s_or_b64 s[36:37], s[36:37], exec
	s_and_saveexec_b64 s[48:49], s[38:39]
	s_cbranch_execz .LBB6_10619
.LBB6_10623:                            ;   in Loop: Header=BB6_10620 Depth=3
	s_sleep 1
	s_trap 2
	ds_read_b64 v[0:1], v0
	s_waitcnt lgkmcnt(0)
	buffer_load_dword v2, off, s[0:3], s33 offset:76 ; 4-byte Folded Reload
	buffer_load_dword v3, off, s[0:3], s33 offset:80 ; 4-byte Folded Reload
	s_andn2_b64 s[36:37], s[36:37], exec
	s_waitcnt vmcnt(0)
	v_cmp_ge_u64_e32 vcc, v[0:1], v[2:3]
	s_orn2_b64 vcc, vcc, exec
	s_branch .LBB6_10619
.LBB6_10624:                            ;   in Loop: Header=BB6_10563 Depth=2
	s_or_b64 exec, exec, s[30:31]
	s_and_saveexec_b64 s[44:45], s[34:35]
	s_xor_b64 s[44:45], exec, s[44:45]
	s_cbranch_execz .LBB6_10626
; %bb.10625:                            ;   in Loop: Header=BB6_10563 Depth=2
	v_mov_b32_e32 v0, 1
	ds_write_b32 v0, v0
	s_trap 2
.LBB6_10626:                            ;   in Loop: Header=BB6_10563 Depth=2
	s_or_b64 exec, exec, s[94:95]
	;;#ASMSTART
	s_wakeup
	;;#ASMEND
.LBB6_10627:                            ;   in Loop: Header=BB6_10563 Depth=2
	s_or_b64 exec, exec, s[92:93]
.LBB6_10628:                            ;   in Loop: Header=BB6_10563 Depth=2
	s_andn2_saveexec_b64 s[90:91], s[90:91]
	s_cbranch_execz .LBB6_10630
; %bb.10629:                            ;   in Loop: Header=BB6_10563 Depth=2
	;;#ASMSTART
	s_waitcnt lgkmcnt(0) vmcnt(0)
	;;#ASMEND
	s_waitcnt vmcnt(0) lgkmcnt(0)
	s_barrier
.LBB6_10630:                            ;   in Loop: Header=BB6_10563 Depth=2
	s_or_b64 exec, exec, s[90:91]
	buffer_load_dword v0, off, s[0:3], s33 offset:72 ; 4-byte Folded Reload
	s_waitcnt vmcnt(0)
	v_and_b32_e32 v0, 16, v0
.LBB6_10631:                            ;   in Loop: Header=BB6_10563 Depth=2
	s_or_b64 exec, exec, s[28:29]
	v_cmp_ne_u32_e32 vcc, 0, v0
	s_xor_b64 s[28:29], s[12:13], -1
	s_and_b64 s[44:45], vcc, s[28:29]
	s_and_saveexec_b64 s[28:29], s[44:45]
	s_cbranch_execz .LBB6_10633
; %bb.10632:                            ;   in Loop: Header=BB6_10563 Depth=2
	buffer_load_dword v0, off, s[0:3], s33 offset:228 ; 4-byte Folded Reload
	buffer_load_dword v1, off, s[0:3], s33 offset:232 ; 4-byte Folded Reload
	v_mov_b32_e32 v2, 1
	s_waitcnt vmcnt(0)
	flat_store_dword v[0:1], v2
.LBB6_10633:                            ;   in Loop: Header=BB6_10563 Depth=2
	s_or_b64 exec, exec, s[28:29]
	buffer_load_dword v0, off, s[0:3], s33 offset:72 ; 4-byte Folded Reload
	s_waitcnt vmcnt(0)
	v_and_b32_e32 v0, 48, v0
	v_cmp_ne_u32_e32 vcc, 0, v0
	s_and_saveexec_b64 s[28:29], vcc
	s_cbranch_execz .LBB6_10562
; %bb.10634:                            ;   in Loop: Header=BB6_10563 Depth=2
	buffer_load_dword v2, off, s[0:3], s33 offset:84 ; 4-byte Folded Reload
	buffer_load_dword v3, off, s[0:3], s33 offset:88 ; 4-byte Folded Reload
	;; [unrolled: 1-line block ×4, first 2 shown]
	s_waitcnt vmcnt(0)
	v_add_co_u32_e32 v2, vcc, 2, v2
	v_addc_co_u32_e32 v3, vcc, 0, v3, vcc
	buffer_store_dword v2, off, s[0:3], s33 offset:84 ; 4-byte Folded Spill
	s_nop 0
	buffer_store_dword v3, off, s[0:3], s33 offset:88 ; 4-byte Folded Spill
	flat_store_dwordx2 v[0:1], v[2:3]
	s_branch .LBB6_10562
.LBB6_10635:                            ;   in Loop: Header=BB6_47 Depth=1
	s_or_b64 exec, exec, s[92:93]
	s_or_b64 exec, exec, s[90:91]
	v_cmp_gt_i32_e32 vcc, 2, v2
	s_and_saveexec_b64 s[40:41], vcc
	s_cbranch_execnz .LBB6_10561
.LBB6_10636:                            ;   in Loop: Header=BB6_47 Depth=1
	s_or_b64 exec, exec, s[40:41]
	s_and_b64 vcc, exec, s[26:27]
	s_cbranch_vccz .LBB6_10638
	s_branch .LBB6_10898
.LBB6_10637:                            ;   in Loop: Header=BB6_47 Depth=1
	s_or_b64 exec, exec, s[42:43]
	s_or_b64 exec, exec, s[40:41]
	s_and_b64 vcc, exec, s[26:27]
	s_cbranch_vccnz .LBB6_10898
.LBB6_10638:                            ;   in Loop: Header=BB6_47 Depth=1
	s_mov_b32 s44, 1
.LBB6_10639:                            ;   Parent Loop BB6_47 Depth=1
                                        ; =>  This Loop Header: Depth=2
                                        ;       Child Loop BB6_10642 Depth 3
                                        ;         Child Loop BB6_10650 Depth 4
                                        ;         Child Loop BB6_10678 Depth 4
	;; [unrolled: 1-line block ×9, first 2 shown]
                                        ;           Child Loop BB6_10732 Depth 5
                                        ;         Child Loop BB6_10741 Depth 4
                                        ;         Child Loop BB6_10746 Depth 4
                                        ;           Child Loop BB6_10747 Depth 5
                                        ;         Child Loop BB6_10785 Depth 4
                                        ;         Child Loop BB6_10804 Depth 4
                                        ;       Child Loop BB6_10822 Depth 3
                                        ;         Child Loop BB6_10828 Depth 4
                                        ;         Child Loop BB6_10856 Depth 4
	;; [unrolled: 1-line block ×3, first 2 shown]
	buffer_load_dword v4, off, s[0:3], s33 offset:364 ; 4-byte Folded Reload
	buffer_load_dword v5, off, s[0:3], s33 offset:368 ; 4-byte Folded Reload
	s_sub_i32 s9, s84, s44
	s_cmp_ge_i32 s9, s66
	s_cselect_b32 s26, s66, 0
	s_sub_i32 s9, s9, s26
	s_ashr_i32 s28, s9, 31
	v_mov_b32_e32 v7, 0
	s_waitcnt vmcnt(0)
	v_mad_u64_u32 v[0:1], s[26:27], v4, s9, 0
	v_mul_lo_u32 v2, v5, s9
	v_mul_lo_u32 v3, v4, s28
	v_add3_u32 v1, v1, v3, v2
	buffer_load_dword v2, off, s[0:3], s33 offset:356 ; 4-byte Folded Reload
	buffer_load_dword v3, off, s[0:3], s33 offset:360 ; 4-byte Folded Reload
	s_waitcnt vmcnt(0)
	v_sub_co_u32_e32 v2, vcc, v2, v0
	v_subb_co_u32_e32 v3, vcc, v3, v1, vcc
	v_cmp_lt_i64_e32 vcc, v[4:5], v[2:3]
	v_cndmask_b32_e32 v2, v2, v4, vcc
	v_max_i32_e32 v6, 0, v2
	v_add_u32_e32 v3, 31, v6
	v_lshrrev_b32_e32 v3, 1, v3
	v_and_b32_e32 v3, 0x3ffffff0, v3
	v_cmp_lt_i32_e32 vcc, 0, v2
	v_max_i32_e32 v4, s87, v3
	s_and_b64 s[26:27], s[76:77], vcc
	v_mov_b32_e32 v2, 0
	s_and_saveexec_b64 s[42:43], s[26:27]
	s_cbranch_execz .LBB6_10819
; %bb.10640:                            ;   in Loop: Header=BB6_10639 Depth=2
	buffer_load_dword v2, off, s[0:3], s33 offset:288 ; 4-byte Folded Reload
	s_mov_b32 s45, 1
	s_mov_b64 s[92:93], -1
	v_mov_b32_e32 v7, 0
	s_mov_b64 s[90:91], 0
	s_waitcnt vmcnt(0)
	v_add_co_u32_e32 v22, vcc, v0, v2
	buffer_load_dword v0, off, s[0:3], s33 offset:292 ; 4-byte Folded Reload
	s_waitcnt vmcnt(0)
	v_addc_co_u32_e32 v23, vcc, v1, v0, vcc
	s_branch .LBB6_10642
.LBB6_10641:                            ;   in Loop: Header=BB6_10642 Depth=3
	s_or_b64 exec, exec, s[26:27]
	v_add_u32_e32 v7, v4, v7
	v_cmp_ge_i32_e32 vcc, v7, v6
	s_xor_b64 s[26:27], s[92:93], -1
	s_or_b64 s[26:27], s[26:27], vcc
	s_and_b64 s[26:27], exec, s[26:27]
	s_or_b64 s[90:91], s[26:27], s[90:91]
	s_mov_b64 s[92:93], 0
	v_mov_b32_e32 v2, s45
	s_mov_b32 s45, 2
	s_andn2_b64 exec, exec, s[90:91]
	s_cbranch_execz .LBB6_10894
.LBB6_10642:                            ;   Parent Loop BB6_47 Depth=1
                                        ;     Parent Loop BB6_10639 Depth=2
                                        ; =>    This Loop Header: Depth=3
                                        ;         Child Loop BB6_10650 Depth 4
                                        ;         Child Loop BB6_10678 Depth 4
	;; [unrolled: 1-line block ×9, first 2 shown]
                                        ;           Child Loop BB6_10732 Depth 5
                                        ;         Child Loop BB6_10741 Depth 4
                                        ;         Child Loop BB6_10746 Depth 4
                                        ;           Child Loop BB6_10747 Depth 5
                                        ;         Child Loop BB6_10785 Depth 4
                                        ;         Child Loop BB6_10804 Depth 4
	s_and_saveexec_b64 s[26:27], s[4:5]
	s_cbranch_execz .LBB6_10644
; %bb.10643:                            ;   in Loop: Header=BB6_10642 Depth=3
	s_trap 2
	ds_read_b128 v[0:3], v0
	v_ashrrev_i32_e32 v5, 31, v7
	s_waitcnt lgkmcnt(0)
	v_add_co_u32_e32 v0, vcc, v0, v22
	v_addc_co_u32_e32 v1, vcc, v1, v23, vcc
	v_add_co_u32_e32 v0, vcc, v0, v7
	v_addc_co_u32_e32 v1, vcc, v1, v5, vcc
	ds_write_b64 v0, v[0:1]
	v_add_co_u32_e32 v0, vcc, v2, v22
	v_addc_co_u32_e32 v1, vcc, v3, v23, vcc
	v_add_co_u32_e32 v0, vcc, v0, v7
	v_addc_co_u32_e32 v1, vcc, v1, v5, vcc
	v_cmp_ne_u64_e32 vcc, 0, v[2:3]
	v_cndmask_b32_e32 v1, 0, v1, vcc
	v_cndmask_b32_e32 v0, 0, v0, vcc
	ds_write_b64 v0, v[0:1]
.LBB6_10644:                            ;   in Loop: Header=BB6_10642 Depth=3
	s_or_b64 exec, exec, s[26:27]
	v_sub_u32_e32 v0, v6, v7
	v_min_i32_e32 v4, v4, v0
	buffer_load_dword v0, off, s[0:3], s33 offset:72 ; 4-byte Folded Reload
	s_waitcnt vmcnt(0)
	v_and_b32_e32 v0, 12, v0
	v_cmp_ne_u32_e32 vcc, 0, v0
	s_and_saveexec_b64 s[28:29], vcc
	s_cbranch_execz .LBB6_10670
; %bb.10645:                            ;   in Loop: Header=BB6_10642 Depth=3
	buffer_load_dword v0, off, s[0:3], s33 offset:72 ; 4-byte Folded Reload
	s_waitcnt vmcnt(0)
	v_and_b32_e32 v10, 8, v0
	buffer_load_dword v0, off, s[0:3], s33 offset:56 ; 4-byte Folded Reload
	buffer_load_dword v1, off, s[0:3], s33 offset:60 ; 4-byte Folded Reload
	;; [unrolled: 1-line block ×4, first 2 shown]
	s_waitcnt vmcnt(0)
	v_add_co_u32_e32 v0, vcc, v0, v10
	v_addc_co_u32_e32 v1, vcc, 0, v1, vcc
	v_add_co_u32_e32 v8, vcc, 2, v2
	v_addc_co_u32_e32 v9, vcc, 0, v3, vcc
	v_cmp_lt_u64_e32 vcc, v[0:1], v[8:9]
	s_and_saveexec_b64 s[40:41], vcc
	s_cbranch_execz .LBB6_10657
; %bb.10646:                            ;   in Loop: Header=BB6_10642 Depth=3
	buffer_load_dword v0, off, s[0:3], s33 offset:72 ; 4-byte Folded Reload
	s_mov_b32 s9, 0
	s_mov_b64 s[94:95], 0
                                        ; implicit-def: $sgpr30_sgpr31
                                        ; implicit-def: $sgpr34_sgpr35
                                        ; implicit-def: $sgpr36_sgpr37
	s_waitcnt vmcnt(0)
	v_and_b32_e32 v0, 64, v0
	v_cmp_eq_u32_e32 vcc, 0, v0
	s_branch .LBB6_10650
.LBB6_10647:                            ;   in Loop: Header=BB6_10650 Depth=4
	buffer_load_dword v1, off, s[0:3], s33 offset:56 ; 4-byte Folded Reload
	buffer_load_dword v2, off, s[0:3], s33 offset:60 ; 4-byte Folded Reload
	s_or_b64 s[50:51], s[50:51], exec
	s_waitcnt vmcnt(1)
	v_add_co_u32_e64 v1, s[26:27], v1, v10
	s_waitcnt vmcnt(0)
	v_addc_co_u32_e64 v2, s[26:27], 0, v2, s[26:27]
	v_cmp_ge_u64_e64 s[26:27], v[1:2], v[8:9]
	s_orn2_b64 s[48:49], s[26:27], exec
.LBB6_10648:                            ;   in Loop: Header=BB6_10650 Depth=4
	s_or_b64 exec, exec, s[54:55]
	s_andn2_b64 s[26:27], s[36:37], exec
	s_and_b64 s[36:37], s[50:51], exec
	s_or_b64 s[36:37], s[26:27], s[36:37]
	s_andn2_b64 s[26:27], s[34:35], exec
	s_and_b64 s[34:35], s[48:49], exec
	s_or_b64 s[34:35], s[26:27], s[34:35]
.LBB6_10649:                            ;   in Loop: Header=BB6_10650 Depth=4
	s_or_b64 exec, exec, s[38:39]
	s_and_b64 s[26:27], exec, s[34:35]
	s_or_b64 s[94:95], s[26:27], s[94:95]
	s_andn2_b64 s[26:27], s[30:31], exec
	s_and_b64 s[30:31], s[36:37], exec
	s_or_b64 s[30:31], s[26:27], s[30:31]
	s_andn2_b64 exec, exec, s[94:95]
	s_cbranch_execz .LBB6_10654
.LBB6_10650:                            ;   Parent Loop BB6_47 Depth=1
                                        ;     Parent Loop BB6_10639 Depth=2
                                        ;       Parent Loop BB6_10642 Depth=3
                                        ; =>      This Inner Loop Header: Depth=4
	s_sleep 1
	buffer_load_dword v0, off, s[0:3], s33 offset:64 ; 4-byte Folded Reload
	buffer_load_dword v1, off, s[0:3], s33 offset:68 ; 4-byte Folded Reload
	s_or_b64 s[36:37], s[36:37], exec
	s_or_b64 s[34:35], s[34:35], exec
	s_waitcnt vmcnt(0)
	flat_load_dwordx2 v[0:1], v[0:1] glc
	s_waitcnt vmcnt(0) lgkmcnt(0)
	buffer_store_dword v0, off, s[0:3], s33 offset:56 ; 4-byte Folded Spill
	s_nop 0
	buffer_store_dword v1, off, s[0:3], s33 offset:60 ; 4-byte Folded Spill
                                        ; implicit-def: $vgpr0
	s_and_saveexec_b64 s[38:39], vcc
	s_cbranch_execz .LBB6_10649
; %bb.10651:                            ;   in Loop: Header=BB6_10650 Depth=4
	s_cmpk_lt_i32 s9, 0x270f
	s_cselect_b64 s[52:53], -1, 0
	s_cmpk_gt_i32 s9, 0x270e
	s_mov_b64 s[48:49], -1
	s_cbranch_scc0 .LBB6_10653
; %bb.10652:                            ;   in Loop: Header=BB6_10650 Depth=4
	s_trap 2
	ds_read_b64 v[0:1], v0
	s_andn2_b64 s[52:53], s[52:53], exec
	s_mov_b32 s9, 0
	s_mov_b64 s[50:51], 0
	s_waitcnt vmcnt(0) lgkmcnt(0)
	flat_load_dword v0, v[0:1] glc
	s_waitcnt vmcnt(0) lgkmcnt(0)
	buffer_wbinvl1_vol
	v_cmp_eq_u32_e64 s[26:27], 0, v0
	s_and_b64 s[26:27], s[26:27], exec
	s_or_b64 s[52:53], s[52:53], s[26:27]
	s_and_saveexec_b64 s[54:55], s[52:53]
	s_cbranch_execz .LBB6_10648
	s_branch .LBB6_10647
.LBB6_10653:                            ;   in Loop: Header=BB6_10650 Depth=4
	s_add_i32 s9, s9, 1
	s_mov_b64 s[50:51], -1
                                        ; implicit-def: $vgpr0
	s_and_saveexec_b64 s[54:55], s[52:53]
	s_cbranch_execz .LBB6_10648
	s_branch .LBB6_10647
.LBB6_10654:                            ;   in Loop: Header=BB6_10642 Depth=3
	s_or_b64 exec, exec, s[94:95]
	s_xor_b64 s[26:27], s[30:31], -1
	s_and_saveexec_b64 s[94:95], s[26:27]
	s_xor_b64 s[26:27], exec, s[94:95]
	s_cbranch_execz .LBB6_10656
; %bb.10655:                            ;   in Loop: Header=BB6_10642 Depth=3
	ds_write_b32 v0, v0
	s_trap 2
	buffer_load_dword v0, off, s[0:3], s33 offset:72 ; 4-byte Folded Reload
	s_waitcnt vmcnt(0)
	v_or_b32_e32 v0, 64, v0
	buffer_store_dword v0, off, s[0:3], s33 offset:72 ; 4-byte Folded Spill
.LBB6_10656:                            ;   in Loop: Header=BB6_10642 Depth=3
	s_or_b64 exec, exec, s[26:27]
.LBB6_10657:                            ;   in Loop: Header=BB6_10642 Depth=3
	s_or_b64 exec, exec, s[40:41]
	;;#ASMSTART
	s_wakeup
	;;#ASMEND
	buffer_load_dword v0, off, s[0:3], s33 offset:72 ; 4-byte Folded Reload
	s_waitcnt vmcnt(0)
	v_and_b32_e32 v0, 0x108, v0
	v_cmp_ne_u32_e32 vcc, s71, v0
	s_and_saveexec_b64 s[26:27], vcc
	s_xor_b64 s[26:27], exec, s[26:27]
                                        ; implicit-def: $vgpr11
	s_cbranch_execz .LBB6_10659
; %bb.10658:                            ;   in Loop: Header=BB6_10642 Depth=3
	buffer_load_dword v0, off, s[0:3], s33 offset:84 ; 4-byte Folded Reload
	buffer_load_dword v1, off, s[0:3], s33 offset:88 ; 4-byte Folded Reload
	s_waitcnt vmcnt(0)
	v_and_b32_e32 v11, 7, v0
                                        ; implicit-def: $vgpr0_vgpr1
                                        ; kill: killed $vgpr0_vgpr1
.LBB6_10659:                            ;   in Loop: Header=BB6_10642 Depth=3
	s_andn2_saveexec_b64 s[26:27], s[26:27]
	s_cbranch_execz .LBB6_10661
; %bb.10660:                            ;   in Loop: Header=BB6_10642 Depth=3
	buffer_load_dword v0, off, s[0:3], s33 offset:84 ; 4-byte Folded Reload
	buffer_load_dword v1, off, s[0:3], s33 offset:88 ; 4-byte Folded Reload
	v_ashrrev_i32_e32 v5, 31, v4
	s_waitcnt vmcnt(0)
	v_and_b32_e32 v11, 7, v0
	buffer_load_dword v0, off, s[0:3], s33 offset:212 ; 4-byte Folded Reload
	buffer_load_dword v1, off, s[0:3], s33 offset:216 ; 4-byte Folded Reload
	;; [unrolled: 1-line block ×4, first 2 shown]
	s_waitcnt vmcnt(0)
	v_mad_u64_u32 v[0:1], s[40:41], v11, 24, v[0:1]
	flat_store_dwordx2 v[0:1], v[4:5] offset:8
.LBB6_10661:                            ;   in Loop: Header=BB6_10642 Depth=3
	s_or_b64 exec, exec, s[26:27]
	buffer_load_dword v0, off, s[0:3], s33 offset:72 ; 4-byte Folded Reload
	s_mov_b64 s[26:27], -1
	s_waitcnt vmcnt(0)
	v_and_b32_e32 v0, 0x100, v0
	v_cmp_ne_u32_e32 vcc, 0, v0
                                        ; implicit-def: $vgpr0_vgpr1
	s_and_saveexec_b64 s[40:41], vcc
	s_cbranch_execz .LBB6_10665
; %bb.10662:                            ;   in Loop: Header=BB6_10642 Depth=3
	buffer_load_dword v0, off, s[0:3], s33 offset:212 ; 4-byte Folded Reload
	buffer_load_dword v1, off, s[0:3], s33 offset:216 ; 4-byte Folded Reload
	;; [unrolled: 1-line block ×4, first 2 shown]
	s_waitcnt vmcnt(0)
	v_mad_u64_u32 v[2:3], s[26:27], v11, 24, v[0:1]
	v_mov_b32_e32 v0, v3
	v_mad_u64_u32 v[0:1], s[26:27], v21, 24, v[0:1]
	v_mov_b32_e32 v3, v0
	flat_load_dword v0, v[2:3]
	s_waitcnt vmcnt(0) lgkmcnt(0)
	v_cmp_ne_u32_e32 vcc, 1, v0
	v_cmp_eq_u32_e64 s[26:27], 1, v0
                                        ; implicit-def: $vgpr0_vgpr1
	s_and_saveexec_b64 s[94:95], s[26:27]
	s_cbranch_execz .LBB6_10664
; %bb.10663:                            ;   in Loop: Header=BB6_10642 Depth=3
	flat_load_dword v0, v[2:3] offset:4 glc
	s_waitcnt vmcnt(0) lgkmcnt(0)
	v_ashrrev_i32_e32 v1, 31, v0
.LBB6_10664:                            ;   in Loop: Header=BB6_10642 Depth=3
	s_or_b64 exec, exec, s[94:95]
	s_orn2_b64 s[26:27], vcc, exec
.LBB6_10665:                            ;   in Loop: Header=BB6_10642 Depth=3
	s_or_b64 exec, exec, s[40:41]
	s_and_saveexec_b64 s[40:41], s[26:27]
	s_cbranch_execz .LBB6_10667
; %bb.10666:                            ;   in Loop: Header=BB6_10642 Depth=3
	buffer_load_dword v0, off, s[0:3], s33 offset:244 ; 4-byte Folded Reload
	buffer_load_dword v1, off, s[0:3], s33 offset:264 ; 4-byte Folded Reload
	s_waitcnt vmcnt(0)
	v_mul_lo_u32 v2, v21, v0
	v_mul_lo_u32 v3, v11, v1
	v_mad_u64_u32 v[0:1], s[26:27], v11, v0, 0
	v_add3_u32 v1, v1, v3, v2
.LBB6_10667:                            ;   in Loop: Header=BB6_10642 Depth=3
	s_or_b64 exec, exec, s[40:41]
	v_cmp_eq_u32_e32 vcc, 0, v10
	buffer_load_dword v10, off, s[0:3], s33 offset:204 ; 4-byte Folded Reload
	buffer_load_dword v11, off, s[0:3], s33 offset:208 ; 4-byte Folded Reload
	v_mov_b32_e32 v2, 0xd0
	v_mov_b32_e32 v3, 0x88
	v_cndmask_b32_e32 v2, v2, v3, vcc
	s_waitcnt vmcnt(0)
	v_add_co_u32_e32 v0, vcc, v10, v0
	v_addc_co_u32_e32 v1, vcc, v11, v1, vcc
	v_add_u32_e32 v2, v0, v2
	ds_write_b64 v2, v[0:1] offset:584
	buffer_load_dword v0, off, s[0:3], s33 offset:72 ; 4-byte Folded Reload
	s_waitcnt vmcnt(0)
	v_and_b32_e32 v0, 0x2000, v0
	v_cmp_ne_u32_e32 vcc, 0, v0
	s_and_saveexec_b64 s[26:27], vcc
	s_cbranch_execz .LBB6_10669
; %bb.10668:                            ;   in Loop: Header=BB6_10642 Depth=3
	ds_read_b64 v[0:1], v0 offset:872
	s_waitcnt lgkmcnt(0)
	v_add_co_u32_e32 v0, vcc, 1, v0
	v_addc_co_u32_e32 v1, vcc, 0, v1, vcc
	ds_write_b64 v0, v[0:1] offset:872
.LBB6_10669:                            ;   in Loop: Header=BB6_10642 Depth=3
	s_or_b64 exec, exec, s[26:27]
	buffer_store_dword v8, off, s[0:3], s33 offset:84 ; 4-byte Folded Spill
	s_nop 0
	buffer_store_dword v9, off, s[0:3], s33 offset:88 ; 4-byte Folded Spill
.LBB6_10670:                            ;   in Loop: Header=BB6_10642 Depth=3
	s_or_b64 exec, exec, s[28:29]
	s_and_saveexec_b64 s[26:27], s[10:11]
	s_cbranch_execz .LBB6_10689
; %bb.10671:                            ;   in Loop: Header=BB6_10642 Depth=3
	s_and_saveexec_b64 s[28:29], s[58:59]
	s_xor_b64 s[28:29], exec, s[28:29]
	s_cbranch_execz .LBB6_10686
; %bb.10672:                            ;   in Loop: Header=BB6_10642 Depth=3
	s_and_saveexec_b64 s[40:41], s[16:17]
	s_cbranch_execz .LBB6_10685
; %bb.10673:                            ;   in Loop: Header=BB6_10642 Depth=3
	s_mov_b64 s[30:31], exec
	v_mbcnt_lo_u32_b32 v0, s30, 0
	v_mbcnt_hi_u32_b32 v0, s31, v0
	v_cmp_eq_u32_e32 vcc, 0, v0
	s_waitcnt vmcnt(0) lgkmcnt(0)
	buffer_wbinvl1_vol
	s_and_saveexec_b64 s[94:95], vcc
	s_cbranch_execz .LBB6_10675
; %bb.10674:                            ;   in Loop: Header=BB6_10642 Depth=3
	s_bcnt1_i32_b64 s9, s[30:31]
	v_mov_b32_e32 v20, s9
	ds_add_u64 v0, v[20:21]
	s_trap 2
.LBB6_10675:                            ;   in Loop: Header=BB6_10642 Depth=3
	s_or_b64 exec, exec, s[94:95]
	s_trap 2
	ds_read_b64 v[0:1], v0
	s_waitcnt lgkmcnt(0)
	buffer_load_dword v2, off, s[0:3], s33 offset:76 ; 4-byte Folded Reload
	buffer_load_dword v3, off, s[0:3], s33 offset:80 ; 4-byte Folded Reload
	s_waitcnt vmcnt(1)
	v_add_co_u32_e32 v2, vcc, v2, v49
	s_waitcnt vmcnt(0)
	v_addc_co_u32_e32 v3, vcc, 0, v3, vcc
	buffer_store_dword v2, off, s[0:3], s33 offset:76 ; 4-byte Folded Spill
	s_nop 0
	buffer_store_dword v3, off, s[0:3], s33 offset:80 ; 4-byte Folded Spill
	v_cmp_lt_u64_e32 vcc, v[0:1], v[2:3]
	s_and_saveexec_b64 s[94:95], vcc
	s_cbranch_execz .LBB6_10684
; %bb.10676:                            ;   in Loop: Header=BB6_10642 Depth=3
	s_mov_b32 s9, 0
	s_mov_b64 s[30:31], 0
                                        ; implicit-def: $sgpr34_sgpr35
                                        ; implicit-def: $sgpr36_sgpr37
	s_branch .LBB6_10678
.LBB6_10677:                            ;   in Loop: Header=BB6_10678 Depth=4
	s_or_b64 exec, exec, s[48:49]
	s_and_b64 vcc, exec, vcc
	s_or_b64 s[30:31], vcc, s[30:31]
	s_andn2_b64 vcc, s[34:35], exec
	s_and_b64 s[34:35], s[36:37], exec
	s_or_b64 s[34:35], vcc, s[34:35]
	s_andn2_b64 exec, exec, s[30:31]
	s_cbranch_execz .LBB6_10682
.LBB6_10678:                            ;   Parent Loop BB6_47 Depth=1
                                        ;     Parent Loop BB6_10639 Depth=2
                                        ;       Parent Loop BB6_10642 Depth=3
                                        ; =>      This Inner Loop Header: Depth=4
	s_add_i32 s9, s9, 1
	s_cmpk_lg_i32 s9, 0x2710
	s_cselect_b64 s[38:39], -1, 0
	s_and_b64 vcc, exec, s[38:39]
	s_cbranch_vccz .LBB6_10680
; %bb.10679:                            ;   in Loop: Header=BB6_10678 Depth=4
	s_mov_b64 vcc, -1
	s_or_b64 s[36:37], s[36:37], exec
	s_and_saveexec_b64 s[48:49], s[38:39]
	s_cbranch_execz .LBB6_10677
	s_branch .LBB6_10681
.LBB6_10680:                            ;   in Loop: Header=BB6_10678 Depth=4
	s_trap 2
	ds_read_b64 v[0:1], v0
	s_andn2_b64 s[38:39], s[38:39], exec
	s_mov_b32 s9, 0
	s_waitcnt vmcnt(0) lgkmcnt(0)
	flat_load_dword v0, v[0:1] glc
	s_waitcnt vmcnt(0) lgkmcnt(0)
	buffer_wbinvl1_vol
	v_cmp_eq_u32_e32 vcc, 0, v0
	s_and_b64 vcc, vcc, exec
	s_or_b64 s[38:39], s[38:39], vcc
	s_mov_b64 vcc, -1
	s_or_b64 s[36:37], s[36:37], exec
	s_and_saveexec_b64 s[48:49], s[38:39]
	s_cbranch_execz .LBB6_10677
.LBB6_10681:                            ;   in Loop: Header=BB6_10678 Depth=4
	s_sleep 1
	s_trap 2
	ds_read_b64 v[0:1], v0
	s_waitcnt lgkmcnt(0)
	buffer_load_dword v2, off, s[0:3], s33 offset:76 ; 4-byte Folded Reload
	buffer_load_dword v3, off, s[0:3], s33 offset:80 ; 4-byte Folded Reload
	s_andn2_b64 s[36:37], s[36:37], exec
	s_waitcnt vmcnt(0)
	v_cmp_ge_u64_e32 vcc, v[0:1], v[2:3]
	s_orn2_b64 vcc, vcc, exec
	s_branch .LBB6_10677
.LBB6_10682:                            ;   in Loop: Header=BB6_10642 Depth=3
	s_or_b64 exec, exec, s[30:31]
	s_and_saveexec_b64 vcc, s[34:35]
	s_xor_b64 vcc, exec, vcc
	s_cbranch_execz .LBB6_10684
; %bb.10683:                            ;   in Loop: Header=BB6_10642 Depth=3
	v_mov_b32_e32 v0, 1
	ds_write_b32 v0, v0
	s_trap 2
.LBB6_10684:                            ;   in Loop: Header=BB6_10642 Depth=3
	s_or_b64 exec, exec, s[94:95]
	;;#ASMSTART
	s_wakeup
	;;#ASMEND
.LBB6_10685:                            ;   in Loop: Header=BB6_10642 Depth=3
	s_or_b64 exec, exec, s[40:41]
.LBB6_10686:                            ;   in Loop: Header=BB6_10642 Depth=3
	s_andn2_saveexec_b64 s[28:29], s[28:29]
	s_cbranch_execz .LBB6_10688
; %bb.10687:                            ;   in Loop: Header=BB6_10642 Depth=3
	s_waitcnt vmcnt(0) lgkmcnt(0)
	buffer_wbinvl1_vol
	s_barrier
.LBB6_10688:                            ;   in Loop: Header=BB6_10642 Depth=3
	s_or_b64 exec, exec, s[28:29]
.LBB6_10689:                            ;   in Loop: Header=BB6_10642 Depth=3
	s_or_b64 exec, exec, s[26:27]
	s_trap 2
	buffer_load_dword v1, off, s[0:3], s33 offset:72 ; 4-byte Folded Reload
	ds_read_b32 v0, v0
	s_xor_b64 s[26:27], s[6:7], -1
	s_waitcnt vmcnt(0)
	v_and_b32_e32 v1, 0x4000, v1
	v_cmp_ne_u32_e32 vcc, 0, v1
	s_and_b64 s[28:29], s[26:27], vcc
	s_and_saveexec_b64 s[26:27], s[28:29]
	s_cbranch_execz .LBB6_10708
; %bb.10690:                            ;   in Loop: Header=BB6_10642 Depth=3
	s_and_saveexec_b64 s[28:29], s[58:59]
	s_xor_b64 s[28:29], exec, s[28:29]
	s_cbranch_execz .LBB6_10705
; %bb.10691:                            ;   in Loop: Header=BB6_10642 Depth=3
	s_and_saveexec_b64 s[40:41], s[16:17]
	s_cbranch_execz .LBB6_10704
; %bb.10692:                            ;   in Loop: Header=BB6_10642 Depth=3
	s_mov_b64 s[30:31], exec
	v_mbcnt_lo_u32_b32 v1, s30, 0
	v_mbcnt_hi_u32_b32 v1, s31, v1
	v_cmp_eq_u32_e32 vcc, 0, v1
	s_waitcnt lgkmcnt(0)
	buffer_wbinvl1_vol
	s_and_saveexec_b64 s[94:95], vcc
	s_cbranch_execz .LBB6_10694
; %bb.10693:                            ;   in Loop: Header=BB6_10642 Depth=3
	s_bcnt1_i32_b64 s9, s[30:31]
	v_mov_b32_e32 v20, s9
	ds_add_u64 v0, v[20:21]
	s_trap 2
.LBB6_10694:                            ;   in Loop: Header=BB6_10642 Depth=3
	s_or_b64 exec, exec, s[94:95]
	s_trap 2
	ds_read_b64 v[1:2], v0
	s_waitcnt lgkmcnt(0)
	buffer_load_dword v8, off, s[0:3], s33 offset:76 ; 4-byte Folded Reload
	buffer_load_dword v9, off, s[0:3], s33 offset:80 ; 4-byte Folded Reload
	s_waitcnt vmcnt(1)
	v_add_co_u32_e32 v8, vcc, v8, v49
	s_waitcnt vmcnt(0)
	v_addc_co_u32_e32 v9, vcc, 0, v9, vcc
	buffer_store_dword v8, off, s[0:3], s33 offset:76 ; 4-byte Folded Spill
	s_nop 0
	buffer_store_dword v9, off, s[0:3], s33 offset:80 ; 4-byte Folded Spill
	v_cmp_lt_u64_e32 vcc, v[1:2], v[8:9]
	s_and_saveexec_b64 s[94:95], vcc
	s_cbranch_execz .LBB6_10703
; %bb.10695:                            ;   in Loop: Header=BB6_10642 Depth=3
	s_mov_b32 s9, 0
	s_mov_b64 s[30:31], 0
                                        ; implicit-def: $sgpr34_sgpr35
                                        ; implicit-def: $sgpr36_sgpr37
	s_branch .LBB6_10697
.LBB6_10696:                            ;   in Loop: Header=BB6_10697 Depth=4
	s_or_b64 exec, exec, s[48:49]
	s_and_b64 vcc, exec, vcc
	s_or_b64 s[30:31], vcc, s[30:31]
	s_andn2_b64 vcc, s[34:35], exec
	s_and_b64 s[34:35], s[36:37], exec
	s_or_b64 s[34:35], vcc, s[34:35]
	s_andn2_b64 exec, exec, s[30:31]
	s_cbranch_execz .LBB6_10701
.LBB6_10697:                            ;   Parent Loop BB6_47 Depth=1
                                        ;     Parent Loop BB6_10639 Depth=2
                                        ;       Parent Loop BB6_10642 Depth=3
                                        ; =>      This Inner Loop Header: Depth=4
	s_add_i32 s9, s9, 1
	s_cmpk_lg_i32 s9, 0x2710
	s_cselect_b64 s[38:39], -1, 0
	s_and_b64 vcc, exec, s[38:39]
	s_cbranch_vccz .LBB6_10699
; %bb.10698:                            ;   in Loop: Header=BB6_10697 Depth=4
	s_mov_b64 vcc, -1
	s_or_b64 s[36:37], s[36:37], exec
	s_and_saveexec_b64 s[48:49], s[38:39]
	s_cbranch_execz .LBB6_10696
	s_branch .LBB6_10700
.LBB6_10699:                            ;   in Loop: Header=BB6_10697 Depth=4
	s_trap 2
	ds_read_b64 v[1:2], v0
	s_andn2_b64 s[38:39], s[38:39], exec
	s_mov_b32 s9, 0
	s_waitcnt vmcnt(0) lgkmcnt(0)
	flat_load_dword v1, v[1:2] glc
	s_waitcnt vmcnt(0) lgkmcnt(0)
	buffer_wbinvl1_vol
	v_cmp_eq_u32_e32 vcc, 0, v1
	s_and_b64 vcc, vcc, exec
	s_or_b64 s[38:39], s[38:39], vcc
	s_mov_b64 vcc, -1
	s_or_b64 s[36:37], s[36:37], exec
	s_and_saveexec_b64 s[48:49], s[38:39]
	s_cbranch_execz .LBB6_10696
.LBB6_10700:                            ;   in Loop: Header=BB6_10697 Depth=4
	s_sleep 1
	s_trap 2
	ds_read_b64 v[1:2], v0
	s_waitcnt lgkmcnt(0)
	buffer_load_dword v8, off, s[0:3], s33 offset:76 ; 4-byte Folded Reload
	buffer_load_dword v9, off, s[0:3], s33 offset:80 ; 4-byte Folded Reload
	s_andn2_b64 s[36:37], s[36:37], exec
	s_waitcnt vmcnt(0)
	v_cmp_ge_u64_e32 vcc, v[1:2], v[8:9]
	s_orn2_b64 vcc, vcc, exec
	s_branch .LBB6_10696
.LBB6_10701:                            ;   in Loop: Header=BB6_10642 Depth=3
	s_or_b64 exec, exec, s[30:31]
	s_and_saveexec_b64 vcc, s[34:35]
	s_xor_b64 vcc, exec, vcc
	s_cbranch_execz .LBB6_10703
; %bb.10702:                            ;   in Loop: Header=BB6_10642 Depth=3
	v_mov_b32_e32 v1, 1
	ds_write_b32 v0, v1
	s_trap 2
.LBB6_10703:                            ;   in Loop: Header=BB6_10642 Depth=3
	s_or_b64 exec, exec, s[94:95]
	;;#ASMSTART
	s_wakeup
	;;#ASMEND
.LBB6_10704:                            ;   in Loop: Header=BB6_10642 Depth=3
	s_or_b64 exec, exec, s[40:41]
.LBB6_10705:                            ;   in Loop: Header=BB6_10642 Depth=3
	s_andn2_saveexec_b64 s[28:29], s[28:29]
	s_cbranch_execz .LBB6_10707
; %bb.10706:                            ;   in Loop: Header=BB6_10642 Depth=3
	s_waitcnt vmcnt(0) lgkmcnt(0)
	buffer_wbinvl1_vol
	s_barrier
.LBB6_10707:                            ;   in Loop: Header=BB6_10642 Depth=3
	s_or_b64 exec, exec, s[28:29]
.LBB6_10708:                            ;   in Loop: Header=BB6_10642 Depth=3
	s_or_b64 exec, exec, s[26:27]
	s_trap 2
	s_waitcnt lgkmcnt(0)
	ds_read_b64 v[12:13], v0
	s_waitcnt lgkmcnt(0)
	v_cmp_eq_u64_e32 vcc, 0, v[12:13]
	s_cbranch_vccnz .LBB6_10717
; %bb.10709:                            ;   in Loop: Header=BB6_10642 Depth=3
	s_trap 2
	ds_read_b64 v[14:15], v0
	s_waitcnt lgkmcnt(0)
	v_cmp_eq_u64_e32 vcc, 0, v[14:15]
	s_cbranch_vccnz .LBB6_10717
; %bb.10710:                            ;   in Loop: Header=BB6_10642 Depth=3
	s_trap 2
	ds_read_b64 v[16:17], v0
	v_cmp_eq_u32_e64 s[26:27], 0, v0
	v_cndmask_b32_e64 v2, 0, v4, s[26:27]
	s_waitcnt lgkmcnt(0)
	v_cmp_ne_u64_e32 vcc, 0, v[16:17]
	s_cbranch_vccz .LBB6_10722
; %bb.10711:                            ;   in Loop: Header=BB6_10642 Depth=3
	s_mov_b64 s[28:29], -1
	s_and_saveexec_b64 s[26:27], s[20:21]
	s_cbranch_execz .LBB6_10713
; %bb.10712:                            ;   in Loop: Header=BB6_10642 Depth=3
	ds_read_b32 v0, v0 offset:720
	s_waitcnt lgkmcnt(0)
	v_and_b32_e32 v0, 15, v0
	v_cmp_eq_u32_e32 vcc, 0, v0
	s_orn2_b64 s[28:29], vcc, exec
.LBB6_10713:                            ;   in Loop: Header=BB6_10642 Depth=3
	s_or_b64 exec, exec, s[26:27]
	s_and_saveexec_b64 s[26:27], s[22:23]
	s_cbranch_execz .LBB6_10715
; %bb.10714:                            ;   in Loop: Header=BB6_10642 Depth=3
	ds_read_b32 v0, v0 offset:784
	s_waitcnt lgkmcnt(0)
	v_and_b32_e32 v0, 15, v0
	v_cmp_eq_u32_e32 vcc, 0, v0
	s_and_b64 s[40:41], s[28:29], vcc
	s_andn2_b64 s[28:29], s[28:29], exec
	s_and_b64 s[40:41], s[40:41], exec
	s_or_b64 s[28:29], s[28:29], s[40:41]
.LBB6_10715:                            ;   in Loop: Header=BB6_10642 Depth=3
	s_or_b64 exec, exec, s[26:27]
	buffer_load_dword v3, off, s[0:3], s33 offset:268 ; 4-byte Folded Reload
	buffer_load_dword v8, off, s[0:3], s33 offset:240 ; 4-byte Folded Reload
	s_xor_b64 s[28:29], s[28:29], -1
	v_cndmask_b32_e64 v1, 0, 1, s[28:29]
	s_mov_b64 s[26:27], -1
	v_mov_b32_e32 v0, 0
	v_cmp_ne_u32_e32 vcc, 0, v1
	v_mov_b32_e32 v1, v2
	s_cbranch_vccz .LBB6_10724
; %bb.10716:                            ;   in Loop: Header=BB6_10642 Depth=3
	s_and_saveexec_b64 s[40:41], s[26:27]
	s_cbranch_execnz .LBB6_10739
	s_branch .LBB6_10749
.LBB6_10717:                            ;   in Loop: Header=BB6_10642 Depth=3
	s_mov_b64 s[26:27], 0
	s_and_saveexec_b64 s[28:29], s[10:11]
	s_cbranch_execnz .LBB6_10778
.LBB6_10718:                            ;   in Loop: Header=BB6_10642 Depth=3
	s_or_b64 exec, exec, s[28:29]
                                        ; implicit-def: $vgpr0
	s_and_saveexec_b64 s[28:29], s[24:25]
	s_xor_b64 s[28:29], exec, s[28:29]
	s_cbranch_execz .LBB6_10796
.LBB6_10719:                            ;   in Loop: Header=BB6_10642 Depth=3
	buffer_load_dword v1, off, s[0:3], s33 offset:72 ; 4-byte Folded Reload
	s_waitcnt vmcnt(0)
	v_and_b32_e32 v0, 16, v1
	v_and_b32_e32 v1, 16, v1
	v_cmp_ne_u32_e32 vcc, 0, v1
	s_and_b64 s[40:41], vcc, s[26:27]
	s_and_saveexec_b64 s[26:27], s[40:41]
	s_cbranch_execz .LBB6_10721
; %bb.10720:                            ;   in Loop: Header=BB6_10642 Depth=3
	v_mov_b32_e32 v0, 1
	s_waitcnt lgkmcnt(0)
	buffer_wbinvl1_vol
.LBB6_10721:                            ;   in Loop: Header=BB6_10642 Depth=3
	s_or_b64 exec, exec, s[26:27]
	s_andn2_saveexec_b64 s[26:27], s[28:29]
	s_cbranch_execz .LBB6_10815
	s_branch .LBB6_10797
.LBB6_10722:                            ;   in Loop: Header=BB6_10642 Depth=3
	s_cbranch_execnz .LBB6_10750
.LBB6_10723:                            ;   in Loop: Header=BB6_10642 Depth=3
	v_cmp_lt_i32_e64 s[26:27], 0, v2
	s_and_saveexec_b64 s[28:29], s[10:11]
	s_cbranch_execnz .LBB6_10778
	s_branch .LBB6_10718
.LBB6_10724:                            ;   in Loop: Header=BB6_10642 Depth=3
	buffer_load_dword v1, off, s[0:3], s33 offset:240 ; 4-byte Folded Reload
	v_ashrrev_i32_e32 v0, 31, v2
	v_lshrrev_b32_e32 v0, 20, v0
	v_add_u32_e32 v0, v2, v0
	v_ashrrev_i32_e32 v0, 12, v0
	s_waitcnt vmcnt(0)
	v_sub_u32_e32 v20, v0, v1
	v_cmp_lt_i32_e32 vcc, 0, v20
	s_and_saveexec_b64 s[26:27], vcc
	s_cbranch_execz .LBB6_10728
; %bb.10725:                            ;   in Loop: Header=BB6_10642 Depth=3
	buffer_load_dword v1, off, s[0:3], s33 offset:312 ; 4-byte Folded Reload
	buffer_load_dword v3, off, s[0:3], s33 offset:316 ; 4-byte Folded Reload
	s_mov_b64 s[28:29], 0
	s_waitcnt vmcnt(1)
	v_add_co_u32_e32 v8, vcc, v12, v1
	s_waitcnt vmcnt(0)
	v_addc_co_u32_e32 v9, vcc, v13, v3, vcc
	v_add_co_u32_e32 v10, vcc, v14, v1
	v_addc_co_u32_e32 v11, vcc, v15, v3, vcc
	v_add_co_u32_e32 v18, vcc, v16, v1
	v_addc_co_u32_e32 v19, vcc, v17, v3, vcc
.LBB6_10726:                            ;   Parent Loop BB6_47 Depth=1
                                        ;     Parent Loop BB6_10639 Depth=2
                                        ;       Parent Loop BB6_10642 Depth=3
                                        ; =>      This Inner Loop Header: Depth=4
	global_load_dwordx4 v[24:27], v[8:9], off glc slc
	global_load_dwordx4 v[28:31], v[8:9], off offset:1024 glc slc
	global_load_dwordx4 v[32:35], v[8:9], off offset:2048 glc slc
	;; [unrolled: 1-line block ×3, first 2 shown]
	v_add_co_u32_e32 v8, vcc, v8, v56
	v_addc_co_u32_e32 v9, vcc, 0, v9, vcc
	v_sub_u32_e32 v20, v20, v49
	v_cmp_gt_i32_e32 vcc, 1, v20
	s_or_b64 s[28:29], vcc, s[28:29]
	s_waitcnt vmcnt(3)
	global_store_dwordx4 v[10:11], v[24:27], off glc slc
	s_waitcnt vmcnt(3)
	global_store_dwordx4 v[10:11], v[28:31], off offset:1024 glc slc
	s_waitcnt vmcnt(3)
	global_store_dwordx4 v[10:11], v[32:35], off offset:2048 glc slc
	;; [unrolled: 2-line block ×3, first 2 shown]
	global_store_dwordx4 v[18:19], v[24:27], off glc slc
	global_store_dwordx4 v[18:19], v[28:31], off offset:1024 glc slc
	global_store_dwordx4 v[18:19], v[32:35], off offset:2048 glc slc
	;; [unrolled: 1-line block ×3, first 2 shown]
	v_add_co_u32_e32 v10, vcc, v10, v56
	v_addc_co_u32_e32 v11, vcc, 0, v11, vcc
	v_add_co_u32_e32 v18, vcc, v18, v56
	v_addc_co_u32_e32 v19, vcc, 0, v19, vcc
	s_andn2_b64 exec, exec, s[28:29]
	s_cbranch_execnz .LBB6_10726
; %bb.10727:                            ;   in Loop: Header=BB6_10642 Depth=3
	s_or_b64 exec, exec, s[28:29]
.LBB6_10728:                            ;   in Loop: Header=BB6_10642 Depth=3
	s_or_b64 exec, exec, s[26:27]
	v_lshlrev_b32_e32 v5, 12, v0
	v_cmp_ne_u32_e32 vcc, v2, v5
	s_mov_b64 s[26:27], 0
	v_mov_b32_e32 v0, 0
                                        ; implicit-def: $vgpr1
                                        ; implicit-def: $vgpr3
                                        ; implicit-def: $vgpr8
	s_and_saveexec_b64 s[94:95], vcc
	s_cbranch_execz .LBB6_10738
; %bb.10729:                            ;   in Loop: Header=BB6_10642 Depth=3
	buffer_load_dword v1, off, s[0:3], s33 offset:332 ; 4-byte Folded Reload
	v_lshlrev_b32_e32 v0, 6, v20
	v_sub_u32_e32 v3, v2, v5
	v_ashrrev_i32_e32 v9, 31, v3
	v_lshrrev_b32_e32 v9, 22, v9
	v_add_u32_e32 v9, v3, v9
	v_and_b32_e32 v24, 0xfffffc00, v9
	v_sub_u32_e32 v26, v3, v24
	v_ashrrev_i32_e32 v10, 10, v9
	v_cmp_lt_i32_e64 s[26:27], 15, v26
	s_waitcnt vmcnt(0)
	v_sub_u32_e32 v0, v1, v0
	v_ashrrev_i32_e32 v1, 31, v0
	v_lshrrev_b32_e32 v1, 26, v1
	v_add_u32_e32 v1, v0, v1
	v_ashrrev_i32_e32 v8, 6, v1
	v_and_b32_e32 v1, 0xffffffc0, v1
	v_sub_u32_e32 v20, v0, v1
	v_lshlrev_b32_e32 v0, 4, v20
	v_lshl_add_u32 v1, v8, 10, v0
	v_sub_u32_e32 v0, v3, v1
	v_addc_co_u32_e64 v3, vcc, 0, v10, s[26:27]
	v_sub_u32_e32 v25, v3, v8
	v_cmp_lt_i32_e32 vcc, 15, v0
	s_and_saveexec_b64 s[30:31], vcc
	s_cbranch_execz .LBB6_10735
; %bb.10730:                            ;   in Loop: Header=BB6_10642 Depth=3
	v_add_u32_e32 v8, v1, v5
	v_ashrrev_i32_e32 v9, 31, v8
	v_add_co_u32_e32 v18, vcc, v8, v12
	v_addc_co_u32_e32 v19, vcc, v9, v13, vcc
	v_add_co_u32_e32 v1, vcc, v8, v14
	v_addc_co_u32_e32 v3, vcc, v9, v15, vcc
	;; [unrolled: 2-line block ×3, first 2 shown]
	s_mov_b64 s[34:35], 0
.LBB6_10731:                            ;   Parent Loop BB6_47 Depth=1
                                        ;     Parent Loop BB6_10639 Depth=2
                                        ;       Parent Loop BB6_10642 Depth=3
                                        ; =>      This Loop Header: Depth=4
                                        ;           Child Loop BB6_10732 Depth 5
	global_load_dwordx4 v[8:11], v[18:19], off glc slc
	s_mov_b64 s[36:37], -1
	s_mov_b64 s[38:39], 0
	s_waitcnt vmcnt(0)
.LBB6_10732:                            ;   Parent Loop BB6_47 Depth=1
                                        ;     Parent Loop BB6_10639 Depth=2
                                        ;       Parent Loop BB6_10642 Depth=3
                                        ;         Parent Loop BB6_10731 Depth=4
                                        ; =>        This Inner Loop Header: Depth=5
	s_cmp_eq_u32 s38, 1
	s_cselect_b64 s[28:29], -1, 0
	v_cndmask_b32_e64 v30, v3, v28, s[28:29]
	v_cndmask_b32_e64 v29, v1, v27, s[28:29]
	global_store_dwordx4 v[29:30], v[8:11], off glc slc
	v_add_co_u32_e32 v29, vcc, 0x400, v29
	s_cmp_eq_u32 s38, 0
	v_addc_co_u32_e32 v30, vcc, 0, v30, vcc
	s_cselect_b64 vcc, -1, 0
	s_and_b64 s[40:41], exec, s[36:37]
	s_mov_b64 s[38:39], 1
	v_cndmask_b32_e64 v27, v27, v29, s[28:29]
	s_mov_b64 s[36:37], 0
	v_cndmask_b32_e64 v28, v28, v30, s[28:29]
	v_cndmask_b32_e32 v3, v3, v30, vcc
	v_cndmask_b32_e32 v1, v1, v29, vcc
	s_mov_b64 vcc, s[40:41]
	s_cbranch_vccnz .LBB6_10732
; %bb.10733:                            ;   in Loop: Header=BB6_10731 Depth=4
	buffer_load_dword v8, off, s[0:3], s33 offset:272 ; 4-byte Folded Reload
	buffer_load_dword v9, off, s[0:3], s33 offset:276 ; 4-byte Folded Reload
	v_sub_u32_e32 v25, v25, v49
	s_waitcnt vmcnt(1)
	v_add_co_u32_e32 v1, vcc, v1, v8
	s_waitcnt vmcnt(0)
	v_addc_co_u32_e32 v3, vcc, v3, v9, vcc
	v_add_co_u32_e32 v27, vcc, v27, v8
	buffer_load_dword v8, off, s[0:3], s33 offset:280 ; 4-byte Folded Reload
	v_addc_co_u32_e32 v28, vcc, v28, v9, vcc
	s_waitcnt vmcnt(0)
	v_add_co_u32_e32 v18, vcc, v8, v18
	buffer_load_dword v8, off, s[0:3], s33 offset:284 ; 4-byte Folded Reload
	s_waitcnt vmcnt(0)
	v_addc_co_u32_e32 v19, vcc, v8, v19, vcc
	buffer_load_dword v8, off, s[0:3], s33 offset:236 ; 4-byte Folded Reload
	s_waitcnt vmcnt(0)
	v_sub_u32_e32 v0, v0, v8
	v_cmp_gt_i32_e32 vcc, 16, v0
	s_or_b64 s[34:35], vcc, s[34:35]
	s_andn2_b64 exec, exec, s[34:35]
	s_cbranch_execnz .LBB6_10731
; %bb.10734:                            ;   in Loop: Header=BB6_10642 Depth=3
	s_or_b64 exec, exec, s[34:35]
.LBB6_10735:                            ;   in Loop: Header=BB6_10642 Depth=3
	s_or_b64 exec, exec, s[30:31]
	v_and_b32_e32 v9, 15, v2
	v_cndmask_b32_e64 v1, v26, v9, s[26:27]
	v_mov_b32_e32 v0, 0
	v_cmp_ne_u32_e32 vcc, 0, v1
	s_mov_b64 s[40:41], 0
                                        ; implicit-def: $vgpr3
                                        ; implicit-def: $vgpr8
	s_and_saveexec_b64 s[28:29], vcc
	s_cbranch_execz .LBB6_10737
; %bb.10736:                            ;   in Loop: Header=BB6_10642 Depth=3
	v_cmp_lt_i32_e32 vcc, 0, v25
	v_cndmask_b32_e32 v3, 0, v49, vcc
	v_sub_u32_e32 v0, v26, v9
	v_sub_u32_e32 v3, v3, v25
	v_cndmask_b32_e64 v0, 0, v0, s[26:27]
	v_lshl_add_u32 v3, v3, 6, v20
	v_add3_u32 v0, v24, v5, v0
	v_ashrrev_i32_e32 v5, 31, v3
	v_lshrrev_b32_e32 v5, 26, v5
	v_add_u32_e32 v5, v3, v5
	v_ashrrev_i32_e32 v8, 6, v5
	s_mov_b64 s[40:41], exec
.LBB6_10737:                            ;   in Loop: Header=BB6_10642 Depth=3
	s_or_b64 exec, exec, s[28:29]
	s_and_b64 s[26:27], s[40:41], exec
.LBB6_10738:                            ;   in Loop: Header=BB6_10642 Depth=3
	s_or_b64 exec, exec, s[94:95]
	s_and_saveexec_b64 s[40:41], s[26:27]
	s_cbranch_execz .LBB6_10749
.LBB6_10739:                            ;   in Loop: Header=BB6_10642 Depth=3
	v_ashrrev_i32_e32 v5, 31, v1
	v_lshrrev_b32_e32 v5, 21, v5
	v_add_u32_e32 v5, v1, v5
	v_ashrrev_i32_e32 v19, 11, v5
	s_waitcnt vmcnt(0)
	v_sub_u32_e32 v5, v19, v8
	v_ashrrev_i32_e32 v9, 31, v3
	v_cmp_lt_i32_e32 vcc, 0, v5
	v_lshrrev_b32_e32 v18, 26, v9
	s_and_saveexec_b64 s[26:27], vcc
	s_cbranch_execz .LBB6_10743
; %bb.10740:                            ;   in Loop: Header=BB6_10642 Depth=3
	buffer_load_dword v47, off, s[0:3], s33 offset:192 ; 4-byte Folded Reload
	v_add_u32_e32 v9, v3, v18
	v_and_b32_e32 v9, 0xffffffc0, v9
	v_sub_u32_e32 v9, v3, v9
	v_lshlrev_b32_e32 v8, 11, v8
	v_add3_u32 v20, v0, v9, v8
	v_ashrrev_i32_e32 v24, 31, v20
	v_add_co_u32_e32 v8, vcc, v20, v14
	v_addc_co_u32_e32 v9, vcc, v24, v15, vcc
	v_add_co_u32_e32 v10, vcc, v20, v16
	v_addc_co_u32_e32 v11, vcc, v24, v17, vcc
	;; [unrolled: 2-line block ×4, first 2 shown]
	s_mov_b64 s[28:29], 0
.LBB6_10741:                            ;   Parent Loop BB6_47 Depth=1
                                        ;     Parent Loop BB6_10639 Depth=2
                                        ;       Parent Loop BB6_10642 Depth=3
                                        ; =>      This Inner Loop Header: Depth=4
	v_add_co_u32_e32 v24, vcc, 0xfffff840, v16
	v_addc_co_u32_e32 v25, vcc, -1, v17, vcc
	flat_load_ubyte v20, v[24:25] glc slc
	v_add_co_u32_e32 v24, vcc, 0xfffff880, v16
	v_addc_co_u32_e32 v25, vcc, -1, v17, vcc
	flat_load_ubyte v24, v[24:25] glc slc
	;; [unrolled: 3-line block ×15, first 2 shown]
	v_add_co_u32_e32 v38, vcc, s69, v16
	v_addc_co_u32_e32 v39, vcc, -1, v17, vcc
	v_add_co_u32_e32 v48, vcc, 0xfffffc40, v16
	v_addc_co_u32_e32 v49, vcc, -1, v17, vcc
	flat_load_ubyte v38, v[38:39] glc slc
	s_nop 0
	flat_load_ubyte v39, v[48:49] glc slc
	v_add_co_u32_e32 v48, vcc, 0xfffffc80, v16
	v_addc_co_u32_e32 v49, vcc, -1, v17, vcc
	flat_load_ubyte v48, v[48:49] glc slc
	v_add_co_u32_e32 v49, vcc, 0xfffffcc0, v16
	v_addc_co_u32_e32 v50, vcc, -1, v17, vcc
	;; [unrolled: 3-line block ×7, first 2 shown]
	v_add_co_u32_e32 v40, vcc, 0xfffffe40, v16
	v_addc_co_u32_e32 v41, vcc, -1, v17, vcc
	flat_load_ubyte v54, v[54:55] glc slc
	s_nop 0
	flat_load_ubyte v55, v[40:41] glc slc
	v_add_co_u32_e32 v40, vcc, 0xfffffe80, v16
	v_addc_co_u32_e32 v41, vcc, -1, v17, vcc
	flat_load_ubyte v40, v[40:41] glc slc
	v_add_co_u32_e32 v41, vcc, 0xfffffec0, v16
	v_addc_co_u32_e32 v42, vcc, -1, v17, vcc
	;; [unrolled: 3-line block ×6, first 2 shown]
	flat_load_ubyte v45, v[45:46] glc slc
	s_nop 0
	flat_load_ubyte v46, v[16:17] glc slc
	s_waitcnt vmcnt(0) lgkmcnt(0)
	flat_store_byte v[8:9], v20 glc slc
	flat_store_byte v[8:9], v24 offset:64 glc slc
	flat_store_byte v[8:9], v25 offset:128 glc slc
	flat_store_byte v[8:9], v26 offset:192 glc slc
	flat_store_byte v[8:9], v27 offset:256 glc slc
	flat_store_byte v[8:9], v28 offset:320 glc slc
	flat_store_byte v[8:9], v29 offset:384 glc slc
	flat_store_byte v[8:9], v30 offset:448 glc slc
	flat_store_byte v[8:9], v31 offset:512 glc slc
	flat_store_byte v[8:9], v32 offset:576 glc slc
	flat_store_byte v[8:9], v33 offset:640 glc slc
	flat_store_byte v[8:9], v34 offset:704 glc slc
	flat_store_byte v[8:9], v35 offset:768 glc slc
	flat_store_byte v[8:9], v36 offset:832 glc slc
	flat_store_byte v[8:9], v37 offset:896 glc slc
	flat_store_byte v[8:9], v38 offset:960 glc slc
	flat_store_byte v[8:9], v39 offset:1024 glc slc
	flat_store_byte v[8:9], v48 offset:1088 glc slc
	flat_store_byte v[8:9], v49 offset:1152 glc slc
	flat_store_byte v[8:9], v50 offset:1216 glc slc
	flat_store_byte v[8:9], v51 offset:1280 glc slc
	flat_store_byte v[8:9], v52 offset:1344 glc slc
	flat_store_byte v[8:9], v53 offset:1408 glc slc
	flat_store_byte v[8:9], v54 offset:1472 glc slc
	flat_store_byte v[8:9], v55 offset:1536 glc slc
	flat_store_byte v[8:9], v40 offset:1600 glc slc
	flat_store_byte v[8:9], v41 offset:1664 glc slc
	flat_store_byte v[8:9], v42 offset:1728 glc slc
	flat_store_byte v[8:9], v43 offset:1792 glc slc
	flat_store_byte v[8:9], v44 offset:1856 glc slc
	flat_store_byte v[8:9], v45 offset:1920 glc slc
	flat_store_byte v[8:9], v46 offset:1984 glc slc
	flat_store_byte v[10:11], v20 glc slc
	flat_store_byte v[10:11], v24 offset:64 glc slc
	flat_store_byte v[10:11], v25 offset:128 glc slc
	;; [unrolled: 1-line block ×18, first 2 shown]
	buffer_load_dword v49, off, s[0:3], s33 offset:92 ; 4-byte Folded Reload
	v_add_co_u32_e32 v8, vcc, v8, v47
	v_addc_co_u32_e32 v9, vcc, 0, v9, vcc
	flat_store_byte v[10:11], v50 offset:1216 glc slc
	flat_store_byte v[10:11], v51 offset:1280 glc slc
	;; [unrolled: 1-line block ×13, first 2 shown]
	v_add_co_u32_e32 v10, vcc, v10, v47
	v_addc_co_u32_e32 v11, vcc, 0, v11, vcc
	v_add_co_u32_e32 v16, vcc, v16, v47
	v_addc_co_u32_e32 v17, vcc, 0, v17, vcc
	s_waitcnt vmcnt(0)
	v_sub_u32_e32 v5, v5, v49
	v_cmp_gt_i32_e32 vcc, 1, v5
	s_or_b64 s[28:29], vcc, s[28:29]
	s_andn2_b64 exec, exec, s[28:29]
	s_cbranch_execnz .LBB6_10741
; %bb.10742:                            ;   in Loop: Header=BB6_10642 Depth=3
	s_or_b64 exec, exec, s[28:29]
.LBB6_10743:                            ;   in Loop: Header=BB6_10642 Depth=3
	s_or_b64 exec, exec, s[26:27]
	v_lshlrev_b32_e32 v8, 11, v19
	v_cmp_ne_u32_e32 vcc, v1, v8
	s_and_b64 exec, exec, vcc
	s_cbranch_execz .LBB6_10749
; %bb.10744:                            ;   in Loop: Header=BB6_10642 Depth=3
	v_add_u32_e32 v9, v3, v18
	v_and_b32_e32 v9, 0xffffffc0, v9
	v_sub_u32_e32 v3, v3, v9
	v_lshlrev_b32_e32 v5, 6, v5
	v_sub_u32_e32 v3, v3, v5
	v_add_u32_e32 v3, v8, v3
	v_sub_u32_e32 v1, v1, v3
	v_cmp_lt_i32_e32 vcc, 0, v1
	s_and_b64 exec, exec, vcc
	s_cbranch_execz .LBB6_10749
; %bb.10745:                            ;   in Loop: Header=BB6_10642 Depth=3
	s_trap 2
	ds_read_b64 v[8:9], v0
	ds_read_b128 v[16:19], v0
	v_add_u32_e32 v5, v3, v0
	v_ashrrev_i32_e32 v10, 31, v5
	s_mov_b64 s[94:95], 0
	s_waitcnt lgkmcnt(0)
	v_add_co_u32_e32 v8, vcc, v8, v5
	v_addc_co_u32_e32 v9, vcc, v9, v10, vcc
	v_add_co_u32_e32 v0, vcc, v16, v5
	v_addc_co_u32_e32 v3, vcc, v17, v10, vcc
	;; [unrolled: 2-line block ×3, first 2 shown]
.LBB6_10746:                            ;   Parent Loop BB6_47 Depth=1
                                        ;     Parent Loop BB6_10639 Depth=2
                                        ;       Parent Loop BB6_10642 Depth=3
                                        ; =>      This Loop Header: Depth=4
                                        ;           Child Loop BB6_10747 Depth 5
	flat_load_ubyte v11, v[8:9] glc slc
	s_mov_b64 s[30:31], -1
	s_mov_b64 s[34:35], 0
	s_waitcnt vmcnt(0)
.LBB6_10747:                            ;   Parent Loop BB6_47 Depth=1
                                        ;     Parent Loop BB6_10639 Depth=2
                                        ;       Parent Loop BB6_10642 Depth=3
                                        ;         Parent Loop BB6_10746 Depth=4
                                        ; =>        This Inner Loop Header: Depth=5
	s_cmp_eq_u32 s34, 1
	s_cselect_b64 vcc, -1, 0
	v_cndmask_b32_e32 v17, v3, v10, vcc
	v_cndmask_b32_e32 v16, v0, v5, vcc
	s_waitcnt lgkmcnt(0)
	flat_store_byte v[16:17], v11 glc slc
	v_add_co_u32_e64 v16, s[26:27], 64, v16
	s_cmp_eq_u32 s34, 0
	v_addc_co_u32_e64 v17, s[26:27], 0, v17, s[26:27]
	s_cselect_b64 s[26:27], -1, 0
	s_and_b64 s[28:29], exec, s[30:31]
	s_mov_b64 s[34:35], 1
	s_mov_b64 s[30:31], 0
	v_cndmask_b32_e32 v10, v10, v17, vcc
	v_cndmask_b32_e32 v5, v5, v16, vcc
	v_cndmask_b32_e64 v3, v3, v17, s[26:27]
	v_cndmask_b32_e64 v0, v0, v16, s[26:27]
	s_mov_b64 vcc, s[28:29]
	s_cbranch_vccnz .LBB6_10747
; %bb.10748:                            ;   in Loop: Header=BB6_10746 Depth=4
	buffer_load_dword v11, off, s[0:3], s33 offset:248 ; 4-byte Folded Reload
	buffer_load_dword v16, off, s[0:3], s33 offset:252 ; 4-byte Folded Reload
	s_waitcnt vmcnt(0)
	v_add_co_u32_e32 v0, vcc, v0, v11
	v_addc_co_u32_e32 v3, vcc, v3, v16, vcc
	v_add_co_u32_e32 v5, vcc, v5, v11
	buffer_load_dword v11, off, s[0:3], s33 offset:196 ; 4-byte Folded Reload
	v_addc_co_u32_e32 v10, vcc, v10, v16, vcc
	s_waitcnt vmcnt(0)
	v_sub_u32_e32 v1, v1, v11
	buffer_load_dword v11, off, s[0:3], s33 offset:256 ; 4-byte Folded Reload
	v_cmp_gt_i32_e32 vcc, 1, v1
	s_or_b64 s[94:95], vcc, s[94:95]
	s_waitcnt vmcnt(0)
	v_add_co_u32_e32 v8, vcc, v11, v8
	buffer_load_dword v11, off, s[0:3], s33 offset:260 ; 4-byte Folded Reload
	s_waitcnt vmcnt(0)
	v_addc_co_u32_e32 v9, vcc, v11, v9, vcc
	s_andn2_b64 exec, exec, s[94:95]
	s_cbranch_execnz .LBB6_10746
.LBB6_10749:                            ;   in Loop: Header=BB6_10642 Depth=3
	s_or_b64 exec, exec, s[40:41]
	s_branch .LBB6_10723
.LBB6_10750:                            ;   in Loop: Header=BB6_10642 Depth=3
	s_mov_b64 s[26:27], -1
	s_and_saveexec_b64 s[28:29], s[20:21]
	s_cbranch_execz .LBB6_10752
; %bb.10751:                            ;   in Loop: Header=BB6_10642 Depth=3
	ds_read_b32 v0, v0 offset:720
	s_waitcnt lgkmcnt(0)
	v_and_b32_e32 v0, 15, v0
	v_cmp_eq_u32_e32 vcc, 0, v0
	s_orn2_b64 s[26:27], vcc, exec
.LBB6_10752:                            ;   in Loop: Header=BB6_10642 Depth=3
	s_or_b64 exec, exec, s[28:29]
	s_and_saveexec_b64 s[28:29], s[18:19]
	s_cbranch_execz .LBB6_10754
; %bb.10753:                            ;   in Loop: Header=BB6_10642 Depth=3
	ds_read_b32 v0, v0 offset:784
	s_waitcnt lgkmcnt(0)
	v_and_b32_e32 v0, 15, v0
	v_cmp_eq_u32_e32 vcc, 0, v0
	s_and_b64 s[40:41], s[26:27], vcc
	s_andn2_b64 s[26:27], s[26:27], exec
	s_and_b64 s[40:41], s[40:41], exec
	s_or_b64 s[26:27], s[26:27], s[40:41]
.LBB6_10754:                            ;   in Loop: Header=BB6_10642 Depth=3
	s_or_b64 exec, exec, s[28:29]
	buffer_load_dword v3, off, s[0:3], s33 offset:268 ; 4-byte Folded Reload
	buffer_load_dword v9, off, s[0:3], s33 offset:240 ; 4-byte Folded Reload
	s_xor_b64 s[26:27], s[26:27], -1
	v_cndmask_b32_e64 v1, 0, 1, s[26:27]
	s_mov_b64 s[40:41], -1
	v_mov_b32_e32 v0, 0
	v_cmp_ne_u32_e32 vcc, 0, v1
	v_mov_b32_e32 v1, v2
	s_cbranch_vccz .LBB6_10756
; %bb.10755:                            ;   in Loop: Header=BB6_10642 Depth=3
	s_and_saveexec_b64 s[26:27], s[40:41]
	s_cbranch_execnz .LBB6_10769
	s_branch .LBB6_10777
.LBB6_10756:                            ;   in Loop: Header=BB6_10642 Depth=3
	buffer_load_dword v1, off, s[0:3], s33 offset:240 ; 4-byte Folded Reload
	v_ashrrev_i32_e32 v0, 31, v2
	v_lshrrev_b32_e32 v0, 19, v0
	v_add_u32_e32 v0, v2, v0
	v_ashrrev_i32_e32 v0, 13, v0
	s_waitcnt vmcnt(0)
	v_sub_u32_e32 v5, v0, v1
	v_cmp_lt_i32_e32 vcc, 0, v5
	s_and_saveexec_b64 s[28:29], vcc
	s_cbranch_execz .LBB6_10760
; %bb.10757:                            ;   in Loop: Header=BB6_10642 Depth=3
	buffer_load_dword v3, off, s[0:3], s33 offset:372 ; 4-byte Folded Reload
	buffer_load_dword v20, off, s[0:3], s33 offset:376 ; 4-byte Folded Reload
	;; [unrolled: 1-line block ×3, first 2 shown]
	v_mov_b32_e32 v8, v14
	v_mov_b32_e32 v10, v12
	s_mov_b64 s[40:41], 0
	v_mov_b32_e32 v9, v15
	v_mov_b32_e32 v11, v13
	;; [unrolled: 1-line block ×3, first 2 shown]
.LBB6_10758:                            ;   Parent Loop BB6_47 Depth=1
                                        ;     Parent Loop BB6_10639 Depth=2
                                        ;       Parent Loop BB6_10642 Depth=3
                                        ; =>      This Inner Loop Header: Depth=4
	s_waitcnt vmcnt(0)
	v_add_co_u32_e32 v36, vcc, v20, v10
	v_addc_co_u32_e32 v37, vcc, v57, v11, vcc
	v_add_co_u32_e32 v40, vcc, s70, v36
	v_addc_co_u32_e32 v41, vcc, 0, v37, vcc
	global_load_dwordx4 v[16:19], v[36:37], off glc slc
	global_load_dwordx4 v[24:27], v[36:37], off offset:1024 glc slc
	global_load_dwordx4 v[28:31], v[36:37], off offset:2048 glc slc
	;; [unrolled: 1-line block ×3, first 2 shown]
	s_nop 0
	global_load_dwordx4 v[36:39], v[40:41], off glc slc
	global_load_dwordx4 v[48:51], v[40:41], off offset:1024 glc slc
	global_load_dwordx4 v[52:55], v[40:41], off offset:2048 glc slc
	s_nop 0
	global_load_dwordx4 v[40:43], v[40:41], off offset:3072 glc slc
	v_add_co_u32_e32 v44, vcc, v20, v8
	v_addc_co_u32_e32 v45, vcc, v57, v9, vcc
	v_add_co_u32_e32 v10, vcc, v10, v3
	v_addc_co_u32_e32 v11, vcc, 0, v11, vcc
	v_sub_u32_e32 v5, v5, v1
	v_add_co_u32_e32 v8, vcc, v8, v3
	v_addc_co_u32_e32 v9, vcc, 0, v9, vcc
	v_cmp_gt_i32_e64 s[26:27], 1, v5
	v_add_co_u32_e32 v46, vcc, s70, v44
	s_or_b64 s[40:41], s[26:27], s[40:41]
	v_addc_co_u32_e32 v47, vcc, 0, v45, vcc
	s_waitcnt vmcnt(0)
	global_store_dwordx4 v[44:45], v[16:19], off glc slc
	global_store_dwordx4 v[44:45], v[24:27], off offset:1024 glc slc
	global_store_dwordx4 v[44:45], v[28:31], off offset:2048 glc slc
	;; [unrolled: 1-line block ×3, first 2 shown]
	global_store_dwordx4 v[46:47], v[36:39], off glc slc
	global_store_dwordx4 v[46:47], v[48:51], off offset:1024 glc slc
	global_store_dwordx4 v[46:47], v[52:55], off offset:2048 glc slc
	;; [unrolled: 1-line block ×3, first 2 shown]
	s_andn2_b64 exec, exec, s[40:41]
	s_cbranch_execnz .LBB6_10758
; %bb.10759:                            ;   in Loop: Header=BB6_10642 Depth=3
	s_or_b64 exec, exec, s[40:41]
	v_mov_b32_e32 v49, v1
.LBB6_10760:                            ;   in Loop: Header=BB6_10642 Depth=3
	s_or_b64 exec, exec, s[28:29]
	v_lshlrev_b32_e32 v8, 13, v0
	v_cmp_ne_u32_e32 vcc, v2, v8
	s_mov_b64 s[40:41], 0
	v_mov_b32_e32 v0, 0
                                        ; implicit-def: $vgpr1
                                        ; implicit-def: $vgpr3
                                        ; implicit-def: $vgpr9
	s_and_saveexec_b64 s[28:29], vcc
	s_cbranch_execz .LBB6_10768
; %bb.10761:                            ;   in Loop: Header=BB6_10642 Depth=3
	buffer_load_dword v1, off, s[0:3], s33 offset:332 ; 4-byte Folded Reload
	v_lshlrev_b32_e32 v0, 6, v5
	v_sub_u32_e32 v3, v2, v8
	v_ashrrev_i32_e32 v10, 31, v3
	v_lshrrev_b32_e32 v10, 22, v10
	v_add_u32_e32 v10, v3, v10
	v_ashrrev_i32_e32 v11, 10, v10
	v_and_b32_e32 v10, 0xfffffc00, v10
	v_sub_u32_e32 v16, v3, v10
	v_cmp_lt_i32_e32 vcc, 15, v16
	s_waitcnt vmcnt(0)
	v_sub_u32_e32 v0, v1, v0
	v_ashrrev_i32_e32 v1, 31, v0
	v_lshrrev_b32_e32 v1, 26, v1
	v_add_u32_e32 v1, v0, v1
	v_ashrrev_i32_e32 v9, 6, v1
	v_and_b32_e32 v1, 0xffffffc0, v1
	v_sub_u32_e32 v5, v0, v1
	v_lshlrev_b32_e32 v0, 4, v5
	v_lshl_add_u32 v1, v9, 10, v0
	v_sub_u32_e32 v0, v3, v1
	v_addc_co_u32_e64 v3, s[26:27], 0, v11, vcc
	v_sub_u32_e32 v11, v3, v9
	v_cmp_lt_i32_e64 s[26:27], 15, v0
	s_and_saveexec_b64 s[40:41], s[26:27]
	s_cbranch_execz .LBB6_10765
; %bb.10762:                            ;   in Loop: Header=BB6_10642 Depth=3
	buffer_load_dword v9, off, s[0:3], s33 offset:236 ; 4-byte Folded Reload
	v_add_u32_e32 v1, v1, v8
	v_ashrrev_i32_e32 v3, 31, v1
	s_mov_b64 s[94:95], 0
.LBB6_10763:                            ;   Parent Loop BB6_47 Depth=1
                                        ;     Parent Loop BB6_10639 Depth=2
                                        ;       Parent Loop BB6_10642 Depth=3
                                        ; =>      This Inner Loop Header: Depth=4
	v_add_co_u32_e64 v17, s[26:27], v12, v1
	v_addc_co_u32_e64 v18, s[26:27], v13, v3, s[26:27]
	global_load_dwordx4 v[17:20], v[17:18], off glc slc
	v_add_co_u32_e64 v24, s[26:27], v14, v1
	v_addc_co_u32_e64 v25, s[26:27], v15, v3, s[26:27]
	s_waitcnt vmcnt(0)
	v_add_co_u32_e64 v1, s[26:27], v1, v9
	v_sub_u32_e32 v0, v0, v9
	v_addc_co_u32_e64 v3, s[26:27], 0, v3, s[26:27]
	v_cmp_gt_i32_e64 s[26:27], 16, v0
	v_sub_u32_e32 v11, v11, v49
	s_or_b64 s[94:95], s[26:27], s[94:95]
	global_store_dwordx4 v[24:25], v[17:20], off glc slc
	s_andn2_b64 exec, exec, s[94:95]
	s_cbranch_execnz .LBB6_10763
; %bb.10764:                            ;   in Loop: Header=BB6_10642 Depth=3
	s_or_b64 exec, exec, s[94:95]
.LBB6_10765:                            ;   in Loop: Header=BB6_10642 Depth=3
	s_or_b64 exec, exec, s[40:41]
	v_and_b32_e32 v17, 15, v2
	v_cndmask_b32_e32 v1, v16, v17, vcc
	v_mov_b32_e32 v0, 0
	v_cmp_ne_u32_e64 s[26:27], 0, v1
	s_mov_b64 s[94:95], 0
                                        ; implicit-def: $vgpr3
                                        ; implicit-def: $vgpr9
	s_and_saveexec_b64 s[40:41], s[26:27]
	s_cbranch_execz .LBB6_10767
; %bb.10766:                            ;   in Loop: Header=BB6_10642 Depth=3
	v_sub_u32_e32 v0, v16, v17
	v_cndmask_b32_e32 v0, 0, v0, vcc
	v_cmp_lt_i32_e32 vcc, 0, v11
	v_cndmask_b32_e32 v3, 0, v49, vcc
	v_sub_u32_e32 v3, v3, v11
	v_lshl_add_u32 v3, v3, 6, v5
	v_ashrrev_i32_e32 v5, 31, v3
	v_lshrrev_b32_e32 v5, 26, v5
	v_add_u32_e32 v5, v3, v5
	v_add3_u32 v0, v10, v8, v0
	v_ashrrev_i32_e32 v9, 6, v5
	s_mov_b64 s[94:95], exec
.LBB6_10767:                            ;   in Loop: Header=BB6_10642 Depth=3
	s_or_b64 exec, exec, s[40:41]
	s_and_b64 s[40:41], s[94:95], exec
.LBB6_10768:                            ;   in Loop: Header=BB6_10642 Depth=3
	s_or_b64 exec, exec, s[28:29]
	s_and_saveexec_b64 s[26:27], s[40:41]
	s_cbranch_execz .LBB6_10777
.LBB6_10769:                            ;   in Loop: Header=BB6_10642 Depth=3
	v_ashrrev_i32_e32 v5, 31, v1
	v_lshrrev_b32_e32 v5, 21, v5
	v_add_u32_e32 v5, v1, v5
	s_waitcnt vmcnt(0)
	v_ashrrev_i32_e32 v8, 11, v5
	v_sub_u32_e32 v5, v8, v9
	v_cmp_lt_i32_e32 vcc, 0, v5
	s_and_saveexec_b64 s[28:29], vcc
	s_cbranch_execz .LBB6_10773
; %bb.10770:                            ;   in Loop: Header=BB6_10642 Depth=3
	buffer_load_dword v45, off, s[0:3], s33 offset:192 ; 4-byte Folded Reload
	v_ashrrev_i32_e32 v10, 31, v3
	v_lshrrev_b32_e32 v10, 26, v10
	v_add_u32_e32 v10, v3, v10
	v_and_b32_e32 v10, 0xffffffc0, v10
	v_sub_u32_e32 v10, v3, v10
	v_lshlrev_b32_e32 v9, 11, v9
	v_add3_u32 v9, v0, v10, v9
	v_ashrrev_i32_e32 v10, 31, v9
	s_mov_b64 s[40:41], 0
	v_mov_b32_e32 v44, v49
.LBB6_10771:                            ;   Parent Loop BB6_47 Depth=1
                                        ;     Parent Loop BB6_10639 Depth=2
                                        ;       Parent Loop BB6_10642 Depth=3
                                        ; =>      This Inner Loop Header: Depth=4
	v_add_co_u32_e32 v16, vcc, v9, v12
	v_addc_co_u32_e32 v17, vcc, v10, v13, vcc
	flat_load_ubyte v11, v[16:17] glc slc
	flat_load_ubyte v18, v[16:17] offset:64 glc slc
	flat_load_ubyte v19, v[16:17] offset:128 glc slc
	;; [unrolled: 1-line block ×31, first 2 shown]
	v_add_co_u32_e32 v16, vcc, v9, v14
	v_addc_co_u32_e32 v17, vcc, v10, v15, vcc
	s_waitcnt vmcnt(0)
	v_add_co_u32_e32 v12, vcc, v12, v45
	v_addc_co_u32_e32 v13, vcc, 0, v13, vcc
	v_add_co_u32_e32 v14, vcc, v14, v45
	v_sub_u32_e32 v5, v5, v44
	v_addc_co_u32_e32 v15, vcc, 0, v15, vcc
	v_cmp_gt_i32_e32 vcc, 1, v5
	s_or_b64 s[40:41], vcc, s[40:41]
	s_waitcnt lgkmcnt(0)
	flat_store_byte v[16:17], v11 glc slc
	flat_store_byte v[16:17], v18 offset:64 glc slc
	flat_store_byte v[16:17], v19 offset:128 glc slc
	;; [unrolled: 1-line block ×31, first 2 shown]
	s_andn2_b64 exec, exec, s[40:41]
	s_cbranch_execnz .LBB6_10771
; %bb.10772:                            ;   in Loop: Header=BB6_10642 Depth=3
	s_or_b64 exec, exec, s[40:41]
	v_mov_b32_e32 v49, v44
.LBB6_10773:                            ;   in Loop: Header=BB6_10642 Depth=3
	s_or_b64 exec, exec, s[28:29]
	buffer_load_dword v12, off, s[0:3], s33 offset:196 ; 4-byte Folded Reload
	v_lshlrev_b32_e32 v8, 11, v8
	v_cmp_ne_u32_e32 vcc, v1, v8
	s_and_b64 s[28:29], exec, vcc
	s_mov_b64 exec, s[28:29]
	s_cbranch_execz .LBB6_10777
; %bb.10774:                            ;   in Loop: Header=BB6_10642 Depth=3
	v_ashrrev_i32_e32 v9, 31, v3
	v_lshrrev_b32_e32 v9, 26, v9
	v_add_u32_e32 v9, v3, v9
	v_and_b32_e32 v9, 0xffffffc0, v9
	v_sub_u32_e32 v3, v3, v9
	v_lshlrev_b32_e32 v5, 6, v5
	v_sub_u32_e32 v3, v3, v5
	v_add_u32_e32 v5, v8, v3
	v_sub_u32_e32 v3, v1, v5
	v_cmp_lt_i32_e32 vcc, 0, v3
	s_and_b64 exec, exec, vcc
	s_cbranch_execz .LBB6_10777
; %bb.10775:                            ;   in Loop: Header=BB6_10642 Depth=3
	v_add_u32_e32 v5, v5, v0
	s_trap 2
	ds_read_b64 v[0:1], v0
	v_ashrrev_i32_e32 v8, 31, v5
	s_mov_b64 s[28:29], 0
.LBB6_10776:                            ;   Parent Loop BB6_47 Depth=1
                                        ;     Parent Loop BB6_10639 Depth=2
                                        ;       Parent Loop BB6_10642 Depth=3
                                        ; =>      This Inner Loop Header: Depth=4
	s_waitcnt lgkmcnt(0)
	v_add_co_u32_e32 v9, vcc, v0, v5
	v_addc_co_u32_e32 v10, vcc, v1, v8, vcc
	flat_load_ubyte v11, v[9:10] glc slc
	s_waitcnt vmcnt(0)
	v_add_co_u32_e32 v5, vcc, v5, v12
	v_sub_u32_e32 v3, v3, v12
	v_addc_co_u32_e32 v8, vcc, 0, v8, vcc
	v_cmp_gt_i32_e32 vcc, 1, v3
	s_or_b64 s[28:29], vcc, s[28:29]
	s_waitcnt lgkmcnt(0)
	flat_store_byte v[9:10], v11 glc slc
	s_andn2_b64 exec, exec, s[28:29]
	s_cbranch_execnz .LBB6_10776
.LBB6_10777:                            ;   in Loop: Header=BB6_10642 Depth=3
	s_or_b64 exec, exec, s[26:27]
	v_cmp_lt_i32_e64 s[26:27], 0, v2
	s_and_saveexec_b64 s[28:29], s[10:11]
	s_cbranch_execz .LBB6_10718
.LBB6_10778:                            ;   in Loop: Header=BB6_10642 Depth=3
	s_and_saveexec_b64 s[40:41], s[58:59]
	s_xor_b64 s[40:41], exec, s[40:41]
	s_cbranch_execz .LBB6_10793
; %bb.10779:                            ;   in Loop: Header=BB6_10642 Depth=3
	s_and_saveexec_b64 s[94:95], s[16:17]
	s_cbranch_execz .LBB6_10792
; %bb.10780:                            ;   in Loop: Header=BB6_10642 Depth=3
	s_mov_b64 s[34:35], exec
	v_mbcnt_lo_u32_b32 v0, s34, 0
	v_mbcnt_hi_u32_b32 v0, s35, v0
	v_cmp_eq_u32_e32 vcc, 0, v0
	s_waitcnt vmcnt(0) lgkmcnt(0)
	buffer_wbinvl1_vol
	s_and_saveexec_b64 s[30:31], vcc
	s_cbranch_execz .LBB6_10782
; %bb.10781:                            ;   in Loop: Header=BB6_10642 Depth=3
	s_bcnt1_i32_b64 s9, s[34:35]
	v_mov_b32_e32 v20, s9
	ds_add_u64 v0, v[20:21]
	s_trap 2
.LBB6_10782:                            ;   in Loop: Header=BB6_10642 Depth=3
	s_or_b64 exec, exec, s[30:31]
	s_trap 2
	ds_read_b64 v[0:1], v0
	s_waitcnt lgkmcnt(0)
	buffer_load_dword v2, off, s[0:3], s33 offset:76 ; 4-byte Folded Reload
	buffer_load_dword v3, off, s[0:3], s33 offset:80 ; 4-byte Folded Reload
	s_waitcnt vmcnt(1)
	v_add_co_u32_e32 v2, vcc, v2, v49
	s_waitcnt vmcnt(0)
	v_addc_co_u32_e32 v3, vcc, 0, v3, vcc
	buffer_store_dword v2, off, s[0:3], s33 offset:76 ; 4-byte Folded Spill
	s_nop 0
	buffer_store_dword v3, off, s[0:3], s33 offset:80 ; 4-byte Folded Spill
	v_cmp_lt_u64_e32 vcc, v[0:1], v[2:3]
	s_and_saveexec_b64 s[30:31], vcc
	s_cbranch_execz .LBB6_10791
; %bb.10783:                            ;   in Loop: Header=BB6_10642 Depth=3
	s_mov_b32 s9, 0
	s_mov_b64 s[34:35], 0
                                        ; implicit-def: $sgpr36_sgpr37
                                        ; implicit-def: $sgpr38_sgpr39
	s_branch .LBB6_10785
.LBB6_10784:                            ;   in Loop: Header=BB6_10785 Depth=4
	s_or_b64 exec, exec, s[50:51]
	s_and_b64 vcc, exec, vcc
	s_or_b64 s[34:35], vcc, s[34:35]
	s_andn2_b64 vcc, s[36:37], exec
	s_and_b64 s[36:37], s[38:39], exec
	s_or_b64 s[36:37], vcc, s[36:37]
	s_andn2_b64 exec, exec, s[34:35]
	s_cbranch_execz .LBB6_10789
.LBB6_10785:                            ;   Parent Loop BB6_47 Depth=1
                                        ;     Parent Loop BB6_10639 Depth=2
                                        ;       Parent Loop BB6_10642 Depth=3
                                        ; =>      This Inner Loop Header: Depth=4
	s_add_i32 s9, s9, 1
	s_cmpk_lg_i32 s9, 0x2710
	s_cselect_b64 s[48:49], -1, 0
	s_and_b64 vcc, exec, s[48:49]
	s_cbranch_vccz .LBB6_10787
; %bb.10786:                            ;   in Loop: Header=BB6_10785 Depth=4
	s_mov_b64 vcc, -1
	s_or_b64 s[38:39], s[38:39], exec
	s_and_saveexec_b64 s[50:51], s[48:49]
	s_cbranch_execz .LBB6_10784
	s_branch .LBB6_10788
.LBB6_10787:                            ;   in Loop: Header=BB6_10785 Depth=4
	s_trap 2
	ds_read_b64 v[0:1], v0
	s_andn2_b64 s[48:49], s[48:49], exec
	s_mov_b32 s9, 0
	s_waitcnt vmcnt(0) lgkmcnt(0)
	flat_load_dword v0, v[0:1] glc
	s_waitcnt vmcnt(0) lgkmcnt(0)
	buffer_wbinvl1_vol
	v_cmp_eq_u32_e32 vcc, 0, v0
	s_and_b64 vcc, vcc, exec
	s_or_b64 s[48:49], s[48:49], vcc
	s_mov_b64 vcc, -1
	s_or_b64 s[38:39], s[38:39], exec
	s_and_saveexec_b64 s[50:51], s[48:49]
	s_cbranch_execz .LBB6_10784
.LBB6_10788:                            ;   in Loop: Header=BB6_10785 Depth=4
	s_sleep 1
	s_trap 2
	ds_read_b64 v[0:1], v0
	s_waitcnt lgkmcnt(0)
	buffer_load_dword v2, off, s[0:3], s33 offset:76 ; 4-byte Folded Reload
	buffer_load_dword v3, off, s[0:3], s33 offset:80 ; 4-byte Folded Reload
	s_andn2_b64 s[38:39], s[38:39], exec
	s_waitcnt vmcnt(0)
	v_cmp_ge_u64_e32 vcc, v[0:1], v[2:3]
	s_orn2_b64 vcc, vcc, exec
	s_branch .LBB6_10784
.LBB6_10789:                            ;   in Loop: Header=BB6_10642 Depth=3
	s_or_b64 exec, exec, s[34:35]
	s_and_saveexec_b64 vcc, s[36:37]
	s_xor_b64 vcc, exec, vcc
	s_cbranch_execz .LBB6_10791
; %bb.10790:                            ;   in Loop: Header=BB6_10642 Depth=3
	v_mov_b32_e32 v0, 1
	ds_write_b32 v0, v0
	s_trap 2
.LBB6_10791:                            ;   in Loop: Header=BB6_10642 Depth=3
	s_or_b64 exec, exec, s[30:31]
	;;#ASMSTART
	s_wakeup
	;;#ASMEND
.LBB6_10792:                            ;   in Loop: Header=BB6_10642 Depth=3
	s_or_b64 exec, exec, s[94:95]
.LBB6_10793:                            ;   in Loop: Header=BB6_10642 Depth=3
	s_andn2_saveexec_b64 s[40:41], s[40:41]
	s_cbranch_execz .LBB6_10795
; %bb.10794:                            ;   in Loop: Header=BB6_10642 Depth=3
	s_waitcnt vmcnt(0) lgkmcnt(0)
	buffer_wbinvl1_vol
	s_barrier
.LBB6_10795:                            ;   in Loop: Header=BB6_10642 Depth=3
	s_or_b64 exec, exec, s[40:41]
	s_or_b64 exec, exec, s[28:29]
                                        ; implicit-def: $vgpr0
	s_and_saveexec_b64 s[28:29], s[24:25]
	s_xor_b64 s[28:29], exec, s[28:29]
	s_cbranch_execnz .LBB6_10719
.LBB6_10796:                            ;   in Loop: Header=BB6_10642 Depth=3
	s_andn2_saveexec_b64 s[26:27], s[28:29]
	s_cbranch_execz .LBB6_10815
.LBB6_10797:                            ;   in Loop: Header=BB6_10642 Depth=3
	s_and_saveexec_b64 s[28:29], s[58:59]
	s_xor_b64 s[28:29], exec, s[28:29]
	s_cbranch_execz .LBB6_10812
; %bb.10798:                            ;   in Loop: Header=BB6_10642 Depth=3
	s_and_saveexec_b64 s[40:41], s[16:17]
	s_cbranch_execz .LBB6_10811
; %bb.10799:                            ;   in Loop: Header=BB6_10642 Depth=3
	s_mov_b64 s[30:31], exec
	v_mbcnt_lo_u32_b32 v0, s30, 0
	v_mbcnt_hi_u32_b32 v0, s31, v0
	v_cmp_eq_u32_e32 vcc, 0, v0
	;;#ASMSTART
	s_waitcnt lgkmcnt(0) vmcnt(0)
	;;#ASMEND
	s_and_saveexec_b64 s[94:95], vcc
	s_cbranch_execz .LBB6_10801
; %bb.10800:                            ;   in Loop: Header=BB6_10642 Depth=3
	s_bcnt1_i32_b64 s9, s[30:31]
	v_mov_b32_e32 v20, s9
	s_waitcnt lgkmcnt(0)
	ds_add_u64 v0, v[20:21]
	s_trap 2
.LBB6_10801:                            ;   in Loop: Header=BB6_10642 Depth=3
	s_or_b64 exec, exec, s[94:95]
	s_trap 2
	ds_read_b64 v[0:1], v0
	s_waitcnt lgkmcnt(0)
	buffer_load_dword v2, off, s[0:3], s33 offset:76 ; 4-byte Folded Reload
	buffer_load_dword v3, off, s[0:3], s33 offset:80 ; 4-byte Folded Reload
	s_waitcnt vmcnt(0)
	v_add_co_u32_e32 v2, vcc, v2, v49
	v_addc_co_u32_e32 v3, vcc, 0, v3, vcc
	buffer_store_dword v2, off, s[0:3], s33 offset:76 ; 4-byte Folded Spill
	s_nop 0
	buffer_store_dword v3, off, s[0:3], s33 offset:80 ; 4-byte Folded Spill
	v_cmp_lt_u64_e32 vcc, v[0:1], v[2:3]
	s_and_saveexec_b64 s[94:95], vcc
	s_cbranch_execz .LBB6_10810
; %bb.10802:                            ;   in Loop: Header=BB6_10642 Depth=3
	s_mov_b32 s9, 0
	s_mov_b64 s[30:31], 0
                                        ; implicit-def: $sgpr34_sgpr35
                                        ; implicit-def: $sgpr36_sgpr37
	s_branch .LBB6_10804
.LBB6_10803:                            ;   in Loop: Header=BB6_10804 Depth=4
	s_or_b64 exec, exec, s[48:49]
	s_and_b64 vcc, exec, vcc
	s_or_b64 s[30:31], vcc, s[30:31]
	s_andn2_b64 vcc, s[34:35], exec
	s_and_b64 s[34:35], s[36:37], exec
	s_or_b64 s[34:35], vcc, s[34:35]
	s_andn2_b64 exec, exec, s[30:31]
	s_cbranch_execz .LBB6_10808
.LBB6_10804:                            ;   Parent Loop BB6_47 Depth=1
                                        ;     Parent Loop BB6_10639 Depth=2
                                        ;       Parent Loop BB6_10642 Depth=3
                                        ; =>      This Inner Loop Header: Depth=4
	s_add_i32 s9, s9, 1
	s_cmpk_lg_i32 s9, 0x2710
	s_cselect_b64 s[38:39], -1, 0
	s_and_b64 vcc, exec, s[38:39]
	s_cbranch_vccz .LBB6_10806
; %bb.10805:                            ;   in Loop: Header=BB6_10804 Depth=4
	s_mov_b64 vcc, -1
	s_or_b64 s[36:37], s[36:37], exec
	s_and_saveexec_b64 s[48:49], s[38:39]
	s_cbranch_execz .LBB6_10803
	s_branch .LBB6_10807
.LBB6_10806:                            ;   in Loop: Header=BB6_10804 Depth=4
	s_trap 2
	ds_read_b64 v[0:1], v0
	s_andn2_b64 s[38:39], s[38:39], exec
	s_mov_b32 s9, 0
	s_waitcnt vmcnt(0) lgkmcnt(0)
	flat_load_dword v0, v[0:1] glc
	s_waitcnt vmcnt(0) lgkmcnt(0)
	buffer_wbinvl1_vol
	v_cmp_eq_u32_e32 vcc, 0, v0
	s_and_b64 vcc, vcc, exec
	s_or_b64 s[38:39], s[38:39], vcc
	s_mov_b64 vcc, -1
	s_or_b64 s[36:37], s[36:37], exec
	s_and_saveexec_b64 s[48:49], s[38:39]
	s_cbranch_execz .LBB6_10803
.LBB6_10807:                            ;   in Loop: Header=BB6_10804 Depth=4
	s_sleep 1
	s_trap 2
	ds_read_b64 v[0:1], v0
	s_waitcnt lgkmcnt(0)
	buffer_load_dword v2, off, s[0:3], s33 offset:76 ; 4-byte Folded Reload
	buffer_load_dword v3, off, s[0:3], s33 offset:80 ; 4-byte Folded Reload
	s_andn2_b64 s[36:37], s[36:37], exec
	s_waitcnt vmcnt(0)
	v_cmp_ge_u64_e32 vcc, v[0:1], v[2:3]
	s_orn2_b64 vcc, vcc, exec
	s_branch .LBB6_10803
.LBB6_10808:                            ;   in Loop: Header=BB6_10642 Depth=3
	s_or_b64 exec, exec, s[30:31]
	s_and_saveexec_b64 vcc, s[34:35]
	s_xor_b64 vcc, exec, vcc
	s_cbranch_execz .LBB6_10810
; %bb.10809:                            ;   in Loop: Header=BB6_10642 Depth=3
	v_mov_b32_e32 v0, 1
	ds_write_b32 v0, v0
	s_trap 2
.LBB6_10810:                            ;   in Loop: Header=BB6_10642 Depth=3
	s_or_b64 exec, exec, s[94:95]
	;;#ASMSTART
	s_wakeup
	;;#ASMEND
.LBB6_10811:                            ;   in Loop: Header=BB6_10642 Depth=3
	s_or_b64 exec, exec, s[40:41]
.LBB6_10812:                            ;   in Loop: Header=BB6_10642 Depth=3
	s_andn2_saveexec_b64 s[28:29], s[28:29]
	s_cbranch_execz .LBB6_10814
; %bb.10813:                            ;   in Loop: Header=BB6_10642 Depth=3
	;;#ASMSTART
	s_waitcnt lgkmcnt(0) vmcnt(0)
	;;#ASMEND
	s_waitcnt vmcnt(0) lgkmcnt(0)
	s_barrier
.LBB6_10814:                            ;   in Loop: Header=BB6_10642 Depth=3
	s_or_b64 exec, exec, s[28:29]
	buffer_load_dword v0, off, s[0:3], s33 offset:72 ; 4-byte Folded Reload
	s_waitcnt vmcnt(0)
	v_and_b32_e32 v0, 16, v0
.LBB6_10815:                            ;   in Loop: Header=BB6_10642 Depth=3
	s_or_b64 exec, exec, s[26:27]
	v_cmp_ne_u32_e32 vcc, 0, v0
	s_xor_b64 s[26:27], s[12:13], -1
	s_and_b64 s[28:29], vcc, s[26:27]
	s_and_saveexec_b64 s[26:27], s[28:29]
	s_cbranch_execz .LBB6_10817
; %bb.10816:                            ;   in Loop: Header=BB6_10642 Depth=3
	buffer_load_dword v0, off, s[0:3], s33 offset:228 ; 4-byte Folded Reload
	buffer_load_dword v1, off, s[0:3], s33 offset:232 ; 4-byte Folded Reload
	v_mov_b32_e32 v2, 1
	s_waitcnt vmcnt(0)
	flat_store_dword v[0:1], v2
.LBB6_10817:                            ;   in Loop: Header=BB6_10642 Depth=3
	s_or_b64 exec, exec, s[26:27]
	buffer_load_dword v0, off, s[0:3], s33 offset:72 ; 4-byte Folded Reload
	s_waitcnt vmcnt(0)
	v_and_b32_e32 v0, 48, v0
	v_cmp_ne_u32_e32 vcc, 0, v0
	s_and_saveexec_b64 s[26:27], vcc
	s_cbranch_execz .LBB6_10641
; %bb.10818:                            ;   in Loop: Header=BB6_10642 Depth=3
	buffer_load_dword v2, off, s[0:3], s33 offset:84 ; 4-byte Folded Reload
	buffer_load_dword v3, off, s[0:3], s33 offset:88 ; 4-byte Folded Reload
	;; [unrolled: 1-line block ×4, first 2 shown]
	s_waitcnt vmcnt(0)
	v_add_co_u32_e32 v2, vcc, 2, v2
	v_addc_co_u32_e32 v3, vcc, 0, v3, vcc
	buffer_store_dword v2, off, s[0:3], s33 offset:84 ; 4-byte Folded Spill
	s_nop 0
	buffer_store_dword v3, off, s[0:3], s33 offset:88 ; 4-byte Folded Spill
	flat_store_dwordx2 v[0:1], v[2:3]
	s_branch .LBB6_10641
.LBB6_10819:                            ;   in Loop: Header=BB6_10639 Depth=2
	s_or_b64 exec, exec, s[42:43]
	v_cmp_gt_i32_e32 vcc, 2, v2
	s_and_saveexec_b64 s[28:29], vcc
	s_cbranch_execz .LBB6_10895
.LBB6_10820:                            ;   in Loop: Header=BB6_10639 Depth=2
	v_cmp_eq_u32_e64 s[42:43], 0, v2
	s_mov_b64 s[40:41], 0
	s_branch .LBB6_10822
.LBB6_10821:                            ;   in Loop: Header=BB6_10822 Depth=3
	s_or_b64 exec, exec, s[26:27]
	v_add_u32_e32 v7, v4, v7
	s_mov_b64 s[42:43], 0
	s_andn2_b64 exec, exec, s[40:41]
	s_cbranch_execz .LBB6_10896
.LBB6_10822:                            ;   Parent Loop BB6_47 Depth=1
                                        ;     Parent Loop BB6_10639 Depth=2
                                        ; =>    This Loop Header: Depth=3
                                        ;         Child Loop BB6_10828 Depth 4
                                        ;         Child Loop BB6_10856 Depth 4
                                        ;         Child Loop BB6_10879 Depth 4
	v_sub_u32_e32 v0, v6, v7
	v_min_i32_e32 v4, v4, v0
	buffer_load_dword v0, off, s[0:3], s33 offset:72 ; 4-byte Folded Reload
	s_waitcnt vmcnt(0)
	v_and_b32_e32 v0, 12, v0
	v_cmp_ne_u32_e32 vcc, 0, v0
	s_and_saveexec_b64 s[90:91], vcc
	s_cbranch_execz .LBB6_10848
; %bb.10823:                            ;   in Loop: Header=BB6_10822 Depth=3
	buffer_load_dword v0, off, s[0:3], s33 offset:72 ; 4-byte Folded Reload
	s_waitcnt vmcnt(0)
	v_and_b32_e32 v10, 8, v0
	buffer_load_dword v0, off, s[0:3], s33 offset:56 ; 4-byte Folded Reload
	buffer_load_dword v1, off, s[0:3], s33 offset:60 ; 4-byte Folded Reload
	;; [unrolled: 1-line block ×4, first 2 shown]
	s_waitcnt vmcnt(0)
	v_add_co_u32_e32 v0, vcc, v0, v10
	v_addc_co_u32_e32 v1, vcc, 0, v1, vcc
	v_add_co_u32_e32 v8, vcc, 2, v2
	v_addc_co_u32_e32 v9, vcc, 0, v3, vcc
	v_cmp_lt_u64_e32 vcc, v[0:1], v[8:9]
	s_and_saveexec_b64 s[92:93], vcc
	s_cbranch_execz .LBB6_10835
; %bb.10824:                            ;   in Loop: Header=BB6_10822 Depth=3
	buffer_load_dword v0, off, s[0:3], s33 offset:72 ; 4-byte Folded Reload
	s_mov_b32 s9, 0
	s_mov_b64 s[94:95], 0
                                        ; implicit-def: $sgpr30_sgpr31
                                        ; implicit-def: $sgpr34_sgpr35
                                        ; implicit-def: $sgpr36_sgpr37
	s_waitcnt vmcnt(0)
	v_and_b32_e32 v0, 64, v0
	v_cmp_eq_u32_e32 vcc, 0, v0
	s_branch .LBB6_10828
.LBB6_10825:                            ;   in Loop: Header=BB6_10828 Depth=4
	buffer_load_dword v1, off, s[0:3], s33 offset:56 ; 4-byte Folded Reload
	buffer_load_dword v2, off, s[0:3], s33 offset:60 ; 4-byte Folded Reload
	s_or_b64 s[50:51], s[50:51], exec
	s_waitcnt vmcnt(1)
	v_add_co_u32_e64 v1, s[26:27], v1, v10
	s_waitcnt vmcnt(0)
	v_addc_co_u32_e64 v2, s[26:27], 0, v2, s[26:27]
	v_cmp_ge_u64_e64 s[26:27], v[1:2], v[8:9]
	s_orn2_b64 s[48:49], s[26:27], exec
.LBB6_10826:                            ;   in Loop: Header=BB6_10828 Depth=4
	s_or_b64 exec, exec, s[54:55]
	s_andn2_b64 s[26:27], s[36:37], exec
	s_and_b64 s[36:37], s[50:51], exec
	s_or_b64 s[36:37], s[26:27], s[36:37]
	s_andn2_b64 s[26:27], s[34:35], exec
	s_and_b64 s[34:35], s[48:49], exec
	s_or_b64 s[34:35], s[26:27], s[34:35]
.LBB6_10827:                            ;   in Loop: Header=BB6_10828 Depth=4
	s_or_b64 exec, exec, s[38:39]
	s_and_b64 s[26:27], exec, s[34:35]
	s_or_b64 s[94:95], s[26:27], s[94:95]
	s_andn2_b64 s[26:27], s[30:31], exec
	s_and_b64 s[30:31], s[36:37], exec
	s_or_b64 s[30:31], s[26:27], s[30:31]
	s_andn2_b64 exec, exec, s[94:95]
	s_cbranch_execz .LBB6_10832
.LBB6_10828:                            ;   Parent Loop BB6_47 Depth=1
                                        ;     Parent Loop BB6_10639 Depth=2
                                        ;       Parent Loop BB6_10822 Depth=3
                                        ; =>      This Inner Loop Header: Depth=4
	s_sleep 1
	buffer_load_dword v0, off, s[0:3], s33 offset:64 ; 4-byte Folded Reload
	buffer_load_dword v1, off, s[0:3], s33 offset:68 ; 4-byte Folded Reload
	s_or_b64 s[36:37], s[36:37], exec
	s_or_b64 s[34:35], s[34:35], exec
	s_waitcnt vmcnt(0)
	flat_load_dwordx2 v[0:1], v[0:1] glc
	s_waitcnt vmcnt(0) lgkmcnt(0)
	buffer_store_dword v0, off, s[0:3], s33 offset:56 ; 4-byte Folded Spill
	s_nop 0
	buffer_store_dword v1, off, s[0:3], s33 offset:60 ; 4-byte Folded Spill
                                        ; implicit-def: $vgpr0
	s_and_saveexec_b64 s[38:39], vcc
	s_cbranch_execz .LBB6_10827
; %bb.10829:                            ;   in Loop: Header=BB6_10828 Depth=4
	s_cmpk_lt_i32 s9, 0x270f
	s_cselect_b64 s[52:53], -1, 0
	s_cmpk_gt_i32 s9, 0x270e
	s_mov_b64 s[48:49], -1
	s_cbranch_scc0 .LBB6_10831
; %bb.10830:                            ;   in Loop: Header=BB6_10828 Depth=4
	s_trap 2
	ds_read_b64 v[0:1], v0
	s_andn2_b64 s[52:53], s[52:53], exec
	s_mov_b32 s9, 0
	s_mov_b64 s[50:51], 0
	s_waitcnt vmcnt(0) lgkmcnt(0)
	flat_load_dword v0, v[0:1] glc
	s_waitcnt vmcnt(0) lgkmcnt(0)
	buffer_wbinvl1_vol
	v_cmp_eq_u32_e64 s[26:27], 0, v0
	s_and_b64 s[26:27], s[26:27], exec
	s_or_b64 s[52:53], s[52:53], s[26:27]
	s_and_saveexec_b64 s[54:55], s[52:53]
	s_cbranch_execz .LBB6_10826
	s_branch .LBB6_10825
.LBB6_10831:                            ;   in Loop: Header=BB6_10828 Depth=4
	s_add_i32 s9, s9, 1
	s_mov_b64 s[50:51], -1
                                        ; implicit-def: $vgpr0
	s_and_saveexec_b64 s[54:55], s[52:53]
	s_cbranch_execz .LBB6_10826
	s_branch .LBB6_10825
.LBB6_10832:                            ;   in Loop: Header=BB6_10822 Depth=3
	s_or_b64 exec, exec, s[94:95]
	s_xor_b64 s[26:27], s[30:31], -1
	s_and_saveexec_b64 s[94:95], s[26:27]
	s_xor_b64 s[26:27], exec, s[94:95]
	s_cbranch_execz .LBB6_10834
; %bb.10833:                            ;   in Loop: Header=BB6_10822 Depth=3
	ds_write_b32 v0, v0
	s_trap 2
	buffer_load_dword v0, off, s[0:3], s33 offset:72 ; 4-byte Folded Reload
	s_waitcnt vmcnt(0)
	v_or_b32_e32 v0, 64, v0
	buffer_store_dword v0, off, s[0:3], s33 offset:72 ; 4-byte Folded Spill
.LBB6_10834:                            ;   in Loop: Header=BB6_10822 Depth=3
	s_or_b64 exec, exec, s[26:27]
.LBB6_10835:                            ;   in Loop: Header=BB6_10822 Depth=3
	s_or_b64 exec, exec, s[92:93]
	;;#ASMSTART
	s_wakeup
	;;#ASMEND
	buffer_load_dword v0, off, s[0:3], s33 offset:72 ; 4-byte Folded Reload
	s_waitcnt vmcnt(0)
	v_and_b32_e32 v0, 0x108, v0
	v_cmp_ne_u32_e32 vcc, s71, v0
	s_and_saveexec_b64 s[26:27], vcc
	s_xor_b64 s[26:27], exec, s[26:27]
                                        ; implicit-def: $vgpr11
	s_cbranch_execz .LBB6_10837
; %bb.10836:                            ;   in Loop: Header=BB6_10822 Depth=3
	buffer_load_dword v0, off, s[0:3], s33 offset:84 ; 4-byte Folded Reload
	buffer_load_dword v1, off, s[0:3], s33 offset:88 ; 4-byte Folded Reload
	s_waitcnt vmcnt(0)
	v_and_b32_e32 v11, 7, v0
                                        ; implicit-def: $vgpr0_vgpr1
                                        ; kill: killed $vgpr0_vgpr1
.LBB6_10837:                            ;   in Loop: Header=BB6_10822 Depth=3
	s_andn2_saveexec_b64 s[26:27], s[26:27]
	s_cbranch_execz .LBB6_10839
; %bb.10838:                            ;   in Loop: Header=BB6_10822 Depth=3
	buffer_load_dword v0, off, s[0:3], s33 offset:84 ; 4-byte Folded Reload
	buffer_load_dword v1, off, s[0:3], s33 offset:88 ; 4-byte Folded Reload
	v_ashrrev_i32_e32 v5, 31, v4
	s_waitcnt vmcnt(0)
	v_and_b32_e32 v11, 7, v0
	buffer_load_dword v0, off, s[0:3], s33 offset:212 ; 4-byte Folded Reload
	buffer_load_dword v1, off, s[0:3], s33 offset:216 ; 4-byte Folded Reload
	;; [unrolled: 1-line block ×4, first 2 shown]
	s_waitcnt vmcnt(0)
	v_mad_u64_u32 v[0:1], s[92:93], v11, 24, v[0:1]
	flat_store_dwordx2 v[0:1], v[4:5] offset:8
.LBB6_10839:                            ;   in Loop: Header=BB6_10822 Depth=3
	s_or_b64 exec, exec, s[26:27]
	buffer_load_dword v0, off, s[0:3], s33 offset:72 ; 4-byte Folded Reload
	s_mov_b64 s[26:27], -1
	s_waitcnt vmcnt(0)
	v_and_b32_e32 v0, 0x100, v0
	v_cmp_ne_u32_e32 vcc, 0, v0
                                        ; implicit-def: $vgpr0_vgpr1
	s_and_saveexec_b64 s[92:93], vcc
	s_cbranch_execz .LBB6_10843
; %bb.10840:                            ;   in Loop: Header=BB6_10822 Depth=3
	buffer_load_dword v0, off, s[0:3], s33 offset:212 ; 4-byte Folded Reload
	buffer_load_dword v1, off, s[0:3], s33 offset:216 ; 4-byte Folded Reload
	;; [unrolled: 1-line block ×4, first 2 shown]
	s_waitcnt vmcnt(0)
	v_mad_u64_u32 v[2:3], s[26:27], v11, 24, v[0:1]
	v_mov_b32_e32 v0, v3
	v_mad_u64_u32 v[0:1], s[26:27], v21, 24, v[0:1]
	v_mov_b32_e32 v3, v0
	flat_load_dword v0, v[2:3]
	s_waitcnt vmcnt(0) lgkmcnt(0)
	v_cmp_ne_u32_e32 vcc, 1, v0
	v_cmp_eq_u32_e64 s[26:27], 1, v0
                                        ; implicit-def: $vgpr0_vgpr1
	s_and_saveexec_b64 s[94:95], s[26:27]
	s_cbranch_execz .LBB6_10842
; %bb.10841:                            ;   in Loop: Header=BB6_10822 Depth=3
	flat_load_dword v0, v[2:3] offset:4 glc
	s_waitcnt vmcnt(0) lgkmcnt(0)
	v_ashrrev_i32_e32 v1, 31, v0
.LBB6_10842:                            ;   in Loop: Header=BB6_10822 Depth=3
	s_or_b64 exec, exec, s[94:95]
	s_orn2_b64 s[26:27], vcc, exec
.LBB6_10843:                            ;   in Loop: Header=BB6_10822 Depth=3
	s_or_b64 exec, exec, s[92:93]
	s_and_saveexec_b64 s[92:93], s[26:27]
	s_cbranch_execz .LBB6_10845
; %bb.10844:                            ;   in Loop: Header=BB6_10822 Depth=3
	buffer_load_dword v0, off, s[0:3], s33 offset:244 ; 4-byte Folded Reload
	buffer_load_dword v1, off, s[0:3], s33 offset:264 ; 4-byte Folded Reload
	s_waitcnt vmcnt(0)
	v_mul_lo_u32 v2, v21, v0
	v_mul_lo_u32 v3, v11, v1
	v_mad_u64_u32 v[0:1], s[26:27], v11, v0, 0
	v_add3_u32 v1, v1, v3, v2
.LBB6_10845:                            ;   in Loop: Header=BB6_10822 Depth=3
	s_or_b64 exec, exec, s[92:93]
	v_cmp_eq_u32_e32 vcc, 0, v10
	buffer_load_dword v10, off, s[0:3], s33 offset:204 ; 4-byte Folded Reload
	buffer_load_dword v11, off, s[0:3], s33 offset:208 ; 4-byte Folded Reload
	v_mov_b32_e32 v2, 0xd0
	v_mov_b32_e32 v3, 0x88
	v_cndmask_b32_e32 v2, v2, v3, vcc
	s_waitcnt vmcnt(0)
	v_add_co_u32_e32 v0, vcc, v10, v0
	v_addc_co_u32_e32 v1, vcc, v11, v1, vcc
	v_add_u32_e32 v2, v0, v2
	ds_write_b64 v2, v[0:1] offset:584
	buffer_load_dword v0, off, s[0:3], s33 offset:72 ; 4-byte Folded Reload
	s_waitcnt vmcnt(0)
	v_and_b32_e32 v0, 0x2000, v0
	v_cmp_ne_u32_e32 vcc, 0, v0
	s_and_saveexec_b64 s[26:27], vcc
	s_cbranch_execz .LBB6_10847
; %bb.10846:                            ;   in Loop: Header=BB6_10822 Depth=3
	ds_read_b64 v[0:1], v0 offset:872
	s_waitcnt lgkmcnt(0)
	v_add_co_u32_e32 v0, vcc, 1, v0
	v_addc_co_u32_e32 v1, vcc, 0, v1, vcc
	ds_write_b64 v0, v[0:1] offset:872
.LBB6_10847:                            ;   in Loop: Header=BB6_10822 Depth=3
	s_or_b64 exec, exec, s[26:27]
	buffer_store_dword v8, off, s[0:3], s33 offset:84 ; 4-byte Folded Spill
	s_nop 0
	buffer_store_dword v9, off, s[0:3], s33 offset:88 ; 4-byte Folded Spill
.LBB6_10848:                            ;   in Loop: Header=BB6_10822 Depth=3
	s_or_b64 exec, exec, s[90:91]
	s_xor_b64 s[26:27], s[42:43], -1
	s_and_b64 s[26:27], exec, s[26:27]
	s_or_b64 s[40:41], s[26:27], s[40:41]
	s_and_saveexec_b64 s[26:27], s[10:11]
	s_cbranch_execz .LBB6_10867
; %bb.10849:                            ;   in Loop: Header=BB6_10822 Depth=3
	s_and_saveexec_b64 s[42:43], s[58:59]
	s_xor_b64 s[42:43], exec, s[42:43]
	s_cbranch_execz .LBB6_10864
; %bb.10850:                            ;   in Loop: Header=BB6_10822 Depth=3
	s_and_saveexec_b64 s[90:91], s[16:17]
	s_cbranch_execz .LBB6_10863
; %bb.10851:                            ;   in Loop: Header=BB6_10822 Depth=3
	s_mov_b64 s[94:95], exec
	v_mbcnt_lo_u32_b32 v0, s94, 0
	v_mbcnt_hi_u32_b32 v0, s95, v0
	v_cmp_eq_u32_e32 vcc, 0, v0
	s_waitcnt vmcnt(0) lgkmcnt(0)
	buffer_wbinvl1_vol
	s_and_saveexec_b64 s[92:93], vcc
	s_cbranch_execz .LBB6_10853
; %bb.10852:                            ;   in Loop: Header=BB6_10822 Depth=3
	s_bcnt1_i32_b64 s9, s[94:95]
	v_mov_b32_e32 v20, s9
	ds_add_u64 v0, v[20:21]
	s_trap 2
.LBB6_10853:                            ;   in Loop: Header=BB6_10822 Depth=3
	s_or_b64 exec, exec, s[92:93]
	s_trap 2
	ds_read_b64 v[0:1], v0
	s_waitcnt lgkmcnt(0)
	buffer_load_dword v2, off, s[0:3], s33 offset:76 ; 4-byte Folded Reload
	buffer_load_dword v3, off, s[0:3], s33 offset:80 ; 4-byte Folded Reload
	s_waitcnt vmcnt(1)
	v_add_co_u32_e32 v2, vcc, v2, v49
	s_waitcnt vmcnt(0)
	v_addc_co_u32_e32 v3, vcc, 0, v3, vcc
	buffer_store_dword v2, off, s[0:3], s33 offset:76 ; 4-byte Folded Spill
	s_nop 0
	buffer_store_dword v3, off, s[0:3], s33 offset:80 ; 4-byte Folded Spill
	v_cmp_lt_u64_e32 vcc, v[0:1], v[2:3]
	s_and_saveexec_b64 s[92:93], vcc
	s_cbranch_execz .LBB6_10862
; %bb.10854:                            ;   in Loop: Header=BB6_10822 Depth=3
	s_mov_b32 s9, 0
	s_mov_b64 s[94:95], 0
                                        ; implicit-def: $sgpr30_sgpr31
                                        ; implicit-def: $sgpr34_sgpr35
	s_branch .LBB6_10856
.LBB6_10855:                            ;   in Loop: Header=BB6_10856 Depth=4
	s_or_b64 exec, exec, s[38:39]
	s_and_b64 vcc, exec, vcc
	s_or_b64 s[94:95], vcc, s[94:95]
	s_andn2_b64 vcc, s[30:31], exec
	s_and_b64 s[30:31], s[34:35], exec
	s_or_b64 s[30:31], vcc, s[30:31]
	s_andn2_b64 exec, exec, s[94:95]
	s_cbranch_execz .LBB6_10860
.LBB6_10856:                            ;   Parent Loop BB6_47 Depth=1
                                        ;     Parent Loop BB6_10639 Depth=2
                                        ;       Parent Loop BB6_10822 Depth=3
                                        ; =>      This Inner Loop Header: Depth=4
	s_add_i32 s9, s9, 1
	s_cmpk_lg_i32 s9, 0x2710
	s_cselect_b64 s[36:37], -1, 0
	s_and_b64 vcc, exec, s[36:37]
	s_cbranch_vccz .LBB6_10858
; %bb.10857:                            ;   in Loop: Header=BB6_10856 Depth=4
	s_mov_b64 vcc, -1
	s_or_b64 s[34:35], s[34:35], exec
	s_and_saveexec_b64 s[38:39], s[36:37]
	s_cbranch_execz .LBB6_10855
	s_branch .LBB6_10859
.LBB6_10858:                            ;   in Loop: Header=BB6_10856 Depth=4
	s_trap 2
	ds_read_b64 v[0:1], v0
	s_andn2_b64 s[36:37], s[36:37], exec
	s_mov_b32 s9, 0
	s_waitcnt vmcnt(0) lgkmcnt(0)
	flat_load_dword v0, v[0:1] glc
	s_waitcnt vmcnt(0) lgkmcnt(0)
	buffer_wbinvl1_vol
	v_cmp_eq_u32_e32 vcc, 0, v0
	s_and_b64 vcc, vcc, exec
	s_or_b64 s[36:37], s[36:37], vcc
	s_mov_b64 vcc, -1
	s_or_b64 s[34:35], s[34:35], exec
	s_and_saveexec_b64 s[38:39], s[36:37]
	s_cbranch_execz .LBB6_10855
.LBB6_10859:                            ;   in Loop: Header=BB6_10856 Depth=4
	s_sleep 1
	s_trap 2
	ds_read_b64 v[0:1], v0
	s_waitcnt lgkmcnt(0)
	buffer_load_dword v2, off, s[0:3], s33 offset:76 ; 4-byte Folded Reload
	buffer_load_dword v3, off, s[0:3], s33 offset:80 ; 4-byte Folded Reload
	s_andn2_b64 s[34:35], s[34:35], exec
	s_waitcnt vmcnt(0)
	v_cmp_ge_u64_e32 vcc, v[0:1], v[2:3]
	s_orn2_b64 vcc, vcc, exec
	s_branch .LBB6_10855
.LBB6_10860:                            ;   in Loop: Header=BB6_10822 Depth=3
	s_or_b64 exec, exec, s[94:95]
	s_and_saveexec_b64 s[94:95], s[30:31]
	s_xor_b64 s[94:95], exec, s[94:95]
	s_cbranch_execz .LBB6_10862
; %bb.10861:                            ;   in Loop: Header=BB6_10822 Depth=3
	v_mov_b32_e32 v0, 1
	ds_write_b32 v0, v0
	s_trap 2
.LBB6_10862:                            ;   in Loop: Header=BB6_10822 Depth=3
	s_or_b64 exec, exec, s[92:93]
	;;#ASMSTART
	s_wakeup
	;;#ASMEND
.LBB6_10863:                            ;   in Loop: Header=BB6_10822 Depth=3
	s_or_b64 exec, exec, s[90:91]
.LBB6_10864:                            ;   in Loop: Header=BB6_10822 Depth=3
	s_andn2_saveexec_b64 s[42:43], s[42:43]
	s_cbranch_execz .LBB6_10866
; %bb.10865:                            ;   in Loop: Header=BB6_10822 Depth=3
	s_waitcnt vmcnt(0) lgkmcnt(0)
	buffer_wbinvl1_vol
	s_barrier
.LBB6_10866:                            ;   in Loop: Header=BB6_10822 Depth=3
	s_or_b64 exec, exec, s[42:43]
.LBB6_10867:                            ;   in Loop: Header=BB6_10822 Depth=3
	s_or_b64 exec, exec, s[26:27]
                                        ; implicit-def: $vgpr0
	s_and_saveexec_b64 s[26:27], s[24:25]
	s_xor_b64 s[26:27], exec, s[26:27]
	s_cbranch_execz .LBB6_10871
; %bb.10868:                            ;   in Loop: Header=BB6_10822 Depth=3
	s_trap 2
	buffer_load_dword v1, off, s[0:3], s33 offset:72 ; 4-byte Folded Reload
	ds_read_b32 v0, v0
	v_cmp_lt_i32_e32 vcc, 0, v4
	s_waitcnt lgkmcnt(0)
	v_readfirstlane_b32 s9, v0
	s_cmp_eq_u32 s9, 0
	s_cselect_b64 s[42:43], -1, 0
	s_and_b64 s[42:43], vcc, s[42:43]
	s_waitcnt vmcnt(0)
	v_and_b32_e32 v0, 16, v1
	v_and_b32_e32 v1, 16, v1
	v_cmp_ne_u32_e32 vcc, 0, v1
	s_and_b64 s[90:91], vcc, s[42:43]
	s_and_saveexec_b64 s[42:43], s[90:91]
	s_cbranch_execz .LBB6_10870
; %bb.10869:                            ;   in Loop: Header=BB6_10822 Depth=3
	v_mov_b32_e32 v0, 1
	buffer_wbinvl1_vol
.LBB6_10870:                            ;   in Loop: Header=BB6_10822 Depth=3
	s_or_b64 exec, exec, s[42:43]
	s_andn2_saveexec_b64 s[26:27], s[26:27]
	s_cbranch_execz .LBB6_10890
	s_branch .LBB6_10872
.LBB6_10871:                            ;   in Loop: Header=BB6_10822 Depth=3
	s_andn2_saveexec_b64 s[26:27], s[26:27]
	s_cbranch_execz .LBB6_10890
.LBB6_10872:                            ;   in Loop: Header=BB6_10822 Depth=3
	s_and_saveexec_b64 s[42:43], s[58:59]
	s_xor_b64 s[42:43], exec, s[42:43]
	s_cbranch_execz .LBB6_10887
; %bb.10873:                            ;   in Loop: Header=BB6_10822 Depth=3
	s_and_saveexec_b64 s[90:91], s[16:17]
	s_cbranch_execz .LBB6_10886
; %bb.10874:                            ;   in Loop: Header=BB6_10822 Depth=3
	s_mov_b64 s[94:95], exec
	v_mbcnt_lo_u32_b32 v0, s94, 0
	v_mbcnt_hi_u32_b32 v0, s95, v0
	v_cmp_eq_u32_e32 vcc, 0, v0
	;;#ASMSTART
	s_waitcnt lgkmcnt(0) vmcnt(0)
	;;#ASMEND
	s_and_saveexec_b64 s[92:93], vcc
	s_cbranch_execz .LBB6_10876
; %bb.10875:                            ;   in Loop: Header=BB6_10822 Depth=3
	s_bcnt1_i32_b64 s9, s[94:95]
	v_mov_b32_e32 v20, s9
	s_waitcnt lgkmcnt(0)
	ds_add_u64 v0, v[20:21]
	s_trap 2
.LBB6_10876:                            ;   in Loop: Header=BB6_10822 Depth=3
	s_or_b64 exec, exec, s[92:93]
	s_trap 2
	ds_read_b64 v[0:1], v0
	s_waitcnt lgkmcnt(0)
	buffer_load_dword v2, off, s[0:3], s33 offset:76 ; 4-byte Folded Reload
	buffer_load_dword v3, off, s[0:3], s33 offset:80 ; 4-byte Folded Reload
	s_waitcnt vmcnt(1)
	v_add_co_u32_e32 v2, vcc, v2, v49
	s_waitcnt vmcnt(0)
	v_addc_co_u32_e32 v3, vcc, 0, v3, vcc
	buffer_store_dword v2, off, s[0:3], s33 offset:76 ; 4-byte Folded Spill
	s_nop 0
	buffer_store_dword v3, off, s[0:3], s33 offset:80 ; 4-byte Folded Spill
	v_cmp_lt_u64_e32 vcc, v[0:1], v[2:3]
	s_and_saveexec_b64 s[92:93], vcc
	s_cbranch_execz .LBB6_10885
; %bb.10877:                            ;   in Loop: Header=BB6_10822 Depth=3
	s_mov_b32 s9, 0
	s_mov_b64 s[94:95], 0
                                        ; implicit-def: $sgpr30_sgpr31
                                        ; implicit-def: $sgpr34_sgpr35
	s_branch .LBB6_10879
.LBB6_10878:                            ;   in Loop: Header=BB6_10879 Depth=4
	s_or_b64 exec, exec, s[38:39]
	s_and_b64 vcc, exec, vcc
	s_or_b64 s[94:95], vcc, s[94:95]
	s_andn2_b64 vcc, s[30:31], exec
	s_and_b64 s[30:31], s[34:35], exec
	s_or_b64 s[30:31], vcc, s[30:31]
	s_andn2_b64 exec, exec, s[94:95]
	s_cbranch_execz .LBB6_10883
.LBB6_10879:                            ;   Parent Loop BB6_47 Depth=1
                                        ;     Parent Loop BB6_10639 Depth=2
                                        ;       Parent Loop BB6_10822 Depth=3
                                        ; =>      This Inner Loop Header: Depth=4
	s_add_i32 s9, s9, 1
	s_cmpk_lg_i32 s9, 0x2710
	s_cselect_b64 s[36:37], -1, 0
	s_and_b64 vcc, exec, s[36:37]
	s_cbranch_vccz .LBB6_10881
; %bb.10880:                            ;   in Loop: Header=BB6_10879 Depth=4
	s_mov_b64 vcc, -1
	s_or_b64 s[34:35], s[34:35], exec
	s_and_saveexec_b64 s[38:39], s[36:37]
	s_cbranch_execz .LBB6_10878
	s_branch .LBB6_10882
.LBB6_10881:                            ;   in Loop: Header=BB6_10879 Depth=4
	s_trap 2
	ds_read_b64 v[0:1], v0
	s_andn2_b64 s[36:37], s[36:37], exec
	s_mov_b32 s9, 0
	s_waitcnt vmcnt(0) lgkmcnt(0)
	flat_load_dword v0, v[0:1] glc
	s_waitcnt vmcnt(0) lgkmcnt(0)
	buffer_wbinvl1_vol
	v_cmp_eq_u32_e32 vcc, 0, v0
	s_and_b64 vcc, vcc, exec
	s_or_b64 s[36:37], s[36:37], vcc
	s_mov_b64 vcc, -1
	s_or_b64 s[34:35], s[34:35], exec
	s_and_saveexec_b64 s[38:39], s[36:37]
	s_cbranch_execz .LBB6_10878
.LBB6_10882:                            ;   in Loop: Header=BB6_10879 Depth=4
	s_sleep 1
	s_trap 2
	ds_read_b64 v[0:1], v0
	s_waitcnt lgkmcnt(0)
	buffer_load_dword v2, off, s[0:3], s33 offset:76 ; 4-byte Folded Reload
	buffer_load_dword v3, off, s[0:3], s33 offset:80 ; 4-byte Folded Reload
	s_andn2_b64 s[34:35], s[34:35], exec
	s_waitcnt vmcnt(0)
	v_cmp_ge_u64_e32 vcc, v[0:1], v[2:3]
	s_orn2_b64 vcc, vcc, exec
	s_branch .LBB6_10878
.LBB6_10883:                            ;   in Loop: Header=BB6_10822 Depth=3
	s_or_b64 exec, exec, s[94:95]
	s_and_saveexec_b64 s[94:95], s[30:31]
	s_xor_b64 s[94:95], exec, s[94:95]
	s_cbranch_execz .LBB6_10885
; %bb.10884:                            ;   in Loop: Header=BB6_10822 Depth=3
	v_mov_b32_e32 v0, 1
	ds_write_b32 v0, v0
	s_trap 2
.LBB6_10885:                            ;   in Loop: Header=BB6_10822 Depth=3
	s_or_b64 exec, exec, s[92:93]
	;;#ASMSTART
	s_wakeup
	;;#ASMEND
.LBB6_10886:                            ;   in Loop: Header=BB6_10822 Depth=3
	s_or_b64 exec, exec, s[90:91]
.LBB6_10887:                            ;   in Loop: Header=BB6_10822 Depth=3
	s_andn2_saveexec_b64 s[42:43], s[42:43]
	s_cbranch_execz .LBB6_10889
; %bb.10888:                            ;   in Loop: Header=BB6_10822 Depth=3
	;;#ASMSTART
	s_waitcnt lgkmcnt(0) vmcnt(0)
	;;#ASMEND
	s_waitcnt vmcnt(0) lgkmcnt(0)
	s_barrier
.LBB6_10889:                            ;   in Loop: Header=BB6_10822 Depth=3
	s_or_b64 exec, exec, s[42:43]
	buffer_load_dword v0, off, s[0:3], s33 offset:72 ; 4-byte Folded Reload
	s_waitcnt vmcnt(0)
	v_and_b32_e32 v0, 16, v0
.LBB6_10890:                            ;   in Loop: Header=BB6_10822 Depth=3
	s_or_b64 exec, exec, s[26:27]
	v_cmp_ne_u32_e32 vcc, 0, v0
	s_xor_b64 s[26:27], s[12:13], -1
	s_and_b64 s[42:43], vcc, s[26:27]
	s_and_saveexec_b64 s[26:27], s[42:43]
	s_cbranch_execz .LBB6_10892
; %bb.10891:                            ;   in Loop: Header=BB6_10822 Depth=3
	buffer_load_dword v0, off, s[0:3], s33 offset:228 ; 4-byte Folded Reload
	buffer_load_dword v1, off, s[0:3], s33 offset:232 ; 4-byte Folded Reload
	v_mov_b32_e32 v2, 1
	s_waitcnt vmcnt(0)
	flat_store_dword v[0:1], v2
.LBB6_10892:                            ;   in Loop: Header=BB6_10822 Depth=3
	s_or_b64 exec, exec, s[26:27]
	buffer_load_dword v0, off, s[0:3], s33 offset:72 ; 4-byte Folded Reload
	s_waitcnt vmcnt(0)
	v_and_b32_e32 v0, 48, v0
	v_cmp_ne_u32_e32 vcc, 0, v0
	s_and_saveexec_b64 s[26:27], vcc
	s_cbranch_execz .LBB6_10821
; %bb.10893:                            ;   in Loop: Header=BB6_10822 Depth=3
	buffer_load_dword v2, off, s[0:3], s33 offset:84 ; 4-byte Folded Reload
	buffer_load_dword v3, off, s[0:3], s33 offset:88 ; 4-byte Folded Reload
	;; [unrolled: 1-line block ×4, first 2 shown]
	s_waitcnt vmcnt(0)
	v_add_co_u32_e32 v2, vcc, 2, v2
	v_addc_co_u32_e32 v3, vcc, 0, v3, vcc
	buffer_store_dword v2, off, s[0:3], s33 offset:84 ; 4-byte Folded Spill
	s_nop 0
	buffer_store_dword v3, off, s[0:3], s33 offset:88 ; 4-byte Folded Spill
	flat_store_dwordx2 v[0:1], v[2:3]
	s_branch .LBB6_10821
.LBB6_10894:                            ;   in Loop: Header=BB6_10639 Depth=2
	s_or_b64 exec, exec, s[90:91]
	s_or_b64 exec, exec, s[42:43]
	v_cmp_gt_i32_e32 vcc, 2, v2
	s_and_saveexec_b64 s[28:29], vcc
	s_cbranch_execnz .LBB6_10820
.LBB6_10895:                            ;   in Loop: Header=BB6_10639 Depth=2
	s_or_b64 exec, exec, s[28:29]
	s_add_i32 s9, s44, 1
	s_cmp_eq_u32 s44, s96
	s_cbranch_scc0 .LBB6_10897
	s_branch .LBB6_10898
.LBB6_10896:                            ;   in Loop: Header=BB6_10639 Depth=2
	s_or_b64 exec, exec, s[40:41]
	s_or_b64 exec, exec, s[28:29]
	s_add_i32 s9, s44, 1
	s_cmp_eq_u32 s44, s96
	s_cbranch_scc1 .LBB6_10898
.LBB6_10897:                            ;   in Loop: Header=BB6_10639 Depth=2
	s_mov_b32 s44, s9
	s_branch .LBB6_10639
.LBB6_10898:                            ;   in Loop: Header=BB6_47 Depth=1
	buffer_load_dword v4, off, s[0:3], s33 offset:364 ; 4-byte Folded Reload
	buffer_load_dword v5, off, s[0:3], s33 offset:368 ; 4-byte Folded Reload
	v_mov_b32_e32 v14, 0
	s_waitcnt vmcnt(0)
	v_mul_lo_u32 v3, v4, s46
	v_mul_lo_u32 v2, v5, s97
	v_mad_u64_u32 v[0:1], s[26:27], v4, s97, 0
	v_add3_u32 v1, v1, v3, v2
	buffer_load_dword v2, off, s[0:3], s33 offset:356 ; 4-byte Folded Reload
	buffer_load_dword v3, off, s[0:3], s33 offset:360 ; 4-byte Folded Reload
	s_waitcnt vmcnt(0)
	v_sub_co_u32_e32 v2, vcc, v2, v0
	v_subb_co_u32_e32 v3, vcc, v3, v1, vcc
	v_cmp_lt_i64_e32 vcc, v[4:5], v[2:3]
	v_cndmask_b32_e32 v3, v2, v4, vcc
	v_max_i32_e32 v6, 0, v3
	v_add_u32_e32 v4, 31, v6
	v_lshrrev_b32_e32 v4, 1, v4
	v_and_b32_e32 v4, 0x3ffffff0, v4
	v_cmp_lt_i32_e32 vcc, 0, v3
	v_mov_b32_e32 v2, 0
	v_max_i32_e32 v7, s87, v4
	s_and_b64 s[26:27], s[76:77], vcc
	s_and_saveexec_b64 s[28:29], s[26:27]
	s_cbranch_execz .LBB6_11038
; %bb.10899:                            ;   in Loop: Header=BB6_47 Depth=1
	buffer_load_dword v2, off, s[0:3], s33 offset:288 ; 4-byte Folded Reload
	s_mov_b32 s44, 1
	s_mov_b64 s[42:43], -1
	v_mov_b32_e32 v14, 0
	s_mov_b64 s[40:41], 0
	s_waitcnt vmcnt(0)
	v_add_co_u32_e32 v15, vcc, v0, v2
	buffer_load_dword v0, off, s[0:3], s33 offset:292 ; 4-byte Folded Reload
	s_waitcnt vmcnt(0)
	v_addc_co_u32_e32 v16, vcc, v1, v0, vcc
	s_branch .LBB6_10901
.LBB6_10900:                            ;   in Loop: Header=BB6_10901 Depth=2
	s_or_b64 exec, exec, s[26:27]
	v_add_u32_e32 v14, v7, v14
	v_cmp_ge_i32_e32 vcc, v14, v6
	s_xor_b64 s[26:27], s[42:43], -1
	s_or_b64 s[26:27], s[26:27], vcc
	s_and_b64 s[26:27], exec, s[26:27]
	s_or_b64 s[40:41], s[26:27], s[40:41]
	s_mov_b64 s[42:43], 0
	v_mov_b32_e32 v2, s44
	s_mov_b32 s44, 2
	s_andn2_b64 exec, exec, s[40:41]
	s_cbranch_execz .LBB6_11037
.LBB6_10901:                            ;   Parent Loop BB6_47 Depth=1
                                        ; =>  This Loop Header: Depth=2
                                        ;       Child Loop BB6_10909 Depth 3
                                        ;       Child Loop BB6_10933 Depth 3
	;; [unrolled: 1-line block ×9, first 2 shown]
	s_and_saveexec_b64 s[26:27], s[4:5]
	s_cbranch_execz .LBB6_10903
; %bb.10902:                            ;   in Loop: Header=BB6_10901 Depth=2
	s_trap 2
	ds_read_b128 v[0:3], v0
	v_ashrrev_i32_e32 v4, 31, v14
	s_waitcnt lgkmcnt(0)
	v_add_co_u32_e32 v0, vcc, v0, v15
	v_addc_co_u32_e32 v1, vcc, v1, v16, vcc
	v_add_co_u32_e32 v0, vcc, v0, v14
	v_addc_co_u32_e32 v1, vcc, v1, v4, vcc
	ds_write_b64 v0, v[0:1]
	v_add_co_u32_e32 v0, vcc, v2, v15
	v_addc_co_u32_e32 v1, vcc, v3, v16, vcc
	v_add_co_u32_e32 v0, vcc, v0, v14
	v_addc_co_u32_e32 v1, vcc, v1, v4, vcc
	v_cmp_ne_u64_e32 vcc, 0, v[2:3]
	v_cndmask_b32_e32 v1, 0, v1, vcc
	v_cndmask_b32_e32 v0, 0, v0, vcc
	ds_write_b64 v0, v[0:1]
.LBB6_10903:                            ;   in Loop: Header=BB6_10901 Depth=2
	s_or_b64 exec, exec, s[26:27]
	buffer_load_dword v0, off, s[0:3], s33 offset:72 ; 4-byte Folded Reload
	s_waitcnt vmcnt(0)
	v_and_b32_e32 v0, 4, v0
	v_cmp_ne_u32_e32 vcc, 0, v0
	s_and_saveexec_b64 s[90:91], vcc
	s_cbranch_execz .LBB6_10925
; %bb.10904:                            ;   in Loop: Header=BB6_10901 Depth=2
	buffer_load_dword v0, off, s[0:3], s33 offset:84 ; 4-byte Folded Reload
	buffer_load_dword v1, off, s[0:3], s33 offset:88 ; 4-byte Folded Reload
	s_waitcnt vmcnt(0)
	v_add_co_u32_e32 v4, vcc, 2, v0
	v_addc_co_u32_e32 v5, vcc, 0, v1, vcc
	buffer_load_dword v0, off, s[0:3], s33 offset:56 ; 4-byte Folded Reload
	buffer_load_dword v1, off, s[0:3], s33 offset:60 ; 4-byte Folded Reload
	s_waitcnt vmcnt(0)
	v_cmp_lt_u64_e32 vcc, v[0:1], v[4:5]
	s_and_saveexec_b64 s[92:93], vcc
	s_cbranch_execz .LBB6_10916
; %bb.10905:                            ;   in Loop: Header=BB6_10901 Depth=2
	buffer_load_dword v0, off, s[0:3], s33 offset:72 ; 4-byte Folded Reload
	s_mov_b32 s9, 0
	s_mov_b64 s[94:95], 0
                                        ; implicit-def: $sgpr30_sgpr31
                                        ; implicit-def: $sgpr34_sgpr35
                                        ; implicit-def: $sgpr36_sgpr37
	s_waitcnt vmcnt(0)
	v_and_b32_e32 v0, 64, v0
	v_cmp_eq_u32_e32 vcc, 0, v0
	s_branch .LBB6_10909
.LBB6_10906:                            ;   in Loop: Header=BB6_10909 Depth=3
	buffer_load_dword v1, off, s[0:3], s33 offset:56 ; 4-byte Folded Reload
	buffer_load_dword v2, off, s[0:3], s33 offset:60 ; 4-byte Folded Reload
	s_or_b64 s[50:51], s[50:51], exec
	s_waitcnt vmcnt(0)
	v_cmp_ge_u64_e64 s[26:27], v[1:2], v[4:5]
	s_orn2_b64 s[48:49], s[26:27], exec
.LBB6_10907:                            ;   in Loop: Header=BB6_10909 Depth=3
	s_or_b64 exec, exec, s[54:55]
	s_andn2_b64 s[26:27], s[36:37], exec
	s_and_b64 s[36:37], s[50:51], exec
	s_or_b64 s[36:37], s[26:27], s[36:37]
	s_andn2_b64 s[26:27], s[34:35], exec
	s_and_b64 s[34:35], s[48:49], exec
	s_or_b64 s[34:35], s[26:27], s[34:35]
.LBB6_10908:                            ;   in Loop: Header=BB6_10909 Depth=3
	s_or_b64 exec, exec, s[38:39]
	s_and_b64 s[26:27], exec, s[34:35]
	s_or_b64 s[94:95], s[26:27], s[94:95]
	s_andn2_b64 s[26:27], s[30:31], exec
	s_and_b64 s[30:31], s[36:37], exec
	s_or_b64 s[30:31], s[26:27], s[30:31]
	s_andn2_b64 exec, exec, s[94:95]
	s_cbranch_execz .LBB6_10913
.LBB6_10909:                            ;   Parent Loop BB6_47 Depth=1
                                        ;     Parent Loop BB6_10901 Depth=2
                                        ; =>    This Inner Loop Header: Depth=3
	s_sleep 1
	buffer_load_dword v0, off, s[0:3], s33 offset:64 ; 4-byte Folded Reload
	buffer_load_dword v1, off, s[0:3], s33 offset:68 ; 4-byte Folded Reload
	s_or_b64 s[36:37], s[36:37], exec
	s_or_b64 s[34:35], s[34:35], exec
	s_waitcnt vmcnt(0)
	flat_load_dwordx2 v[0:1], v[0:1] glc
	s_waitcnt vmcnt(0) lgkmcnt(0)
	buffer_store_dword v0, off, s[0:3], s33 offset:56 ; 4-byte Folded Spill
	s_nop 0
	buffer_store_dword v1, off, s[0:3], s33 offset:60 ; 4-byte Folded Spill
                                        ; implicit-def: $vgpr0
	s_and_saveexec_b64 s[38:39], vcc
	s_cbranch_execz .LBB6_10908
; %bb.10910:                            ;   in Loop: Header=BB6_10909 Depth=3
	s_cmpk_lt_i32 s9, 0x270f
	s_cselect_b64 s[52:53], -1, 0
	s_cmpk_gt_i32 s9, 0x270e
	s_mov_b64 s[48:49], -1
	s_cbranch_scc0 .LBB6_10912
; %bb.10911:                            ;   in Loop: Header=BB6_10909 Depth=3
	s_trap 2
	ds_read_b64 v[0:1], v0
	s_andn2_b64 s[52:53], s[52:53], exec
	s_mov_b32 s9, 0
	s_mov_b64 s[50:51], 0
	s_waitcnt vmcnt(0) lgkmcnt(0)
	flat_load_dword v0, v[0:1] glc
	s_waitcnt vmcnt(0) lgkmcnt(0)
	buffer_wbinvl1_vol
	v_cmp_eq_u32_e64 s[26:27], 0, v0
	s_and_b64 s[26:27], s[26:27], exec
	s_or_b64 s[52:53], s[52:53], s[26:27]
	s_and_saveexec_b64 s[54:55], s[52:53]
	s_cbranch_execz .LBB6_10907
	s_branch .LBB6_10906
.LBB6_10912:                            ;   in Loop: Header=BB6_10909 Depth=3
	s_add_i32 s9, s9, 1
	s_mov_b64 s[50:51], -1
                                        ; implicit-def: $vgpr0
	s_and_saveexec_b64 s[54:55], s[52:53]
	s_cbranch_execz .LBB6_10907
	s_branch .LBB6_10906
.LBB6_10913:                            ;   in Loop: Header=BB6_10901 Depth=2
	s_or_b64 exec, exec, s[94:95]
	s_xor_b64 s[26:27], s[30:31], -1
	s_and_saveexec_b64 s[94:95], s[26:27]
	s_xor_b64 s[26:27], exec, s[94:95]
	s_cbranch_execz .LBB6_10915
; %bb.10914:                            ;   in Loop: Header=BB6_10901 Depth=2
	ds_write_b32 v0, v0
	s_trap 2
	buffer_load_dword v0, off, s[0:3], s33 offset:72 ; 4-byte Folded Reload
	s_waitcnt vmcnt(0)
	v_or_b32_e32 v0, 64, v0
	buffer_store_dword v0, off, s[0:3], s33 offset:72 ; 4-byte Folded Spill
.LBB6_10915:                            ;   in Loop: Header=BB6_10901 Depth=2
	s_or_b64 exec, exec, s[26:27]
.LBB6_10916:                            ;   in Loop: Header=BB6_10901 Depth=2
	s_or_b64 exec, exec, s[92:93]
	;;#ASMSTART
	s_wakeup
	;;#ASMEND
	buffer_load_dword v0, off, s[0:3], s33 offset:72 ; 4-byte Folded Reload
	s_mov_b64 s[26:27], -1
	s_waitcnt vmcnt(0)
	v_and_b32_e32 v0, 0x100, v0
	v_cmp_ne_u32_e32 vcc, 0, v0
	buffer_load_dword v0, off, s[0:3], s33 offset:84 ; 4-byte Folded Reload
	buffer_load_dword v1, off, s[0:3], s33 offset:88 ; 4-byte Folded Reload
	s_waitcnt vmcnt(0)
	v_and_b32_e32 v8, 7, v0
                                        ; implicit-def: $vgpr0_vgpr1
	s_and_saveexec_b64 s[92:93], vcc
	s_cbranch_execz .LBB6_10920
; %bb.10917:                            ;   in Loop: Header=BB6_10901 Depth=2
	buffer_load_dword v0, off, s[0:3], s33 offset:212 ; 4-byte Folded Reload
	buffer_load_dword v1, off, s[0:3], s33 offset:216 ; 4-byte Folded Reload
	;; [unrolled: 1-line block ×4, first 2 shown]
	s_waitcnt vmcnt(0)
	v_mad_u64_u32 v[2:3], s[26:27], v8, 24, v[0:1]
	flat_load_dword v0, v[2:3]
	s_waitcnt vmcnt(0) lgkmcnt(0)
	v_cmp_ne_u32_e32 vcc, 1, v0
	v_cmp_eq_u32_e64 s[26:27], 1, v0
                                        ; implicit-def: $vgpr0_vgpr1
	s_and_saveexec_b64 s[94:95], s[26:27]
	s_cbranch_execz .LBB6_10919
; %bb.10918:                            ;   in Loop: Header=BB6_10901 Depth=2
	flat_load_dword v0, v[2:3] offset:4 glc
	s_waitcnt vmcnt(0) lgkmcnt(0)
	v_ashrrev_i32_e32 v1, 31, v0
.LBB6_10919:                            ;   in Loop: Header=BB6_10901 Depth=2
	s_or_b64 exec, exec, s[94:95]
	s_orn2_b64 s[26:27], vcc, exec
.LBB6_10920:                            ;   in Loop: Header=BB6_10901 Depth=2
	s_or_b64 exec, exec, s[92:93]
	s_and_saveexec_b64 s[92:93], s[26:27]
	s_cbranch_execz .LBB6_10922
; %bb.10921:                            ;   in Loop: Header=BB6_10901 Depth=2
	buffer_load_dword v0, off, s[0:3], s33 offset:244 ; 4-byte Folded Reload
	s_waitcnt vmcnt(0)
	v_mad_i64_i32 v[0:1], s[26:27], v8, v0, 0
.LBB6_10922:                            ;   in Loop: Header=BB6_10901 Depth=2
	s_or_b64 exec, exec, s[92:93]
	buffer_load_dword v2, off, s[0:3], s33 offset:204 ; 4-byte Folded Reload
	buffer_load_dword v3, off, s[0:3], s33 offset:208 ; 4-byte Folded Reload
	s_waitcnt vmcnt(0)
	v_add_co_u32_e32 v0, vcc, v2, v0
	v_addc_co_u32_e32 v1, vcc, v3, v1, vcc
	ds_write_b64 v0, v[0:1] offset:720
	buffer_load_dword v0, off, s[0:3], s33 offset:72 ; 4-byte Folded Reload
	s_waitcnt vmcnt(0)
	v_and_b32_e32 v0, 0x2000, v0
	v_cmp_ne_u32_e32 vcc, 0, v0
	s_and_saveexec_b64 s[26:27], vcc
	s_cbranch_execz .LBB6_10924
; %bb.10923:                            ;   in Loop: Header=BB6_10901 Depth=2
	ds_read_b64 v[0:1], v0 offset:872
	s_waitcnt lgkmcnt(0)
	v_add_co_u32_e32 v0, vcc, 1, v0
	v_addc_co_u32_e32 v1, vcc, 0, v1, vcc
	ds_write_b64 v0, v[0:1] offset:872
.LBB6_10924:                            ;   in Loop: Header=BB6_10901 Depth=2
	s_or_b64 exec, exec, s[26:27]
	buffer_store_dword v4, off, s[0:3], s33 offset:84 ; 4-byte Folded Spill
	s_nop 0
	buffer_store_dword v5, off, s[0:3], s33 offset:88 ; 4-byte Folded Spill
.LBB6_10925:                            ;   in Loop: Header=BB6_10901 Depth=2
	s_or_b64 exec, exec, s[90:91]
	s_and_saveexec_b64 s[26:27], s[10:11]
	s_cbranch_execz .LBB6_10944
; %bb.10926:                            ;   in Loop: Header=BB6_10901 Depth=2
	s_and_saveexec_b64 s[90:91], s[58:59]
	s_xor_b64 s[90:91], exec, s[90:91]
	s_cbranch_execz .LBB6_10941
; %bb.10927:                            ;   in Loop: Header=BB6_10901 Depth=2
	s_and_saveexec_b64 s[92:93], s[16:17]
	s_cbranch_execz .LBB6_10940
; %bb.10928:                            ;   in Loop: Header=BB6_10901 Depth=2
	s_mov_b64 s[30:31], exec
	v_mbcnt_lo_u32_b32 v0, s30, 0
	v_mbcnt_hi_u32_b32 v0, s31, v0
	v_cmp_eq_u32_e32 vcc, 0, v0
	s_waitcnt vmcnt(0) lgkmcnt(0)
	buffer_wbinvl1_vol
	s_and_saveexec_b64 s[94:95], vcc
	s_cbranch_execz .LBB6_10930
; %bb.10929:                            ;   in Loop: Header=BB6_10901 Depth=2
	s_bcnt1_i32_b64 s9, s[30:31]
	v_mov_b32_e32 v20, s9
	ds_add_u64 v0, v[20:21]
	s_trap 2
.LBB6_10930:                            ;   in Loop: Header=BB6_10901 Depth=2
	s_or_b64 exec, exec, s[94:95]
	s_trap 2
	ds_read_b64 v[0:1], v0
	s_waitcnt lgkmcnt(0)
	buffer_load_dword v2, off, s[0:3], s33 offset:76 ; 4-byte Folded Reload
	buffer_load_dword v3, off, s[0:3], s33 offset:80 ; 4-byte Folded Reload
	s_waitcnt vmcnt(1)
	v_add_co_u32_e32 v2, vcc, v2, v49
	s_waitcnt vmcnt(0)
	v_addc_co_u32_e32 v3, vcc, 0, v3, vcc
	buffer_store_dword v2, off, s[0:3], s33 offset:76 ; 4-byte Folded Spill
	s_nop 0
	buffer_store_dword v3, off, s[0:3], s33 offset:80 ; 4-byte Folded Spill
	v_cmp_lt_u64_e32 vcc, v[0:1], v[2:3]
	s_and_saveexec_b64 s[94:95], vcc
	s_cbranch_execz .LBB6_10939
; %bb.10931:                            ;   in Loop: Header=BB6_10901 Depth=2
	s_mov_b32 s9, 0
	s_mov_b64 s[30:31], 0
                                        ; implicit-def: $sgpr34_sgpr35
                                        ; implicit-def: $sgpr36_sgpr37
	s_branch .LBB6_10933
.LBB6_10932:                            ;   in Loop: Header=BB6_10933 Depth=3
	s_or_b64 exec, exec, s[48:49]
	s_and_b64 vcc, exec, vcc
	s_or_b64 s[30:31], vcc, s[30:31]
	s_andn2_b64 vcc, s[34:35], exec
	s_and_b64 s[34:35], s[36:37], exec
	s_or_b64 s[34:35], vcc, s[34:35]
	s_andn2_b64 exec, exec, s[30:31]
	s_cbranch_execz .LBB6_10937
.LBB6_10933:                            ;   Parent Loop BB6_47 Depth=1
                                        ;     Parent Loop BB6_10901 Depth=2
                                        ; =>    This Inner Loop Header: Depth=3
	s_add_i32 s9, s9, 1
	s_cmpk_lg_i32 s9, 0x2710
	s_cselect_b64 s[38:39], -1, 0
	s_and_b64 vcc, exec, s[38:39]
	s_cbranch_vccz .LBB6_10935
; %bb.10934:                            ;   in Loop: Header=BB6_10933 Depth=3
	s_mov_b64 vcc, -1
	s_or_b64 s[36:37], s[36:37], exec
	s_and_saveexec_b64 s[48:49], s[38:39]
	s_cbranch_execz .LBB6_10932
	s_branch .LBB6_10936
.LBB6_10935:                            ;   in Loop: Header=BB6_10933 Depth=3
	s_trap 2
	ds_read_b64 v[0:1], v0
	s_andn2_b64 s[38:39], s[38:39], exec
	s_mov_b32 s9, 0
	s_waitcnt vmcnt(0) lgkmcnt(0)
	flat_load_dword v0, v[0:1] glc
	s_waitcnt vmcnt(0) lgkmcnt(0)
	buffer_wbinvl1_vol
	v_cmp_eq_u32_e32 vcc, 0, v0
	s_and_b64 vcc, vcc, exec
	s_or_b64 s[38:39], s[38:39], vcc
	s_mov_b64 vcc, -1
	s_or_b64 s[36:37], s[36:37], exec
	s_and_saveexec_b64 s[48:49], s[38:39]
	s_cbranch_execz .LBB6_10932
.LBB6_10936:                            ;   in Loop: Header=BB6_10933 Depth=3
	s_sleep 1
	s_trap 2
	ds_read_b64 v[0:1], v0
	s_waitcnt lgkmcnt(0)
	buffer_load_dword v2, off, s[0:3], s33 offset:76 ; 4-byte Folded Reload
	buffer_load_dword v3, off, s[0:3], s33 offset:80 ; 4-byte Folded Reload
	s_andn2_b64 s[36:37], s[36:37], exec
	s_waitcnt vmcnt(0)
	v_cmp_ge_u64_e32 vcc, v[0:1], v[2:3]
	s_orn2_b64 vcc, vcc, exec
	s_branch .LBB6_10932
.LBB6_10937:                            ;   in Loop: Header=BB6_10901 Depth=2
	s_or_b64 exec, exec, s[30:31]
	s_and_saveexec_b64 vcc, s[34:35]
	s_xor_b64 vcc, exec, vcc
	s_cbranch_execz .LBB6_10939
; %bb.10938:                            ;   in Loop: Header=BB6_10901 Depth=2
	v_mov_b32_e32 v0, 1
	ds_write_b32 v0, v0
	s_trap 2
.LBB6_10939:                            ;   in Loop: Header=BB6_10901 Depth=2
	s_or_b64 exec, exec, s[94:95]
	;;#ASMSTART
	s_wakeup
	;;#ASMEND
.LBB6_10940:                            ;   in Loop: Header=BB6_10901 Depth=2
	s_or_b64 exec, exec, s[92:93]
.LBB6_10941:                            ;   in Loop: Header=BB6_10901 Depth=2
	s_andn2_saveexec_b64 s[90:91], s[90:91]
	s_cbranch_execz .LBB6_10943
; %bb.10942:                            ;   in Loop: Header=BB6_10901 Depth=2
	s_waitcnt vmcnt(0) lgkmcnt(0)
	buffer_wbinvl1_vol
	s_barrier
.LBB6_10943:                            ;   in Loop: Header=BB6_10901 Depth=2
	s_or_b64 exec, exec, s[90:91]
.LBB6_10944:                            ;   in Loop: Header=BB6_10901 Depth=2
	s_or_b64 exec, exec, s[26:27]
	s_trap 2
	buffer_load_dword v1, off, s[0:3], s33 offset:72 ; 4-byte Folded Reload
	ds_read_b32 v0, v0
	s_xor_b64 s[26:27], s[6:7], -1
	s_waitcnt vmcnt(0)
	v_and_b32_e32 v1, 0x4000, v1
	v_cmp_ne_u32_e32 vcc, 0, v1
	s_and_b64 s[90:91], s[26:27], vcc
	s_and_saveexec_b64 s[26:27], s[90:91]
	s_cbranch_execz .LBB6_10963
; %bb.10945:                            ;   in Loop: Header=BB6_10901 Depth=2
	s_and_saveexec_b64 s[90:91], s[58:59]
	s_xor_b64 s[90:91], exec, s[90:91]
	s_cbranch_execz .LBB6_10960
; %bb.10946:                            ;   in Loop: Header=BB6_10901 Depth=2
	s_and_saveexec_b64 s[92:93], s[16:17]
	s_cbranch_execz .LBB6_10959
; %bb.10947:                            ;   in Loop: Header=BB6_10901 Depth=2
	s_mov_b64 s[30:31], exec
	v_mbcnt_lo_u32_b32 v1, s30, 0
	v_mbcnt_hi_u32_b32 v1, s31, v1
	v_cmp_eq_u32_e32 vcc, 0, v1
	s_waitcnt lgkmcnt(0)
	buffer_wbinvl1_vol
	s_and_saveexec_b64 s[94:95], vcc
	s_cbranch_execz .LBB6_10949
; %bb.10948:                            ;   in Loop: Header=BB6_10901 Depth=2
	s_bcnt1_i32_b64 s9, s[30:31]
	v_mov_b32_e32 v20, s9
	ds_add_u64 v0, v[20:21]
	s_trap 2
.LBB6_10949:                            ;   in Loop: Header=BB6_10901 Depth=2
	s_or_b64 exec, exec, s[94:95]
	s_trap 2
	ds_read_b64 v[1:2], v0
	s_waitcnt lgkmcnt(0)
	buffer_load_dword v3, off, s[0:3], s33 offset:76 ; 4-byte Folded Reload
	buffer_load_dword v4, off, s[0:3], s33 offset:80 ; 4-byte Folded Reload
	s_waitcnt vmcnt(1)
	v_add_co_u32_e32 v3, vcc, v3, v49
	s_waitcnt vmcnt(0)
	v_addc_co_u32_e32 v4, vcc, 0, v4, vcc
	buffer_store_dword v3, off, s[0:3], s33 offset:76 ; 4-byte Folded Spill
	s_nop 0
	buffer_store_dword v4, off, s[0:3], s33 offset:80 ; 4-byte Folded Spill
	v_cmp_lt_u64_e32 vcc, v[1:2], v[3:4]
	s_and_saveexec_b64 s[94:95], vcc
	s_cbranch_execz .LBB6_10958
; %bb.10950:                            ;   in Loop: Header=BB6_10901 Depth=2
	s_mov_b32 s9, 0
	s_mov_b64 s[30:31], 0
                                        ; implicit-def: $sgpr34_sgpr35
                                        ; implicit-def: $sgpr36_sgpr37
	s_branch .LBB6_10952
.LBB6_10951:                            ;   in Loop: Header=BB6_10952 Depth=3
	s_or_b64 exec, exec, s[48:49]
	s_and_b64 vcc, exec, vcc
	s_or_b64 s[30:31], vcc, s[30:31]
	s_andn2_b64 vcc, s[34:35], exec
	s_and_b64 s[34:35], s[36:37], exec
	s_or_b64 s[34:35], vcc, s[34:35]
	s_andn2_b64 exec, exec, s[30:31]
	s_cbranch_execz .LBB6_10956
.LBB6_10952:                            ;   Parent Loop BB6_47 Depth=1
                                        ;     Parent Loop BB6_10901 Depth=2
                                        ; =>    This Inner Loop Header: Depth=3
	s_add_i32 s9, s9, 1
	s_cmpk_lg_i32 s9, 0x2710
	s_cselect_b64 s[38:39], -1, 0
	s_and_b64 vcc, exec, s[38:39]
	s_cbranch_vccz .LBB6_10954
; %bb.10953:                            ;   in Loop: Header=BB6_10952 Depth=3
	s_mov_b64 vcc, -1
	s_or_b64 s[36:37], s[36:37], exec
	s_and_saveexec_b64 s[48:49], s[38:39]
	s_cbranch_execz .LBB6_10951
	s_branch .LBB6_10955
.LBB6_10954:                            ;   in Loop: Header=BB6_10952 Depth=3
	s_trap 2
	ds_read_b64 v[1:2], v0
	s_andn2_b64 s[38:39], s[38:39], exec
	s_mov_b32 s9, 0
	s_waitcnt vmcnt(0) lgkmcnt(0)
	flat_load_dword v1, v[1:2] glc
	s_waitcnt vmcnt(0) lgkmcnt(0)
	buffer_wbinvl1_vol
	v_cmp_eq_u32_e32 vcc, 0, v1
	s_and_b64 vcc, vcc, exec
	s_or_b64 s[38:39], s[38:39], vcc
	s_mov_b64 vcc, -1
	s_or_b64 s[36:37], s[36:37], exec
	s_and_saveexec_b64 s[48:49], s[38:39]
	s_cbranch_execz .LBB6_10951
.LBB6_10955:                            ;   in Loop: Header=BB6_10952 Depth=3
	s_sleep 1
	s_trap 2
	ds_read_b64 v[1:2], v0
	s_waitcnt lgkmcnt(0)
	buffer_load_dword v3, off, s[0:3], s33 offset:76 ; 4-byte Folded Reload
	buffer_load_dword v4, off, s[0:3], s33 offset:80 ; 4-byte Folded Reload
	s_andn2_b64 s[36:37], s[36:37], exec
	s_waitcnt vmcnt(0)
	v_cmp_ge_u64_e32 vcc, v[1:2], v[3:4]
	s_orn2_b64 vcc, vcc, exec
	s_branch .LBB6_10951
.LBB6_10956:                            ;   in Loop: Header=BB6_10901 Depth=2
	s_or_b64 exec, exec, s[30:31]
	s_and_saveexec_b64 vcc, s[34:35]
	s_xor_b64 vcc, exec, vcc
	s_cbranch_execz .LBB6_10958
; %bb.10957:                            ;   in Loop: Header=BB6_10901 Depth=2
	v_mov_b32_e32 v1, 1
	ds_write_b32 v0, v1
	s_trap 2
.LBB6_10958:                            ;   in Loop: Header=BB6_10901 Depth=2
	s_or_b64 exec, exec, s[94:95]
	;;#ASMSTART
	s_wakeup
	;;#ASMEND
.LBB6_10959:                            ;   in Loop: Header=BB6_10901 Depth=2
	s_or_b64 exec, exec, s[92:93]
.LBB6_10960:                            ;   in Loop: Header=BB6_10901 Depth=2
	s_andn2_saveexec_b64 s[90:91], s[90:91]
	s_cbranch_execz .LBB6_10962
; %bb.10961:                            ;   in Loop: Header=BB6_10901 Depth=2
	s_waitcnt vmcnt(0) lgkmcnt(0)
	buffer_wbinvl1_vol
	s_barrier
.LBB6_10962:                            ;   in Loop: Header=BB6_10901 Depth=2
	s_or_b64 exec, exec, s[90:91]
.LBB6_10963:                            ;   in Loop: Header=BB6_10901 Depth=2
	s_or_b64 exec, exec, s[26:27]
	s_trap 2
	s_waitcnt lgkmcnt(0)
	ds_read_b64 v[4:5], v0
	v_sub_u32_e32 v1, v6, v14
	v_min_i32_e32 v7, v7, v1
	s_waitcnt lgkmcnt(0)
	v_cmp_eq_u64_e32 vcc, 0, v[4:5]
	s_cbranch_vccnz .LBB6_10971
; %bb.10964:                            ;   in Loop: Header=BB6_10901 Depth=2
	s_trap 2
	ds_read_b64 v[8:9], v0
	s_waitcnt lgkmcnt(0)
	v_cmp_eq_u64_e32 vcc, 0, v[8:9]
	s_cbranch_vccnz .LBB6_10971
; %bb.10965:                            ;   in Loop: Header=BB6_10901 Depth=2
	s_mov_b64 s[26:27], -1
	s_and_saveexec_b64 s[90:91], s[20:21]
	s_cbranch_execz .LBB6_10967
; %bb.10966:                            ;   in Loop: Header=BB6_10901 Depth=2
	ds_read_b32 v1, v0 offset:720
	s_waitcnt lgkmcnt(0)
	v_and_b32_e32 v1, 15, v1
	v_cmp_eq_u32_e32 vcc, 0, v1
	s_orn2_b64 s[26:27], vcc, exec
.LBB6_10967:                            ;   in Loop: Header=BB6_10901 Depth=2
	s_or_b64 exec, exec, s[90:91]
	s_and_saveexec_b64 s[90:91], s[18:19]
	s_cbranch_execz .LBB6_10969
; %bb.10968:                            ;   in Loop: Header=BB6_10901 Depth=2
	ds_read_b32 v1, v0 offset:784
	s_waitcnt lgkmcnt(0)
	v_and_b32_e32 v1, 15, v1
	v_cmp_eq_u32_e32 vcc, 0, v1
	s_and_b64 s[92:93], s[26:27], vcc
	s_andn2_b64 s[26:27], s[26:27], exec
	s_and_b64 s[92:93], s[92:93], exec
	s_or_b64 s[26:27], s[26:27], s[92:93]
.LBB6_10969:                            ;   in Loop: Header=BB6_10901 Depth=2
	s_or_b64 exec, exec, s[90:91]
	buffer_load_dword v3, off, s[0:3], s33 offset:268 ; 4-byte Folded Reload
	buffer_load_dword v13, off, s[0:3], s33 offset:240 ; 4-byte Folded Reload
	v_cmp_eq_u32_e32 vcc, 0, v0
	s_xor_b64 s[26:27], s[26:27], -1
	v_cndmask_b32_e32 v2, 0, v7, vcc
	v_cndmask_b32_e64 v0, 0, 1, s[26:27]
	s_mov_b64 s[92:93], -1
	v_cmp_ne_u32_e32 vcc, 0, v0
	v_mov_b32_e32 v0, 0
	v_mov_b32_e32 v1, v2
	s_cbranch_vccz .LBB6_10976
; %bb.10970:                            ;   in Loop: Header=BB6_10901 Depth=2
	s_and_saveexec_b64 s[26:27], s[92:93]
	s_cbranch_execnz .LBB6_10989
	s_branch .LBB6_10997
.LBB6_10971:                            ;   in Loop: Header=BB6_10901 Depth=2
	s_mov_b64 s[26:27], 0
	s_and_saveexec_b64 s[90:91], s[10:11]
	s_cbranch_execnz .LBB6_10998
.LBB6_10972:                            ;   in Loop: Header=BB6_10901 Depth=2
	s_or_b64 exec, exec, s[90:91]
	s_and_saveexec_b64 s[90:91], s[24:25]
	s_xor_b64 s[90:91], exec, s[90:91]
	s_cbranch_execz .LBB6_11016
.LBB6_10973:                            ;   in Loop: Header=BB6_10901 Depth=2
	buffer_load_dword v0, off, s[0:3], s33 offset:72 ; 4-byte Folded Reload
	s_waitcnt vmcnt(0)
	v_and_b32_e32 v0, 16, v0
	v_cmp_ne_u32_e32 vcc, 0, v0
	s_and_b64 s[92:93], vcc, s[26:27]
	s_and_saveexec_b64 s[26:27], s[92:93]
	s_cbranch_execz .LBB6_10975
; %bb.10974:                            ;   in Loop: Header=BB6_10901 Depth=2
	s_waitcnt lgkmcnt(0)
	buffer_wbinvl1_vol
.LBB6_10975:                            ;   in Loop: Header=BB6_10901 Depth=2
	s_or_b64 exec, exec, s[26:27]
	s_andn2_saveexec_b64 s[26:27], s[90:91]
	s_cbranch_execz .LBB6_11035
	s_branch .LBB6_11017
.LBB6_10976:                            ;   in Loop: Header=BB6_10901 Depth=2
	buffer_load_dword v1, off, s[0:3], s33 offset:240 ; 4-byte Folded Reload
	v_ashrrev_i32_e32 v0, 31, v2
	v_lshrrev_b32_e32 v0, 19, v0
	v_add_u32_e32 v0, v2, v0
	v_ashrrev_i32_e32 v0, 13, v0
	s_waitcnt vmcnt(0)
	v_sub_u32_e32 v17, v0, v1
	v_cmp_lt_i32_e32 vcc, 0, v17
	s_and_saveexec_b64 s[90:91], vcc
	s_cbranch_execz .LBB6_10980
; %bb.10977:                            ;   in Loop: Header=BB6_10901 Depth=2
	buffer_load_dword v3, off, s[0:3], s33 offset:372 ; 4-byte Folded Reload
	buffer_load_dword v20, off, s[0:3], s33 offset:376 ; 4-byte Folded Reload
	;; [unrolled: 1-line block ×3, first 2 shown]
	v_mov_b32_e32 v11, v9
	v_mov_b32_e32 v13, v5
	s_mov_b64 s[92:93], 0
	v_mov_b32_e32 v10, v8
	v_mov_b32_e32 v12, v4
	;; [unrolled: 1-line block ×3, first 2 shown]
.LBB6_10978:                            ;   Parent Loop BB6_47 Depth=1
                                        ;     Parent Loop BB6_10901 Depth=2
                                        ; =>    This Inner Loop Header: Depth=3
	s_waitcnt vmcnt(1)
	v_add_co_u32_e32 v18, vcc, v20, v12
	s_waitcnt vmcnt(0)
	v_addc_co_u32_e32 v19, vcc, v57, v13, vcc
	global_load_dwordx4 v[22:25], v[18:19], off glc slc
	global_load_dwordx4 v[26:29], v[18:19], off offset:1024 glc slc
	global_load_dwordx4 v[30:33], v[18:19], off offset:2048 glc slc
	;; [unrolled: 1-line block ×3, first 2 shown]
	v_add_co_u32_e32 v18, vcc, s70, v18
	v_addc_co_u32_e32 v19, vcc, 0, v19, vcc
	global_load_dwordx4 v[48:51], v[18:19], off glc slc
	global_load_dwordx4 v[52:55], v[18:19], off offset:1024 glc slc
	global_load_dwordx4 v[38:41], v[18:19], off offset:2048 glc slc
	;; [unrolled: 1-line block ×3, first 2 shown]
	v_add_co_u32_e32 v18, vcc, v20, v10
	v_addc_co_u32_e32 v19, vcc, v57, v11, vcc
	v_add_co_u32_e32 v12, vcc, v12, v3
	v_addc_co_u32_e32 v13, vcc, 0, v13, vcc
	v_sub_u32_e32 v17, v17, v1
	v_add_co_u32_e32 v10, vcc, v10, v3
	v_addc_co_u32_e32 v11, vcc, 0, v11, vcc
	v_cmp_gt_i32_e64 s[26:27], 1, v17
	v_add_co_u32_e32 v46, vcc, s70, v18
	s_or_b64 s[92:93], s[26:27], s[92:93]
	v_addc_co_u32_e32 v47, vcc, 0, v19, vcc
	s_waitcnt vmcnt(7)
	global_store_dwordx4 v[18:19], v[22:25], off glc slc
	s_waitcnt vmcnt(7)
	global_store_dwordx4 v[18:19], v[26:29], off offset:1024 glc slc
	s_waitcnt vmcnt(7)
	global_store_dwordx4 v[18:19], v[30:33], off offset:2048 glc slc
	;; [unrolled: 2-line block ×3, first 2 shown]
	s_waitcnt vmcnt(7)
	global_store_dwordx4 v[46:47], v[48:51], off glc slc
	s_waitcnt vmcnt(7)
	global_store_dwordx4 v[46:47], v[52:55], off offset:1024 glc slc
	s_waitcnt vmcnt(7)
	global_store_dwordx4 v[46:47], v[38:41], off offset:2048 glc slc
	;; [unrolled: 2-line block ×3, first 2 shown]
	s_andn2_b64 exec, exec, s[92:93]
	s_cbranch_execnz .LBB6_10978
; %bb.10979:                            ;   in Loop: Header=BB6_10901 Depth=2
	s_or_b64 exec, exec, s[92:93]
	v_mov_b32_e32 v49, v1
.LBB6_10980:                            ;   in Loop: Header=BB6_10901 Depth=2
	s_or_b64 exec, exec, s[90:91]
	v_lshlrev_b32_e32 v10, 13, v0
	v_cmp_ne_u32_e32 vcc, v2, v10
	s_mov_b64 s[92:93], 0
	v_mov_b32_e32 v0, 0
                                        ; implicit-def: $vgpr1
                                        ; implicit-def: $vgpr3
                                        ; implicit-def: $vgpr13
	s_and_saveexec_b64 s[90:91], vcc
	s_cbranch_execz .LBB6_10988
; %bb.10981:                            ;   in Loop: Header=BB6_10901 Depth=2
	buffer_load_dword v1, off, s[0:3], s33 offset:332 ; 4-byte Folded Reload
	v_lshlrev_b32_e32 v0, 6, v17
	v_sub_u32_e32 v3, v2, v10
	v_ashrrev_i32_e32 v12, 31, v3
	v_lshrrev_b32_e32 v12, 22, v12
	v_add_u32_e32 v12, v3, v12
	v_ashrrev_i32_e32 v17, 10, v12
	v_and_b32_e32 v12, 0xfffffc00, v12
	v_sub_u32_e32 v18, v3, v12
	v_cmp_lt_i32_e32 vcc, 15, v18
	s_waitcnt vmcnt(0)
	v_sub_u32_e32 v0, v1, v0
	v_ashrrev_i32_e32 v1, 31, v0
	v_lshrrev_b32_e32 v1, 26, v1
	v_add_u32_e32 v1, v0, v1
	v_ashrrev_i32_e32 v13, 6, v1
	v_and_b32_e32 v1, 0xffffffc0, v1
	v_sub_u32_e32 v11, v0, v1
	v_lshlrev_b32_e32 v0, 4, v11
	v_lshl_add_u32 v1, v13, 10, v0
	v_sub_u32_e32 v0, v3, v1
	v_addc_co_u32_e64 v3, s[26:27], 0, v17, vcc
	v_sub_u32_e32 v17, v3, v13
	v_cmp_lt_i32_e64 s[26:27], 15, v0
	s_and_saveexec_b64 s[92:93], s[26:27]
	s_cbranch_execz .LBB6_10985
; %bb.10982:                            ;   in Loop: Header=BB6_10901 Depth=2
	buffer_load_dword v13, off, s[0:3], s33 offset:236 ; 4-byte Folded Reload
	v_add_u32_e32 v1, v1, v10
	v_ashrrev_i32_e32 v3, 31, v1
	s_mov_b64 s[94:95], 0
.LBB6_10983:                            ;   Parent Loop BB6_47 Depth=1
                                        ;     Parent Loop BB6_10901 Depth=2
                                        ; =>    This Inner Loop Header: Depth=3
	v_add_co_u32_e64 v19, s[26:27], v4, v1
	v_addc_co_u32_e64 v20, s[26:27], v5, v3, s[26:27]
	global_load_dwordx4 v[22:25], v[19:20], off glc slc
	v_add_co_u32_e64 v19, s[26:27], v8, v1
	v_addc_co_u32_e64 v20, s[26:27], v9, v3, s[26:27]
	s_waitcnt vmcnt(1)
	v_add_co_u32_e64 v1, s[26:27], v1, v13
	v_sub_u32_e32 v0, v0, v13
	v_addc_co_u32_e64 v3, s[26:27], 0, v3, s[26:27]
	v_cmp_gt_i32_e64 s[26:27], 16, v0
	v_sub_u32_e32 v17, v17, v49
	s_or_b64 s[94:95], s[26:27], s[94:95]
	s_waitcnt vmcnt(0)
	global_store_dwordx4 v[19:20], v[22:25], off glc slc
	s_andn2_b64 exec, exec, s[94:95]
	s_cbranch_execnz .LBB6_10983
; %bb.10984:                            ;   in Loop: Header=BB6_10901 Depth=2
	s_or_b64 exec, exec, s[94:95]
.LBB6_10985:                            ;   in Loop: Header=BB6_10901 Depth=2
	s_or_b64 exec, exec, s[92:93]
	v_and_b32_e32 v19, 15, v2
	v_cndmask_b32_e32 v1, v18, v19, vcc
	v_mov_b32_e32 v0, 0
	v_cmp_ne_u32_e64 s[26:27], 0, v1
	s_mov_b64 s[94:95], 0
                                        ; implicit-def: $vgpr3
                                        ; implicit-def: $vgpr13
	s_and_saveexec_b64 s[92:93], s[26:27]
	s_cbranch_execz .LBB6_10987
; %bb.10986:                            ;   in Loop: Header=BB6_10901 Depth=2
	v_sub_u32_e32 v0, v18, v19
	v_cndmask_b32_e32 v0, 0, v0, vcc
	v_cmp_lt_i32_e32 vcc, 0, v17
	v_cndmask_b32_e32 v3, 0, v49, vcc
	v_sub_u32_e32 v3, v3, v17
	v_lshl_add_u32 v3, v3, 6, v11
	v_add3_u32 v0, v12, v10, v0
	v_ashrrev_i32_e32 v10, 31, v3
	v_lshrrev_b32_e32 v10, 26, v10
	v_add_u32_e32 v10, v3, v10
	v_ashrrev_i32_e32 v13, 6, v10
	s_mov_b64 s[94:95], exec
.LBB6_10987:                            ;   in Loop: Header=BB6_10901 Depth=2
	s_or_b64 exec, exec, s[92:93]
	s_and_b64 s[92:93], s[94:95], exec
.LBB6_10988:                            ;   in Loop: Header=BB6_10901 Depth=2
	s_or_b64 exec, exec, s[90:91]
	s_and_saveexec_b64 s[26:27], s[92:93]
	s_cbranch_execz .LBB6_10997
.LBB6_10989:                            ;   in Loop: Header=BB6_10901 Depth=2
	v_ashrrev_i32_e32 v10, 31, v1
	v_lshrrev_b32_e32 v10, 21, v10
	v_add_u32_e32 v10, v1, v10
	v_ashrrev_i32_e32 v12, 11, v10
	s_waitcnt vmcnt(0)
	v_sub_u32_e32 v10, v12, v13
	v_ashrrev_i32_e32 v11, 31, v3
	v_cmp_lt_i32_e32 vcc, 0, v10
	v_lshrrev_b32_e32 v11, 26, v11
	s_and_saveexec_b64 s[90:91], vcc
	s_cbranch_execz .LBB6_10993
; %bb.10990:                            ;   in Loop: Header=BB6_10901 Depth=2
	buffer_load_dword v46, off, s[0:3], s33 offset:192 ; 4-byte Folded Reload
	v_add_u32_e32 v17, v3, v11
	v_and_b32_e32 v17, 0xffffffc0, v17
	v_sub_u32_e32 v17, v3, v17
	v_lshlrev_b32_e32 v13, 11, v13
	v_add3_u32 v13, v0, v17, v13
	v_ashrrev_i32_e32 v17, 31, v13
	s_mov_b64 s[92:93], 0
	v_mov_b32_e32 v45, v49
.LBB6_10991:                            ;   Parent Loop BB6_47 Depth=1
                                        ;     Parent Loop BB6_10901 Depth=2
                                        ; =>    This Inner Loop Header: Depth=3
	v_add_co_u32_e32 v18, vcc, v13, v4
	v_addc_co_u32_e32 v19, vcc, v17, v5, vcc
	flat_load_ubyte v20, v[18:19] glc slc
	flat_load_ubyte v22, v[18:19] offset:64 glc slc
	flat_load_ubyte v23, v[18:19] offset:128 glc slc
	;; [unrolled: 1-line block ×31, first 2 shown]
	v_add_co_u32_e32 v18, vcc, v13, v8
	v_addc_co_u32_e32 v19, vcc, v17, v9, vcc
	s_waitcnt vmcnt(0)
	v_add_co_u32_e32 v4, vcc, v4, v46
	v_addc_co_u32_e32 v5, vcc, 0, v5, vcc
	v_add_co_u32_e32 v8, vcc, v8, v46
	v_sub_u32_e32 v10, v10, v45
	v_addc_co_u32_e32 v9, vcc, 0, v9, vcc
	v_cmp_gt_i32_e32 vcc, 1, v10
	s_or_b64 s[92:93], vcc, s[92:93]
	s_waitcnt lgkmcnt(0)
	flat_store_byte v[18:19], v20 glc slc
	flat_store_byte v[18:19], v22 offset:64 glc slc
	flat_store_byte v[18:19], v23 offset:128 glc slc
	;; [unrolled: 1-line block ×31, first 2 shown]
	s_andn2_b64 exec, exec, s[92:93]
	s_cbranch_execnz .LBB6_10991
; %bb.10992:                            ;   in Loop: Header=BB6_10901 Depth=2
	s_or_b64 exec, exec, s[92:93]
	v_mov_b32_e32 v49, v45
.LBB6_10993:                            ;   in Loop: Header=BB6_10901 Depth=2
	s_or_b64 exec, exec, s[90:91]
	v_lshlrev_b32_e32 v4, 11, v12
	buffer_load_dword v12, off, s[0:3], s33 offset:196 ; 4-byte Folded Reload
	v_cmp_ne_u32_e32 vcc, v1, v4
	s_and_b64 s[90:91], exec, vcc
	s_mov_b64 exec, s[90:91]
	s_cbranch_execz .LBB6_10997
; %bb.10994:                            ;   in Loop: Header=BB6_10901 Depth=2
	v_add_u32_e32 v5, v3, v11
	v_and_b32_e32 v5, 0xffffffc0, v5
	v_sub_u32_e32 v3, v3, v5
	v_lshlrev_b32_e32 v5, 6, v10
	v_sub_u32_e32 v3, v3, v5
	v_add_u32_e32 v4, v4, v3
	v_sub_u32_e32 v3, v1, v4
	v_cmp_lt_i32_e32 vcc, 0, v3
	s_and_b64 exec, exec, vcc
	s_cbranch_execz .LBB6_10997
; %bb.10995:                            ;   in Loop: Header=BB6_10901 Depth=2
	v_add_u32_e32 v4, v4, v0
	s_trap 2
	ds_read_b64 v[0:1], v0
	v_ashrrev_i32_e32 v5, 31, v4
	s_mov_b64 s[90:91], 0
.LBB6_10996:                            ;   Parent Loop BB6_47 Depth=1
                                        ;     Parent Loop BB6_10901 Depth=2
                                        ; =>    This Inner Loop Header: Depth=3
	s_waitcnt lgkmcnt(0)
	v_add_co_u32_e32 v8, vcc, v0, v4
	v_addc_co_u32_e32 v9, vcc, v1, v5, vcc
	flat_load_ubyte v10, v[8:9] glc slc
	s_waitcnt vmcnt(0)
	v_add_co_u32_e32 v4, vcc, v4, v12
	v_sub_u32_e32 v3, v3, v12
	v_addc_co_u32_e32 v5, vcc, 0, v5, vcc
	v_cmp_gt_i32_e32 vcc, 1, v3
	s_or_b64 s[90:91], vcc, s[90:91]
	s_waitcnt lgkmcnt(0)
	flat_store_byte v[8:9], v10 glc slc
	s_andn2_b64 exec, exec, s[90:91]
	s_cbranch_execnz .LBB6_10996
.LBB6_10997:                            ;   in Loop: Header=BB6_10901 Depth=2
	s_or_b64 exec, exec, s[26:27]
	v_cmp_lt_i32_e64 s[26:27], 0, v2
	s_and_saveexec_b64 s[90:91], s[10:11]
	s_cbranch_execz .LBB6_10972
.LBB6_10998:                            ;   in Loop: Header=BB6_10901 Depth=2
	s_and_saveexec_b64 s[92:93], s[58:59]
	s_xor_b64 s[92:93], exec, s[92:93]
	s_cbranch_execz .LBB6_11013
; %bb.10999:                            ;   in Loop: Header=BB6_10901 Depth=2
	s_and_saveexec_b64 s[94:95], s[16:17]
	s_cbranch_execz .LBB6_11012
; %bb.11000:                            ;   in Loop: Header=BB6_10901 Depth=2
	s_mov_b64 s[34:35], exec
	v_mbcnt_lo_u32_b32 v0, s34, 0
	v_mbcnt_hi_u32_b32 v0, s35, v0
	v_cmp_eq_u32_e32 vcc, 0, v0
	s_waitcnt vmcnt(0) lgkmcnt(0)
	buffer_wbinvl1_vol
	s_and_saveexec_b64 s[30:31], vcc
	s_cbranch_execz .LBB6_11002
; %bb.11001:                            ;   in Loop: Header=BB6_10901 Depth=2
	s_bcnt1_i32_b64 s9, s[34:35]
	v_mov_b32_e32 v20, s9
	ds_add_u64 v0, v[20:21]
	s_trap 2
.LBB6_11002:                            ;   in Loop: Header=BB6_10901 Depth=2
	s_or_b64 exec, exec, s[30:31]
	s_trap 2
	ds_read_b64 v[0:1], v0
	s_waitcnt lgkmcnt(0)
	buffer_load_dword v2, off, s[0:3], s33 offset:76 ; 4-byte Folded Reload
	buffer_load_dword v3, off, s[0:3], s33 offset:80 ; 4-byte Folded Reload
	s_waitcnt vmcnt(1)
	v_add_co_u32_e32 v2, vcc, v2, v49
	s_waitcnt vmcnt(0)
	v_addc_co_u32_e32 v3, vcc, 0, v3, vcc
	buffer_store_dword v2, off, s[0:3], s33 offset:76 ; 4-byte Folded Spill
	s_nop 0
	buffer_store_dword v3, off, s[0:3], s33 offset:80 ; 4-byte Folded Spill
	v_cmp_lt_u64_e32 vcc, v[0:1], v[2:3]
	s_and_saveexec_b64 s[30:31], vcc
	s_cbranch_execz .LBB6_11011
; %bb.11003:                            ;   in Loop: Header=BB6_10901 Depth=2
	s_mov_b32 s9, 0
	s_mov_b64 s[34:35], 0
                                        ; implicit-def: $sgpr36_sgpr37
                                        ; implicit-def: $sgpr38_sgpr39
	s_branch .LBB6_11005
.LBB6_11004:                            ;   in Loop: Header=BB6_11005 Depth=3
	s_or_b64 exec, exec, s[50:51]
	s_and_b64 vcc, exec, vcc
	s_or_b64 s[34:35], vcc, s[34:35]
	s_andn2_b64 vcc, s[36:37], exec
	s_and_b64 s[36:37], s[38:39], exec
	s_or_b64 s[36:37], vcc, s[36:37]
	s_andn2_b64 exec, exec, s[34:35]
	s_cbranch_execz .LBB6_11009
.LBB6_11005:                            ;   Parent Loop BB6_47 Depth=1
                                        ;     Parent Loop BB6_10901 Depth=2
                                        ; =>    This Inner Loop Header: Depth=3
	s_add_i32 s9, s9, 1
	s_cmpk_lg_i32 s9, 0x2710
	s_cselect_b64 s[48:49], -1, 0
	s_and_b64 vcc, exec, s[48:49]
	s_cbranch_vccz .LBB6_11007
; %bb.11006:                            ;   in Loop: Header=BB6_11005 Depth=3
	s_mov_b64 vcc, -1
	s_or_b64 s[38:39], s[38:39], exec
	s_and_saveexec_b64 s[50:51], s[48:49]
	s_cbranch_execz .LBB6_11004
	s_branch .LBB6_11008
.LBB6_11007:                            ;   in Loop: Header=BB6_11005 Depth=3
	s_trap 2
	ds_read_b64 v[0:1], v0
	s_andn2_b64 s[48:49], s[48:49], exec
	s_mov_b32 s9, 0
	s_waitcnt vmcnt(0) lgkmcnt(0)
	flat_load_dword v0, v[0:1] glc
	s_waitcnt vmcnt(0) lgkmcnt(0)
	buffer_wbinvl1_vol
	v_cmp_eq_u32_e32 vcc, 0, v0
	s_and_b64 vcc, vcc, exec
	s_or_b64 s[48:49], s[48:49], vcc
	s_mov_b64 vcc, -1
	s_or_b64 s[38:39], s[38:39], exec
	s_and_saveexec_b64 s[50:51], s[48:49]
	s_cbranch_execz .LBB6_11004
.LBB6_11008:                            ;   in Loop: Header=BB6_11005 Depth=3
	s_sleep 1
	s_trap 2
	ds_read_b64 v[0:1], v0
	s_waitcnt lgkmcnt(0)
	buffer_load_dword v2, off, s[0:3], s33 offset:76 ; 4-byte Folded Reload
	buffer_load_dword v3, off, s[0:3], s33 offset:80 ; 4-byte Folded Reload
	s_andn2_b64 s[38:39], s[38:39], exec
	s_waitcnt vmcnt(0)
	v_cmp_ge_u64_e32 vcc, v[0:1], v[2:3]
	s_orn2_b64 vcc, vcc, exec
	s_branch .LBB6_11004
.LBB6_11009:                            ;   in Loop: Header=BB6_10901 Depth=2
	s_or_b64 exec, exec, s[34:35]
	s_and_saveexec_b64 vcc, s[36:37]
	s_xor_b64 vcc, exec, vcc
	s_cbranch_execz .LBB6_11011
; %bb.11010:                            ;   in Loop: Header=BB6_10901 Depth=2
	v_mov_b32_e32 v0, 1
	ds_write_b32 v0, v0
	s_trap 2
.LBB6_11011:                            ;   in Loop: Header=BB6_10901 Depth=2
	s_or_b64 exec, exec, s[30:31]
	;;#ASMSTART
	s_wakeup
	;;#ASMEND
.LBB6_11012:                            ;   in Loop: Header=BB6_10901 Depth=2
	s_or_b64 exec, exec, s[94:95]
.LBB6_11013:                            ;   in Loop: Header=BB6_10901 Depth=2
	s_andn2_saveexec_b64 s[92:93], s[92:93]
	s_cbranch_execz .LBB6_11015
; %bb.11014:                            ;   in Loop: Header=BB6_10901 Depth=2
	s_waitcnt vmcnt(0) lgkmcnt(0)
	buffer_wbinvl1_vol
	s_barrier
.LBB6_11015:                            ;   in Loop: Header=BB6_10901 Depth=2
	s_or_b64 exec, exec, s[92:93]
	s_or_b64 exec, exec, s[90:91]
	s_and_saveexec_b64 s[90:91], s[24:25]
	s_xor_b64 s[90:91], exec, s[90:91]
	s_cbranch_execnz .LBB6_10973
.LBB6_11016:                            ;   in Loop: Header=BB6_10901 Depth=2
	s_andn2_saveexec_b64 s[26:27], s[90:91]
	s_cbranch_execz .LBB6_11035
.LBB6_11017:                            ;   in Loop: Header=BB6_10901 Depth=2
	s_and_saveexec_b64 s[90:91], s[58:59]
	s_xor_b64 s[90:91], exec, s[90:91]
	s_cbranch_execz .LBB6_11032
; %bb.11018:                            ;   in Loop: Header=BB6_10901 Depth=2
	s_and_saveexec_b64 s[92:93], s[16:17]
	s_cbranch_execz .LBB6_11031
; %bb.11019:                            ;   in Loop: Header=BB6_10901 Depth=2
	s_mov_b64 s[30:31], exec
	v_mbcnt_lo_u32_b32 v0, s30, 0
	v_mbcnt_hi_u32_b32 v0, s31, v0
	v_cmp_eq_u32_e32 vcc, 0, v0
	;;#ASMSTART
	s_waitcnt lgkmcnt(0) vmcnt(0)
	;;#ASMEND
	s_and_saveexec_b64 s[94:95], vcc
	s_cbranch_execz .LBB6_11021
; %bb.11020:                            ;   in Loop: Header=BB6_10901 Depth=2
	s_bcnt1_i32_b64 s9, s[30:31]
	v_mov_b32_e32 v20, s9
	s_waitcnt lgkmcnt(0)
	ds_add_u64 v0, v[20:21]
	s_trap 2
.LBB6_11021:                            ;   in Loop: Header=BB6_10901 Depth=2
	s_or_b64 exec, exec, s[94:95]
	s_trap 2
	ds_read_b64 v[0:1], v0
	s_waitcnt lgkmcnt(0)
	buffer_load_dword v2, off, s[0:3], s33 offset:76 ; 4-byte Folded Reload
	buffer_load_dword v3, off, s[0:3], s33 offset:80 ; 4-byte Folded Reload
	s_waitcnt vmcnt(0)
	v_add_co_u32_e32 v2, vcc, v2, v49
	v_addc_co_u32_e32 v3, vcc, 0, v3, vcc
	buffer_store_dword v2, off, s[0:3], s33 offset:76 ; 4-byte Folded Spill
	s_nop 0
	buffer_store_dword v3, off, s[0:3], s33 offset:80 ; 4-byte Folded Spill
	v_cmp_lt_u64_e32 vcc, v[0:1], v[2:3]
	s_and_saveexec_b64 s[94:95], vcc
	s_cbranch_execz .LBB6_11030
; %bb.11022:                            ;   in Loop: Header=BB6_10901 Depth=2
	s_mov_b32 s9, 0
	s_mov_b64 s[30:31], 0
                                        ; implicit-def: $sgpr34_sgpr35
                                        ; implicit-def: $sgpr36_sgpr37
	s_branch .LBB6_11024
.LBB6_11023:                            ;   in Loop: Header=BB6_11024 Depth=3
	s_or_b64 exec, exec, s[48:49]
	s_and_b64 vcc, exec, vcc
	s_or_b64 s[30:31], vcc, s[30:31]
	s_andn2_b64 vcc, s[34:35], exec
	s_and_b64 s[34:35], s[36:37], exec
	s_or_b64 s[34:35], vcc, s[34:35]
	s_andn2_b64 exec, exec, s[30:31]
	s_cbranch_execz .LBB6_11028
.LBB6_11024:                            ;   Parent Loop BB6_47 Depth=1
                                        ;     Parent Loop BB6_10901 Depth=2
                                        ; =>    This Inner Loop Header: Depth=3
	s_add_i32 s9, s9, 1
	s_cmpk_lg_i32 s9, 0x2710
	s_cselect_b64 s[38:39], -1, 0
	s_and_b64 vcc, exec, s[38:39]
	s_cbranch_vccz .LBB6_11026
; %bb.11025:                            ;   in Loop: Header=BB6_11024 Depth=3
	s_mov_b64 vcc, -1
	s_or_b64 s[36:37], s[36:37], exec
	s_and_saveexec_b64 s[48:49], s[38:39]
	s_cbranch_execz .LBB6_11023
	s_branch .LBB6_11027
.LBB6_11026:                            ;   in Loop: Header=BB6_11024 Depth=3
	s_trap 2
	ds_read_b64 v[0:1], v0
	s_andn2_b64 s[38:39], s[38:39], exec
	s_mov_b32 s9, 0
	s_waitcnt vmcnt(0) lgkmcnt(0)
	flat_load_dword v0, v[0:1] glc
	s_waitcnt vmcnt(0) lgkmcnt(0)
	buffer_wbinvl1_vol
	v_cmp_eq_u32_e32 vcc, 0, v0
	s_and_b64 vcc, vcc, exec
	s_or_b64 s[38:39], s[38:39], vcc
	s_mov_b64 vcc, -1
	s_or_b64 s[36:37], s[36:37], exec
	s_and_saveexec_b64 s[48:49], s[38:39]
	s_cbranch_execz .LBB6_11023
.LBB6_11027:                            ;   in Loop: Header=BB6_11024 Depth=3
	s_sleep 1
	s_trap 2
	ds_read_b64 v[0:1], v0
	s_waitcnt lgkmcnt(0)
	buffer_load_dword v2, off, s[0:3], s33 offset:76 ; 4-byte Folded Reload
	buffer_load_dword v3, off, s[0:3], s33 offset:80 ; 4-byte Folded Reload
	s_andn2_b64 s[36:37], s[36:37], exec
	s_waitcnt vmcnt(0)
	v_cmp_ge_u64_e32 vcc, v[0:1], v[2:3]
	s_orn2_b64 vcc, vcc, exec
	s_branch .LBB6_11023
.LBB6_11028:                            ;   in Loop: Header=BB6_10901 Depth=2
	s_or_b64 exec, exec, s[30:31]
	s_and_saveexec_b64 vcc, s[34:35]
	s_xor_b64 vcc, exec, vcc
	s_cbranch_execz .LBB6_11030
; %bb.11029:                            ;   in Loop: Header=BB6_10901 Depth=2
	v_mov_b32_e32 v0, 1
	ds_write_b32 v0, v0
	s_trap 2
.LBB6_11030:                            ;   in Loop: Header=BB6_10901 Depth=2
	s_or_b64 exec, exec, s[94:95]
	;;#ASMSTART
	s_wakeup
	;;#ASMEND
.LBB6_11031:                            ;   in Loop: Header=BB6_10901 Depth=2
	s_or_b64 exec, exec, s[92:93]
.LBB6_11032:                            ;   in Loop: Header=BB6_10901 Depth=2
	s_andn2_saveexec_b64 s[90:91], s[90:91]
	s_cbranch_execz .LBB6_11034
; %bb.11033:                            ;   in Loop: Header=BB6_10901 Depth=2
	;;#ASMSTART
	s_waitcnt lgkmcnt(0) vmcnt(0)
	;;#ASMEND
	s_waitcnt vmcnt(0) lgkmcnt(0)
	s_barrier
.LBB6_11034:                            ;   in Loop: Header=BB6_10901 Depth=2
	s_or_b64 exec, exec, s[90:91]
.LBB6_11035:                            ;   in Loop: Header=BB6_10901 Depth=2
	s_or_b64 exec, exec, s[26:27]
	buffer_load_dword v0, off, s[0:3], s33 offset:72 ; 4-byte Folded Reload
	s_waitcnt vmcnt(0)
	v_and_b32_e32 v0, 32, v0
	v_cmp_ne_u32_e32 vcc, 0, v0
	s_and_saveexec_b64 s[26:27], vcc
	s_cbranch_execz .LBB6_10900
; %bb.11036:                            ;   in Loop: Header=BB6_10901 Depth=2
	buffer_load_dword v2, off, s[0:3], s33 offset:84 ; 4-byte Folded Reload
	buffer_load_dword v3, off, s[0:3], s33 offset:88 ; 4-byte Folded Reload
	;; [unrolled: 1-line block ×4, first 2 shown]
	s_waitcnt vmcnt(0)
	v_add_co_u32_e32 v2, vcc, 2, v2
	v_addc_co_u32_e32 v3, vcc, 0, v3, vcc
	buffer_store_dword v2, off, s[0:3], s33 offset:84 ; 4-byte Folded Spill
	s_nop 0
	buffer_store_dword v3, off, s[0:3], s33 offset:88 ; 4-byte Folded Spill
	flat_store_dwordx2 v[0:1], v[2:3]
	s_branch .LBB6_10900
.LBB6_11037:                            ;   in Loop: Header=BB6_47 Depth=1
	s_or_b64 exec, exec, s[40:41]
.LBB6_11038:                            ;   in Loop: Header=BB6_47 Depth=1
	s_or_b64 exec, exec, s[28:29]
	v_cmp_gt_i32_e32 vcc, 2, v2
	s_and_saveexec_b64 s[28:29], vcc
	s_cbranch_execnz .LBB6_11039
; %bb.11173:                            ;   in Loop: Header=BB6_47 Depth=1
	s_getpc_b64 s[98:99]
.Lpost_getpc24:
	s_add_u32 s98, s98, (.LBB6_46-.Lpost_getpc24)&4294967295
	s_addc_u32 s99, s99, (.LBB6_46-.Lpost_getpc24)>>32
	s_setpc_b64 s[98:99]
.LBB6_11039:                            ;   in Loop: Header=BB6_47 Depth=1
	v_cmp_eq_u32_e64 s[42:43], 0, v2
	s_mov_b64 s[40:41], 0
	s_branch .LBB6_11041
.LBB6_11040:                            ;   in Loop: Header=BB6_11041 Depth=2
	s_or_b64 exec, exec, s[26:27]
	v_add_u32_e32 v14, v7, v14
	s_mov_b64 s[42:43], 0
	s_andn2_b64 exec, exec, s[40:41]
	s_cbranch_execnz .LBB6_11041
; %bb.11175:                            ;   in Loop: Header=BB6_47 Depth=1
	s_getpc_b64 s[98:99]
.Lpost_getpc25:
	s_add_u32 s98, s98, (.LBB6_45-.Lpost_getpc25)&4294967295
	s_addc_u32 s99, s99, (.LBB6_45-.Lpost_getpc25)>>32
	s_setpc_b64 s[98:99]
.LBB6_11041:                            ;   Parent Loop BB6_47 Depth=1
                                        ; =>  This Loop Header: Depth=2
                                        ;       Child Loop BB6_11047 Depth 3
                                        ;       Child Loop BB6_11071 Depth 3
	;; [unrolled: 1-line block ×3, first 2 shown]
	buffer_load_dword v0, off, s[0:3], s33 offset:72 ; 4-byte Folded Reload
	s_waitcnt vmcnt(0)
	v_and_b32_e32 v0, 4, v0
	v_cmp_ne_u32_e32 vcc, 0, v0
	s_and_saveexec_b64 s[90:91], vcc
	s_cbranch_execz .LBB6_11063
; %bb.11042:                            ;   in Loop: Header=BB6_11041 Depth=2
	buffer_load_dword v0, off, s[0:3], s33 offset:84 ; 4-byte Folded Reload
	buffer_load_dword v1, off, s[0:3], s33 offset:88 ; 4-byte Folded Reload
	s_waitcnt vmcnt(0)
	v_add_co_u32_e32 v4, vcc, 2, v0
	v_addc_co_u32_e32 v5, vcc, 0, v1, vcc
	buffer_load_dword v0, off, s[0:3], s33 offset:56 ; 4-byte Folded Reload
	buffer_load_dword v1, off, s[0:3], s33 offset:60 ; 4-byte Folded Reload
	s_waitcnt vmcnt(0)
	v_cmp_lt_u64_e32 vcc, v[0:1], v[4:5]
	s_and_saveexec_b64 s[92:93], vcc
	s_cbranch_execz .LBB6_11054
; %bb.11043:                            ;   in Loop: Header=BB6_11041 Depth=2
	buffer_load_dword v0, off, s[0:3], s33 offset:72 ; 4-byte Folded Reload
	s_mov_b32 s9, 0
	s_mov_b64 s[94:95], 0
                                        ; implicit-def: $sgpr30_sgpr31
                                        ; implicit-def: $sgpr34_sgpr35
                                        ; implicit-def: $sgpr36_sgpr37
	s_waitcnt vmcnt(0)
	v_and_b32_e32 v0, 64, v0
	v_cmp_eq_u32_e32 vcc, 0, v0
	s_branch .LBB6_11047
.LBB6_11044:                            ;   in Loop: Header=BB6_11047 Depth=3
	buffer_load_dword v1, off, s[0:3], s33 offset:56 ; 4-byte Folded Reload
	buffer_load_dword v2, off, s[0:3], s33 offset:60 ; 4-byte Folded Reload
	s_or_b64 s[50:51], s[50:51], exec
	s_waitcnt vmcnt(0)
	v_cmp_ge_u64_e64 s[26:27], v[1:2], v[4:5]
	s_orn2_b64 s[48:49], s[26:27], exec
.LBB6_11045:                            ;   in Loop: Header=BB6_11047 Depth=3
	s_or_b64 exec, exec, s[54:55]
	s_andn2_b64 s[26:27], s[36:37], exec
	s_and_b64 s[44:45], s[50:51], exec
	s_or_b64 s[36:37], s[26:27], s[44:45]
	s_andn2_b64 s[26:27], s[34:35], exec
	s_and_b64 s[44:45], s[48:49], exec
	s_or_b64 s[34:35], s[26:27], s[44:45]
.LBB6_11046:                            ;   in Loop: Header=BB6_11047 Depth=3
	s_or_b64 exec, exec, s[38:39]
	s_and_b64 s[26:27], exec, s[34:35]
	s_or_b64 s[94:95], s[26:27], s[94:95]
	s_andn2_b64 s[26:27], s[30:31], exec
	s_and_b64 s[44:45], s[36:37], exec
	s_or_b64 s[30:31], s[26:27], s[44:45]
	s_andn2_b64 exec, exec, s[94:95]
	s_cbranch_execz .LBB6_11051
.LBB6_11047:                            ;   Parent Loop BB6_47 Depth=1
                                        ;     Parent Loop BB6_11041 Depth=2
                                        ; =>    This Inner Loop Header: Depth=3
	s_sleep 1
	buffer_load_dword v0, off, s[0:3], s33 offset:64 ; 4-byte Folded Reload
	buffer_load_dword v1, off, s[0:3], s33 offset:68 ; 4-byte Folded Reload
	s_or_b64 s[36:37], s[36:37], exec
	s_or_b64 s[34:35], s[34:35], exec
	s_waitcnt vmcnt(0)
	flat_load_dwordx2 v[0:1], v[0:1] glc
	s_waitcnt vmcnt(0) lgkmcnt(0)
	buffer_store_dword v0, off, s[0:3], s33 offset:56 ; 4-byte Folded Spill
	s_nop 0
	buffer_store_dword v1, off, s[0:3], s33 offset:60 ; 4-byte Folded Spill
                                        ; implicit-def: $vgpr0
	s_and_saveexec_b64 s[38:39], vcc
	s_cbranch_execz .LBB6_11046
; %bb.11048:                            ;   in Loop: Header=BB6_11047 Depth=3
	s_cmpk_lt_i32 s9, 0x270f
	s_cselect_b64 s[52:53], -1, 0
	s_cmpk_gt_i32 s9, 0x270e
	s_mov_b64 s[48:49], -1
	s_cbranch_scc0 .LBB6_11050
; %bb.11049:                            ;   in Loop: Header=BB6_11047 Depth=3
	s_trap 2
	ds_read_b64 v[0:1], v0
	s_andn2_b64 s[44:45], s[52:53], exec
	s_mov_b32 s9, 0
	s_mov_b64 s[50:51], 0
	s_waitcnt vmcnt(0) lgkmcnt(0)
	flat_load_dword v0, v[0:1] glc
	s_waitcnt vmcnt(0) lgkmcnt(0)
	buffer_wbinvl1_vol
	v_cmp_eq_u32_e64 s[26:27], 0, v0
	s_and_b64 s[26:27], s[26:27], exec
	s_or_b64 s[52:53], s[44:45], s[26:27]
	s_and_saveexec_b64 s[54:55], s[52:53]
	s_cbranch_execz .LBB6_11045
	s_branch .LBB6_11044
.LBB6_11050:                            ;   in Loop: Header=BB6_11047 Depth=3
	s_add_i32 s9, s9, 1
	s_mov_b64 s[50:51], -1
                                        ; implicit-def: $vgpr0
	s_and_saveexec_b64 s[54:55], s[52:53]
	s_cbranch_execz .LBB6_11045
	s_branch .LBB6_11044
.LBB6_11051:                            ;   in Loop: Header=BB6_11041 Depth=2
	s_or_b64 exec, exec, s[94:95]
	s_xor_b64 s[26:27], s[30:31], -1
	s_and_saveexec_b64 s[44:45], s[26:27]
	s_xor_b64 s[26:27], exec, s[44:45]
	s_cbranch_execz .LBB6_11053
; %bb.11052:                            ;   in Loop: Header=BB6_11041 Depth=2
	ds_write_b32 v0, v0
	s_trap 2
	buffer_load_dword v0, off, s[0:3], s33 offset:72 ; 4-byte Folded Reload
	s_waitcnt vmcnt(0)
	v_or_b32_e32 v0, 64, v0
	buffer_store_dword v0, off, s[0:3], s33 offset:72 ; 4-byte Folded Spill
.LBB6_11053:                            ;   in Loop: Header=BB6_11041 Depth=2
	s_or_b64 exec, exec, s[26:27]
.LBB6_11054:                            ;   in Loop: Header=BB6_11041 Depth=2
	s_or_b64 exec, exec, s[92:93]
	;;#ASMSTART
	s_wakeup
	;;#ASMEND
	buffer_load_dword v0, off, s[0:3], s33 offset:72 ; 4-byte Folded Reload
	s_mov_b64 s[26:27], -1
	s_waitcnt vmcnt(0)
	v_and_b32_e32 v0, 0x100, v0
	v_cmp_ne_u32_e32 vcc, 0, v0
	buffer_load_dword v0, off, s[0:3], s33 offset:84 ; 4-byte Folded Reload
	buffer_load_dword v1, off, s[0:3], s33 offset:88 ; 4-byte Folded Reload
	s_waitcnt vmcnt(0)
	v_and_b32_e32 v8, 7, v0
                                        ; implicit-def: $vgpr0_vgpr1
	s_and_saveexec_b64 s[92:93], vcc
	s_cbranch_execz .LBB6_11058
; %bb.11055:                            ;   in Loop: Header=BB6_11041 Depth=2
	buffer_load_dword v0, off, s[0:3], s33 offset:212 ; 4-byte Folded Reload
	buffer_load_dword v1, off, s[0:3], s33 offset:216 ; 4-byte Folded Reload
	;; [unrolled: 1-line block ×4, first 2 shown]
	s_waitcnt vmcnt(0)
	v_mad_u64_u32 v[2:3], s[26:27], v8, 24, v[0:1]
	flat_load_dword v0, v[2:3]
	s_waitcnt vmcnt(0) lgkmcnt(0)
	v_cmp_ne_u32_e32 vcc, 1, v0
	v_cmp_eq_u32_e64 s[26:27], 1, v0
                                        ; implicit-def: $vgpr0_vgpr1
	s_and_saveexec_b64 s[94:95], s[26:27]
	s_cbranch_execz .LBB6_11057
; %bb.11056:                            ;   in Loop: Header=BB6_11041 Depth=2
	flat_load_dword v0, v[2:3] offset:4 glc
	s_waitcnt vmcnt(0) lgkmcnt(0)
	v_ashrrev_i32_e32 v1, 31, v0
.LBB6_11057:                            ;   in Loop: Header=BB6_11041 Depth=2
	s_or_b64 exec, exec, s[94:95]
	s_orn2_b64 s[26:27], vcc, exec
.LBB6_11058:                            ;   in Loop: Header=BB6_11041 Depth=2
	s_or_b64 exec, exec, s[92:93]
	s_and_saveexec_b64 s[92:93], s[26:27]
	s_cbranch_execz .LBB6_11060
; %bb.11059:                            ;   in Loop: Header=BB6_11041 Depth=2
	buffer_load_dword v0, off, s[0:3], s33 offset:244 ; 4-byte Folded Reload
	s_waitcnt vmcnt(0)
	v_mad_i64_i32 v[0:1], s[26:27], v8, v0, 0
.LBB6_11060:                            ;   in Loop: Header=BB6_11041 Depth=2
	s_or_b64 exec, exec, s[92:93]
	buffer_load_dword v2, off, s[0:3], s33 offset:204 ; 4-byte Folded Reload
	buffer_load_dword v3, off, s[0:3], s33 offset:208 ; 4-byte Folded Reload
	s_waitcnt vmcnt(0)
	v_add_co_u32_e32 v0, vcc, v2, v0
	v_addc_co_u32_e32 v1, vcc, v3, v1, vcc
	ds_write_b64 v0, v[0:1] offset:720
	buffer_load_dword v0, off, s[0:3], s33 offset:72 ; 4-byte Folded Reload
	s_waitcnt vmcnt(0)
	v_and_b32_e32 v0, 0x2000, v0
	v_cmp_ne_u32_e32 vcc, 0, v0
	s_and_saveexec_b64 s[26:27], vcc
	s_cbranch_execz .LBB6_11062
; %bb.11061:                            ;   in Loop: Header=BB6_11041 Depth=2
	ds_read_b64 v[0:1], v0 offset:872
	s_waitcnt lgkmcnt(0)
	v_add_co_u32_e32 v0, vcc, 1, v0
	v_addc_co_u32_e32 v1, vcc, 0, v1, vcc
	ds_write_b64 v0, v[0:1] offset:872
.LBB6_11062:                            ;   in Loop: Header=BB6_11041 Depth=2
	s_or_b64 exec, exec, s[26:27]
	buffer_store_dword v4, off, s[0:3], s33 offset:84 ; 4-byte Folded Spill
	s_nop 0
	buffer_store_dword v5, off, s[0:3], s33 offset:88 ; 4-byte Folded Spill
.LBB6_11063:                            ;   in Loop: Header=BB6_11041 Depth=2
	s_or_b64 exec, exec, s[90:91]
	s_xor_b64 s[26:27], s[42:43], -1
	s_and_b64 s[26:27], exec, s[26:27]
	s_or_b64 s[40:41], s[26:27], s[40:41]
	s_and_saveexec_b64 s[26:27], s[10:11]
	s_cbranch_execz .LBB6_11082
; %bb.11064:                            ;   in Loop: Header=BB6_11041 Depth=2
	s_and_saveexec_b64 s[42:43], s[58:59]
	s_xor_b64 s[42:43], exec, s[42:43]
	s_cbranch_execz .LBB6_11079
; %bb.11065:                            ;   in Loop: Header=BB6_11041 Depth=2
	s_and_saveexec_b64 s[90:91], s[16:17]
	s_cbranch_execz .LBB6_11078
; %bb.11066:                            ;   in Loop: Header=BB6_11041 Depth=2
	s_mov_b64 s[94:95], exec
	v_mbcnt_lo_u32_b32 v0, s94, 0
	v_mbcnt_hi_u32_b32 v0, s95, v0
	v_cmp_eq_u32_e32 vcc, 0, v0
	s_waitcnt vmcnt(0) lgkmcnt(0)
	buffer_wbinvl1_vol
	s_and_saveexec_b64 s[92:93], vcc
	s_cbranch_execz .LBB6_11068
; %bb.11067:                            ;   in Loop: Header=BB6_11041 Depth=2
	s_bcnt1_i32_b64 s9, s[94:95]
	v_mov_b32_e32 v20, s9
	ds_add_u64 v0, v[20:21]
	s_trap 2
.LBB6_11068:                            ;   in Loop: Header=BB6_11041 Depth=2
	s_or_b64 exec, exec, s[92:93]
	s_trap 2
	ds_read_b64 v[0:1], v0
	s_waitcnt lgkmcnt(0)
	buffer_load_dword v2, off, s[0:3], s33 offset:76 ; 4-byte Folded Reload
	buffer_load_dword v3, off, s[0:3], s33 offset:80 ; 4-byte Folded Reload
	s_waitcnt vmcnt(1)
	v_add_co_u32_e32 v2, vcc, v2, v49
	s_waitcnt vmcnt(0)
	v_addc_co_u32_e32 v3, vcc, 0, v3, vcc
	buffer_store_dword v2, off, s[0:3], s33 offset:76 ; 4-byte Folded Spill
	s_nop 0
	buffer_store_dword v3, off, s[0:3], s33 offset:80 ; 4-byte Folded Spill
	v_cmp_lt_u64_e32 vcc, v[0:1], v[2:3]
	s_and_saveexec_b64 s[92:93], vcc
	s_cbranch_execz .LBB6_11077
; %bb.11069:                            ;   in Loop: Header=BB6_11041 Depth=2
	s_mov_b32 s9, 0
	s_mov_b64 s[94:95], 0
                                        ; implicit-def: $sgpr30_sgpr31
                                        ; implicit-def: $sgpr34_sgpr35
	s_branch .LBB6_11071
.LBB6_11070:                            ;   in Loop: Header=BB6_11071 Depth=3
	s_or_b64 exec, exec, s[38:39]
	s_and_b64 s[44:45], exec, vcc
	s_or_b64 s[94:95], s[44:45], s[94:95]
	s_andn2_b64 s[44:45], s[30:31], exec
	s_and_b64 vcc, s[34:35], exec
	s_or_b64 s[30:31], s[44:45], vcc
	s_andn2_b64 exec, exec, s[94:95]
	s_cbranch_execz .LBB6_11075
.LBB6_11071:                            ;   Parent Loop BB6_47 Depth=1
                                        ;     Parent Loop BB6_11041 Depth=2
                                        ; =>    This Inner Loop Header: Depth=3
	s_add_i32 s9, s9, 1
	s_cmpk_lg_i32 s9, 0x2710
	s_cselect_b64 s[36:37], -1, 0
	s_and_b64 vcc, exec, s[36:37]
	s_cbranch_vccz .LBB6_11073
; %bb.11072:                            ;   in Loop: Header=BB6_11071 Depth=3
	s_mov_b64 vcc, -1
	s_or_b64 s[34:35], s[34:35], exec
	s_and_saveexec_b64 s[38:39], s[36:37]
	s_cbranch_execz .LBB6_11070
	s_branch .LBB6_11074
.LBB6_11073:                            ;   in Loop: Header=BB6_11071 Depth=3
	s_trap 2
	ds_read_b64 v[0:1], v0
	s_andn2_b64 s[44:45], s[36:37], exec
	s_mov_b32 s9, 0
	s_waitcnt vmcnt(0) lgkmcnt(0)
	flat_load_dword v0, v[0:1] glc
	s_waitcnt vmcnt(0) lgkmcnt(0)
	buffer_wbinvl1_vol
	v_cmp_eq_u32_e32 vcc, 0, v0
	s_and_b64 vcc, vcc, exec
	s_or_b64 s[36:37], s[44:45], vcc
	s_mov_b64 vcc, -1
	s_or_b64 s[34:35], s[34:35], exec
	s_and_saveexec_b64 s[38:39], s[36:37]
	s_cbranch_execz .LBB6_11070
.LBB6_11074:                            ;   in Loop: Header=BB6_11071 Depth=3
	s_sleep 1
	s_trap 2
	ds_read_b64 v[0:1], v0
	s_waitcnt lgkmcnt(0)
	buffer_load_dword v2, off, s[0:3], s33 offset:76 ; 4-byte Folded Reload
	buffer_load_dword v3, off, s[0:3], s33 offset:80 ; 4-byte Folded Reload
	s_andn2_b64 s[34:35], s[34:35], exec
	s_waitcnt vmcnt(0)
	v_cmp_ge_u64_e32 vcc, v[0:1], v[2:3]
	s_orn2_b64 vcc, vcc, exec
	s_branch .LBB6_11070
.LBB6_11075:                            ;   in Loop: Header=BB6_11041 Depth=2
	s_or_b64 exec, exec, s[94:95]
	s_and_saveexec_b64 s[44:45], s[30:31]
	s_xor_b64 s[44:45], exec, s[44:45]
	s_cbranch_execz .LBB6_11077
; %bb.11076:                            ;   in Loop: Header=BB6_11041 Depth=2
	v_mov_b32_e32 v0, 1
	ds_write_b32 v0, v0
	s_trap 2
.LBB6_11077:                            ;   in Loop: Header=BB6_11041 Depth=2
	s_or_b64 exec, exec, s[92:93]
	;;#ASMSTART
	s_wakeup
	;;#ASMEND
.LBB6_11078:                            ;   in Loop: Header=BB6_11041 Depth=2
	s_or_b64 exec, exec, s[90:91]
.LBB6_11079:                            ;   in Loop: Header=BB6_11041 Depth=2
	s_andn2_saveexec_b64 s[42:43], s[42:43]
	s_cbranch_execz .LBB6_11081
; %bb.11080:                            ;   in Loop: Header=BB6_11041 Depth=2
	s_waitcnt vmcnt(0) lgkmcnt(0)
	buffer_wbinvl1_vol
	s_barrier
.LBB6_11081:                            ;   in Loop: Header=BB6_11041 Depth=2
	s_or_b64 exec, exec, s[42:43]
.LBB6_11082:                            ;   in Loop: Header=BB6_11041 Depth=2
	s_or_b64 exec, exec, s[26:27]
	v_sub_u32_e32 v0, v6, v14
	v_min_i32_e32 v7, v7, v0
	s_and_saveexec_b64 s[26:27], s[24:25]
	s_xor_b64 s[26:27], exec, s[26:27]
	s_cbranch_execz .LBB6_11086
; %bb.11083:                            ;   in Loop: Header=BB6_11041 Depth=2
	s_trap 2
	ds_read_b32 v0, v0
	v_cmp_lt_i32_e32 vcc, 0, v7
	s_waitcnt lgkmcnt(0)
	v_readfirstlane_b32 s9, v0
	buffer_load_dword v0, off, s[0:3], s33 offset:72 ; 4-byte Folded Reload
	s_cmp_eq_u32 s9, 0
	s_cselect_b64 s[42:43], -1, 0
	s_and_b64 s[42:43], vcc, s[42:43]
	s_waitcnt vmcnt(0)
	v_and_b32_e32 v0, 16, v0
	v_cmp_ne_u32_e32 vcc, 0, v0
	s_and_b64 s[44:45], vcc, s[42:43]
	s_and_saveexec_b64 s[42:43], s[44:45]
	s_cbranch_execz .LBB6_11085
; %bb.11084:                            ;   in Loop: Header=BB6_11041 Depth=2
	buffer_wbinvl1_vol
.LBB6_11085:                            ;   in Loop: Header=BB6_11041 Depth=2
	s_or_b64 exec, exec, s[42:43]
.LBB6_11086:                            ;   in Loop: Header=BB6_11041 Depth=2
	s_andn2_saveexec_b64 s[26:27], s[26:27]
	s_cbranch_execz .LBB6_11105
; %bb.11087:                            ;   in Loop: Header=BB6_11041 Depth=2
	s_and_saveexec_b64 s[42:43], s[58:59]
	s_xor_b64 s[42:43], exec, s[42:43]
	s_cbranch_execz .LBB6_11102
; %bb.11088:                            ;   in Loop: Header=BB6_11041 Depth=2
	s_and_saveexec_b64 s[90:91], s[16:17]
	s_cbranch_execz .LBB6_11101
; %bb.11089:                            ;   in Loop: Header=BB6_11041 Depth=2
	s_mov_b64 s[94:95], exec
	v_mbcnt_lo_u32_b32 v0, s94, 0
	v_mbcnt_hi_u32_b32 v0, s95, v0
	v_cmp_eq_u32_e32 vcc, 0, v0
	;;#ASMSTART
	s_waitcnt lgkmcnt(0) vmcnt(0)
	;;#ASMEND
	s_and_saveexec_b64 s[92:93], vcc
	s_cbranch_execz .LBB6_11091
; %bb.11090:                            ;   in Loop: Header=BB6_11041 Depth=2
	s_bcnt1_i32_b64 s9, s[94:95]
	v_mov_b32_e32 v20, s9
	s_waitcnt lgkmcnt(0)
	ds_add_u64 v0, v[20:21]
	s_trap 2
.LBB6_11091:                            ;   in Loop: Header=BB6_11041 Depth=2
	s_or_b64 exec, exec, s[92:93]
	s_trap 2
	ds_read_b64 v[0:1], v0
	s_waitcnt lgkmcnt(0)
	buffer_load_dword v2, off, s[0:3], s33 offset:76 ; 4-byte Folded Reload
	buffer_load_dword v3, off, s[0:3], s33 offset:80 ; 4-byte Folded Reload
	s_waitcnt vmcnt(1)
	v_add_co_u32_e32 v2, vcc, v2, v49
	s_waitcnt vmcnt(0)
	v_addc_co_u32_e32 v3, vcc, 0, v3, vcc
	buffer_store_dword v2, off, s[0:3], s33 offset:76 ; 4-byte Folded Spill
	s_nop 0
	buffer_store_dword v3, off, s[0:3], s33 offset:80 ; 4-byte Folded Spill
	v_cmp_lt_u64_e32 vcc, v[0:1], v[2:3]
	s_and_saveexec_b64 s[92:93], vcc
	s_cbranch_execz .LBB6_11100
; %bb.11092:                            ;   in Loop: Header=BB6_11041 Depth=2
	s_mov_b32 s9, 0
	s_mov_b64 s[94:95], 0
                                        ; implicit-def: $sgpr30_sgpr31
                                        ; implicit-def: $sgpr34_sgpr35
	s_branch .LBB6_11094
.LBB6_11093:                            ;   in Loop: Header=BB6_11094 Depth=3
	s_or_b64 exec, exec, s[38:39]
	s_and_b64 s[44:45], exec, vcc
	s_or_b64 s[94:95], s[44:45], s[94:95]
	s_andn2_b64 s[44:45], s[30:31], exec
	s_and_b64 vcc, s[34:35], exec
	s_or_b64 s[30:31], s[44:45], vcc
	s_andn2_b64 exec, exec, s[94:95]
	s_cbranch_execz .LBB6_11098
.LBB6_11094:                            ;   Parent Loop BB6_47 Depth=1
                                        ;     Parent Loop BB6_11041 Depth=2
                                        ; =>    This Inner Loop Header: Depth=3
	s_add_i32 s9, s9, 1
	s_cmpk_lg_i32 s9, 0x2710
	s_cselect_b64 s[36:37], -1, 0
	s_and_b64 vcc, exec, s[36:37]
	s_cbranch_vccz .LBB6_11096
; %bb.11095:                            ;   in Loop: Header=BB6_11094 Depth=3
	s_mov_b64 vcc, -1
	s_or_b64 s[34:35], s[34:35], exec
	s_and_saveexec_b64 s[38:39], s[36:37]
	s_cbranch_execz .LBB6_11093
	s_branch .LBB6_11097
.LBB6_11096:                            ;   in Loop: Header=BB6_11094 Depth=3
	s_trap 2
	ds_read_b64 v[0:1], v0
	s_andn2_b64 s[44:45], s[36:37], exec
	s_mov_b32 s9, 0
	s_waitcnt vmcnt(0) lgkmcnt(0)
	flat_load_dword v0, v[0:1] glc
	s_waitcnt vmcnt(0) lgkmcnt(0)
	buffer_wbinvl1_vol
	v_cmp_eq_u32_e32 vcc, 0, v0
	s_and_b64 vcc, vcc, exec
	s_or_b64 s[36:37], s[44:45], vcc
	s_mov_b64 vcc, -1
	s_or_b64 s[34:35], s[34:35], exec
	s_and_saveexec_b64 s[38:39], s[36:37]
	s_cbranch_execz .LBB6_11093
.LBB6_11097:                            ;   in Loop: Header=BB6_11094 Depth=3
	s_sleep 1
	s_trap 2
	ds_read_b64 v[0:1], v0
	s_waitcnt lgkmcnt(0)
	buffer_load_dword v2, off, s[0:3], s33 offset:76 ; 4-byte Folded Reload
	buffer_load_dword v3, off, s[0:3], s33 offset:80 ; 4-byte Folded Reload
	s_andn2_b64 s[34:35], s[34:35], exec
	s_waitcnt vmcnt(0)
	v_cmp_ge_u64_e32 vcc, v[0:1], v[2:3]
	s_orn2_b64 vcc, vcc, exec
	s_branch .LBB6_11093
.LBB6_11098:                            ;   in Loop: Header=BB6_11041 Depth=2
	s_or_b64 exec, exec, s[94:95]
	s_and_saveexec_b64 s[44:45], s[30:31]
	s_xor_b64 s[44:45], exec, s[44:45]
	s_cbranch_execz .LBB6_11100
; %bb.11099:                            ;   in Loop: Header=BB6_11041 Depth=2
	v_mov_b32_e32 v0, 1
	ds_write_b32 v0, v0
	s_trap 2
.LBB6_11100:                            ;   in Loop: Header=BB6_11041 Depth=2
	s_or_b64 exec, exec, s[92:93]
	;;#ASMSTART
	s_wakeup
	;;#ASMEND
.LBB6_11101:                            ;   in Loop: Header=BB6_11041 Depth=2
	s_or_b64 exec, exec, s[90:91]
.LBB6_11102:                            ;   in Loop: Header=BB6_11041 Depth=2
	s_andn2_saveexec_b64 s[42:43], s[42:43]
	s_cbranch_execz .LBB6_11104
; %bb.11103:                            ;   in Loop: Header=BB6_11041 Depth=2
	;;#ASMSTART
	s_waitcnt lgkmcnt(0) vmcnt(0)
	;;#ASMEND
	s_waitcnt vmcnt(0) lgkmcnt(0)
	s_barrier
.LBB6_11104:                            ;   in Loop: Header=BB6_11041 Depth=2
	s_or_b64 exec, exec, s[42:43]
.LBB6_11105:                            ;   in Loop: Header=BB6_11041 Depth=2
	s_or_b64 exec, exec, s[26:27]
	buffer_load_dword v0, off, s[0:3], s33 offset:72 ; 4-byte Folded Reload
	s_waitcnt vmcnt(0)
	v_and_b32_e32 v0, 32, v0
	v_cmp_ne_u32_e32 vcc, 0, v0
	s_and_saveexec_b64 s[26:27], vcc
	s_cbranch_execz .LBB6_11040
; %bb.11106:                            ;   in Loop: Header=BB6_11041 Depth=2
	buffer_load_dword v2, off, s[0:3], s33 offset:84 ; 4-byte Folded Reload
	buffer_load_dword v3, off, s[0:3], s33 offset:88 ; 4-byte Folded Reload
	;; [unrolled: 1-line block ×4, first 2 shown]
	s_waitcnt vmcnt(0)
	v_add_co_u32_e32 v2, vcc, 2, v2
	v_addc_co_u32_e32 v3, vcc, 0, v3, vcc
	buffer_store_dword v2, off, s[0:3], s33 offset:84 ; 4-byte Folded Spill
	s_nop 0
	buffer_store_dword v3, off, s[0:3], s33 offset:88 ; 4-byte Folded Spill
	flat_store_dwordx2 v[0:1], v[2:3]
	s_branch .LBB6_11040
.LBB6_11107:
	s_or_b64 exec, exec, s[60:61]
	buffer_load_dword v18, off, s[0:3], s33 offset:452 ; 4-byte Folded Reload
	buffer_load_dword v31, off, s[0:3], s33 offset:456 ; 4-byte Folded Reload
	v_readlane_b32 s28, v62, 4
	v_readlane_b32 s29, v62, 5
.LBB6_11108:
	v_readlane_b32 s4, v62, 2
	v_readlane_b32 s5, v62, 3
	s_or_b64 exec, exec, s[4:5]
	buffer_load_dword v1, off, s[0:3], s33 offset:72 ; 4-byte Folded Reload
	s_waitcnt vmcnt(0)
	v_and_b32_e32 v0, 0x800, v1
	v_cmp_eq_u32_e32 vcc, 0, v0
	s_and_saveexec_b64 s[6:7], vcc
	s_cbranch_execz .LBB6_11141
; %bb.11109:
	v_and_b32_e32 v0, 48, v1
	v_cmp_ne_u32_e32 vcc, 0, v0
	s_and_saveexec_b64 s[4:5], vcc
	s_cbranch_execz .LBB6_11111
; %bb.11110:
	buffer_load_dword v0, off, s[0:3], s33 offset:440 ; 4-byte Folded Reload
	buffer_load_dword v1, off, s[0:3], s33 offset:444 ; 4-byte Folded Reload
	;; [unrolled: 1-line block ×4, first 2 shown]
	s_waitcnt vmcnt(0)
	flat_store_dwordx2 v[0:1], v[2:3] offset:104
.LBB6_11111:
	s_or_b64 exec, exec, s[4:5]
	s_waitcnt lgkmcnt(0)
	buffer_load_dword v5, off, s[0:3], s33 offset:72 ; 4-byte Folded Reload
	s_movk_i32 s4, 0x88
	s_waitcnt vmcnt(0)
	v_and_b32_e32 v0, 0x88, v5
	v_cmp_eq_u32_e32 vcc, s4, v0
	s_and_saveexec_b64 s[10:11], vcc
	s_cbranch_execz .LBB6_11121
; %bb.11112:
	buffer_load_dword v0, off, s[0:3], s33 offset:84 ; 4-byte Folded Reload
	buffer_load_dword v1, off, s[0:3], s33 offset:88 ; 4-byte Folded Reload
	buffer_load_dword v1, off, s[0:3], s33 offset:212 ; 4-byte Folded Reload
	buffer_load_dword v2, off, s[0:3], s33 offset:216 ; 4-byte Folded Reload
	buffer_load_dword v3, off, s[0:3], s33 offset:220 ; 4-byte Folded Reload
	buffer_load_dword v4, off, s[0:3], s33 offset:224 ; 4-byte Folded Reload
	s_waitcnt vmcnt(0)
	v_and_b32_e32 v4, 64, v5
	s_mov_b32 s8, 0
	v_add_u32_e32 v0, 6, v0
	v_and_b32_e32 v0, 7, v0
	v_mad_u64_u32 v[0:1], s[4:5], v0, 24, v[1:2]
	v_cmp_eq_u32_e64 s[4:5], 0, v4
	flat_load_dwordx2 v[2:3], v[0:1] offset:8 glc
	s_waitcnt vmcnt(0) lgkmcnt(0)
	v_cmp_ne_u64_e32 vcc, -1, v[2:3]
	s_and_b64 s[4:5], vcc, s[4:5]
	s_and_b64 exec, exec, s[4:5]
	s_cbranch_execz .LBB6_11121
; %bb.11113:
	s_mov_b64 s[4:5], 0
                                        ; implicit-def: $sgpr12_sgpr13
                                        ; implicit-def: $sgpr14_sgpr15
	s_branch .LBB6_11116
.LBB6_11114:                            ;   in Loop: Header=BB6_11116 Depth=1
	flat_load_dwordx2 v[3:4], v[0:1] offset:8 glc
	s_waitcnt vmcnt(0)
	s_andn2_b64 s[14:15], s[14:15], exec
	s_waitcnt lgkmcnt(0)
	v_cmp_eq_u64_e32 vcc, -1, v[3:4]
	s_orn2_b64 s[18:19], vcc, exec
.LBB6_11115:                            ;   in Loop: Header=BB6_11116 Depth=1
	s_or_b64 exec, exec, s[20:21]
	s_and_b64 s[16:17], exec, s[18:19]
	s_or_b64 s[4:5], s[16:17], s[4:5]
	s_andn2_b64 s[12:13], s[12:13], exec
	s_and_b64 s[16:17], s[14:15], exec
	s_or_b64 s[12:13], s[12:13], s[16:17]
	s_andn2_b64 exec, exec, s[4:5]
	s_cbranch_execz .LBB6_11119
.LBB6_11116:                            ; =>This Inner Loop Header: Depth=1
	s_cmpk_lt_i32 s8, 0x270f
	s_cselect_b64 s[16:17], -1, 0
	s_and_b64 vcc, exec, s[16:17]
	s_cbranch_vccnz .LBB6_11118
; %bb.11117:                            ;   in Loop: Header=BB6_11116 Depth=1
	s_trap 2
	ds_read_b64 v[2:3], v0
	s_andn2_b64 s[16:17], s[16:17], exec
	s_mov_b32 s8, 0
	s_waitcnt lgkmcnt(0)
	flat_load_dword v2, v[2:3] glc
	s_waitcnt vmcnt(0) lgkmcnt(0)
	buffer_wbinvl1_vol
	v_cmp_eq_u32_e32 vcc, 0, v2
	s_and_b64 s[18:19], vcc, exec
	s_or_b64 s[16:17], s[16:17], s[18:19]
	s_mov_b64 s[18:19], -1
	s_or_b64 s[14:15], s[14:15], exec
	s_and_saveexec_b64 s[20:21], s[16:17]
	s_cbranch_execz .LBB6_11115
	s_branch .LBB6_11114
.LBB6_11118:                            ;   in Loop: Header=BB6_11116 Depth=1
	s_add_i32 s8, s8, 1
                                        ; implicit-def: $vgpr2
	s_mov_b64 s[18:19], -1
	s_or_b64 s[14:15], s[14:15], exec
	s_and_saveexec_b64 s[20:21], s[16:17]
	s_cbranch_execz .LBB6_11115
	s_branch .LBB6_11114
.LBB6_11119:
	s_or_b64 exec, exec, s[4:5]
	s_mov_b64 s[4:5], exec
	buffer_load_dword v5, off, s[0:3], s33 offset:72 ; 4-byte Folded Reload
	s_and_b64 s[8:9], s[4:5], s[12:13]
	s_xor_b64 s[4:5], s[8:9], s[4:5]
	s_mov_b64 exec, s[8:9]
	s_cbranch_execz .LBB6_11121
; %bb.11120:
	ds_write_b32 v0, v2
	s_trap 2
.LBB6_11121:
	s_or_b64 exec, exec, s[10:11]
	s_waitcnt vmcnt(0)
	v_and_b32_e32 v0, 0x2000, v5
	v_cmp_ne_u32_e32 vcc, 0, v0
	s_and_saveexec_b64 s[4:5], vcc
	s_cbranch_execz .LBB6_11123
; %bb.11122:
	s_trap 2
	ds_read_b64 v[0:1], v0
	buffer_load_dword v2, off, s[0:3], s33 offset:460 ; 4-byte Folded Reload
	buffer_load_dword v3, off, s[0:3], s33 offset:464 ; 4-byte Folded Reload
	s_waitcnt vmcnt(0) lgkmcnt(0)
	flat_store_dwordx2 v[2:3], v[0:1] offset:16
.LBB6_11123:
	s_or_b64 exec, exec, s[4:5]
	v_cmp_ne_u32_e32 vcc, 64, v18
	s_and_b64 exec, exec, vcc
	s_cbranch_execz .LBB6_11141
; %bb.11124:
	buffer_load_dword v0, off, s[0:3], s33 offset:448 ; 4-byte Folded Reload
	s_waitcnt vmcnt(0)
	v_cmp_ne_u32_sdwa s[4:5], v18, v0 src0_sel:DWORD src1_sel:WORD_0
	s_and_saveexec_b64 s[8:9], s[4:5]
	s_xor_b64 s[4:5], exec, s[8:9]
	s_cbranch_execz .LBB6_11139
; %bb.11125:
	v_and_b32_e32 v0, 63, v31
	v_cmp_eq_u32_e32 vcc, 0, v0
	s_and_saveexec_b64 s[10:11], vcc
	s_cbranch_execz .LBB6_11138
; %bb.11126:
	s_mov_b64 s[14:15], exec
	v_mbcnt_lo_u32_b32 v0, s14, 0
	v_mbcnt_hi_u32_b32 v0, s15, v0
	v_cmp_eq_u32_e32 vcc, 0, v0
	s_waitcnt lgkmcnt(0)
	buffer_wbinvl1_vol
	s_and_saveexec_b64 s[12:13], vcc
	s_cbranch_execz .LBB6_11128
; %bb.11127:
	s_bcnt1_i32_b64 s8, s[14:15]
	v_mov_b32_e32 v0, s8
	v_mov_b32_e32 v1, 0
	ds_add_u64 v0, v[0:1]
	s_trap 2
.LBB6_11128:
	s_or_b64 exec, exec, s[12:13]
	v_lshrrev_b32_e32 v0, 6, v18
	s_trap 2
	ds_read_b64 v[2:3], v0
	s_waitcnt lgkmcnt(0)
	buffer_load_dword v4, off, s[0:3], s33 offset:76 ; 4-byte Folded Reload
	buffer_load_dword v5, off, s[0:3], s33 offset:80 ; 4-byte Folded Reload
	s_waitcnt vmcnt(1)
	v_add_co_u32_e32 v0, vcc, v4, v0
	s_waitcnt vmcnt(0)
	v_addc_co_u32_e32 v1, vcc, 0, v5, vcc
	v_cmp_lt_u64_e32 vcc, v[2:3], v[0:1]
	s_and_saveexec_b64 s[12:13], vcc
	s_cbranch_execz .LBB6_11137
; %bb.11129:
	s_mov_b32 s8, 0
	s_mov_b64 s[14:15], 0
                                        ; implicit-def: $sgpr16_sgpr17
                                        ; implicit-def: $sgpr18_sgpr19
	s_branch .LBB6_11131
.LBB6_11130:                            ;   in Loop: Header=BB6_11131 Depth=1
	s_or_b64 exec, exec, s[22:23]
	s_and_b64 s[20:21], exec, s[24:25]
	s_or_b64 s[14:15], s[20:21], s[14:15]
	s_andn2_b64 s[16:17], s[16:17], exec
	s_and_b64 s[20:21], s[18:19], exec
	s_or_b64 s[16:17], s[16:17], s[20:21]
	s_andn2_b64 exec, exec, s[14:15]
	s_cbranch_execz .LBB6_11135
.LBB6_11131:                            ; =>This Inner Loop Header: Depth=1
	s_add_i32 s8, s8, 1
	s_cmpk_lg_i32 s8, 0x2710
	s_cselect_b64 s[20:21], -1, 0
	s_and_b64 vcc, exec, s[20:21]
	s_cbranch_vccz .LBB6_11133
; %bb.11132:                            ;   in Loop: Header=BB6_11131 Depth=1
	s_mov_b64 s[24:25], -1
	s_or_b64 s[18:19], s[18:19], exec
	s_and_saveexec_b64 s[22:23], s[20:21]
	s_cbranch_execz .LBB6_11130
	s_branch .LBB6_11134
.LBB6_11133:                            ;   in Loop: Header=BB6_11131 Depth=1
	s_trap 2
	ds_read_b64 v[2:3], v0
	s_andn2_b64 s[20:21], s[20:21], exec
	s_mov_b32 s8, 0
	s_waitcnt lgkmcnt(0)
	flat_load_dword v2, v[2:3] glc
	s_waitcnt vmcnt(0) lgkmcnt(0)
	buffer_wbinvl1_vol
	v_cmp_eq_u32_e32 vcc, 0, v2
	s_and_b64 s[22:23], vcc, exec
	s_or_b64 s[20:21], s[20:21], s[22:23]
	s_mov_b64 s[24:25], -1
	s_or_b64 s[18:19], s[18:19], exec
	s_and_saveexec_b64 s[22:23], s[20:21]
	s_cbranch_execz .LBB6_11130
.LBB6_11134:                            ;   in Loop: Header=BB6_11131 Depth=1
	s_sleep 1
	s_trap 2
	ds_read_b64 v[2:3], v0
	s_waitcnt lgkmcnt(0)
	s_andn2_b64 s[18:19], s[18:19], exec
	v_cmp_ge_u64_e32 vcc, v[2:3], v[0:1]
	s_orn2_b64 s[24:25], vcc, exec
	s_branch .LBB6_11130
.LBB6_11135:
	s_or_b64 exec, exec, s[14:15]
	s_and_saveexec_b64 s[8:9], s[16:17]
	s_xor_b64 s[8:9], exec, s[8:9]
	s_cbranch_execz .LBB6_11137
; %bb.11136:
	v_mov_b32_e32 v0, 1
	ds_write_b32 v0, v0
	s_trap 2
.LBB6_11137:
	s_or_b64 exec, exec, s[12:13]
	;;#ASMSTART
	s_wakeup
	;;#ASMEND
.LBB6_11138:
	s_or_b64 exec, exec, s[10:11]
.LBB6_11139:
	s_andn2_saveexec_b64 s[4:5], s[4:5]
	s_cbranch_execz .LBB6_11141
; %bb.11140:
	s_waitcnt lgkmcnt(0)
	buffer_wbinvl1_vol
	s_barrier
.LBB6_11141:
	s_or_b64 exec, exec, s[6:7]
.LBB6_11142:
	v_readlane_b32 s4, v62, 0
	v_readlane_b32 s5, v62, 1
	s_andn2_saveexec_b64 s[26:27], s[4:5]
	s_cbranch_execz .LBB6_11144
; %bb.11143:
	s_getpc_b64 s[4:5]
	s_add_u32 s4, s4, __PRETTY_FUNCTION__._ZN10PrimitivesI14__hip_fp8_e4m38FuncProdIS0_E12FanSymmetricILi1EELi0E11ProtoSimpleILi2ELi2ELi0ELi4ELi0ELi0EELi0ELb0ELi0ELi0ELi0EEC2EiiPKiS9_PKvPvmhhhP15ncclDevWorkCollP14ncclDevWorkP2pii@rel32@lo+4
	s_addc_u32 s5, s5, __PRETTY_FUNCTION__._ZN10PrimitivesI14__hip_fp8_e4m38FuncProdIS0_E12FanSymmetricILi1EELi0E11ProtoSimpleILi2ELi2ELi0ELi4ELi0ELi0EELi0ELb0ELi0ELi0ELi0EEC2EiiPKiS9_PKvPvmhhhP15ncclDevWorkCollP14ncclDevWorkP2pii@rel32@hi+12
	s_getpc_b64 s[6:7]
	s_add_u32 s6, s6, __assert_fail@rel32@lo+4
	s_addc_u32 s7, s7, __assert_fail@rel32@hi+12
	s_mov_b64 s[8:9], s[28:29]
	v_mov_b32_e32 v0, s4
	v_mov_b32_e32 v1, s5
	s_swappc_b64 s[30:31], s[6:7]
	; divergent unreachable
.LBB6_11144:
	s_or_b64 exec, exec, s[26:27]
	buffer_load_dword v61, off, s[0:3], s33 ; 4-byte Folded Reload
	buffer_load_dword v60, off, s[0:3], s33 offset:4 ; 4-byte Folded Reload
	buffer_load_dword v59, off, s[0:3], s33 offset:8 ; 4-byte Folded Reload
	;; [unrolled: 1-line block ×13, first 2 shown]
	v_readlane_b32 s30, v63, 32
	v_readlane_b32 s31, v63, 33
	v_readlane_b32 s97, v63, 31
	v_readlane_b32 s96, v63, 30
	v_readlane_b32 s87, v63, 29
	v_readlane_b32 s86, v63, 28
	v_readlane_b32 s85, v63, 27
	v_readlane_b32 s84, v63, 26
	v_readlane_b32 s83, v63, 25
	v_readlane_b32 s82, v63, 24
	v_readlane_b32 s81, v63, 23
	v_readlane_b32 s80, v63, 22
	v_readlane_b32 s71, v63, 21
	v_readlane_b32 s70, v63, 20
	v_readlane_b32 s69, v63, 19
	v_readlane_b32 s68, v63, 18
	v_readlane_b32 s67, v63, 17
	v_readlane_b32 s66, v63, 16
	v_readlane_b32 s65, v63, 15
	v_readlane_b32 s64, v63, 14
	v_readlane_b32 s55, v63, 13
	v_readlane_b32 s54, v63, 12
	v_readlane_b32 s53, v63, 11
	v_readlane_b32 s52, v63, 10
	v_readlane_b32 s51, v63, 9
	v_readlane_b32 s50, v63, 8
	v_readlane_b32 s49, v63, 7
	v_readlane_b32 s48, v63, 6
	v_readlane_b32 s39, v63, 5
	v_readlane_b32 s38, v63, 4
	v_readlane_b32 s37, v63, 3
	v_readlane_b32 s36, v63, 2
	v_readlane_b32 s35, v63, 1
	v_readlane_b32 s34, v63, 0
	s_mov_b32 s32, s33
	v_readlane_b32 s4, v63, 34
	s_or_saveexec_b64 s[6:7], -1
	buffer_load_dword v63, off, s[0:3], s33 offset:468 ; 4-byte Folded Reload
	buffer_load_dword v62, off, s[0:3], s33 offset:472 ; 4-byte Folded Reload
	s_mov_b64 exec, s[6:7]
	s_mov_b32 s33, s4
	s_waitcnt vmcnt(0) lgkmcnt(0)
	s_setpc_b64 s[30:31]
.Lfunc_end6:
	.size	_ZN12_GLOBAL__N_17runRingI14__hip_fp8_e4m38FuncProdIS1_E11ProtoSimpleILi2ELi2ELi0ELi4ELi0ELi0EELi0ELi0ELi4ELi0EEEviiP15ncclDevWorkColl, .Lfunc_end6-_ZN12_GLOBAL__N_17runRingI14__hip_fp8_e4m38FuncProdIS1_E11ProtoSimpleILi2ELi2ELi0ELi4ELi0ELi0EELi0ELi0ELi4ELi0EEEviiP15ncclDevWorkColl
                                        ; -- End function
	.set .L_ZN12_GLOBAL__N_17runRingI14__hip_fp8_e4m38FuncProdIS1_E11ProtoSimpleILi2ELi2ELi0ELi4ELi0ELi0EELi0ELi0ELi4ELi0EEEviiP15ncclDevWorkColl.num_vgpr, max(64, .L__assert_fail.num_vgpr)
	.set .L_ZN12_GLOBAL__N_17runRingI14__hip_fp8_e4m38FuncProdIS1_E11ProtoSimpleILi2ELi2ELi0ELi4ELi0ELi0EELi0ELi0ELi4ELi0EEEviiP15ncclDevWorkColl.num_agpr, max(0, .L__assert_fail.num_agpr)
	.set .L_ZN12_GLOBAL__N_17runRingI14__hip_fp8_e4m38FuncProdIS1_E11ProtoSimpleILi2ELi2ELi0ELi4ELi0ELi0EELi0ELi0ELi4ELi0EEEviiP15ncclDevWorkColl.numbered_sgpr, max(100, .L__assert_fail.numbered_sgpr)
	.set .L_ZN12_GLOBAL__N_17runRingI14__hip_fp8_e4m38FuncProdIS1_E11ProtoSimpleILi2ELi2ELi0ELi4ELi0ELi0EELi0ELi0ELi4ELi0EEEviiP15ncclDevWorkColl.num_named_barrier, max(0, .L__assert_fail.num_named_barrier)
	.set .L_ZN12_GLOBAL__N_17runRingI14__hip_fp8_e4m38FuncProdIS1_E11ProtoSimpleILi2ELi2ELi0ELi4ELi0ELi0EELi0ELi0ELi4ELi0EEEviiP15ncclDevWorkColl.private_seg_size, 480+max(.L__assert_fail.private_seg_size)
	.set .L_ZN12_GLOBAL__N_17runRingI14__hip_fp8_e4m38FuncProdIS1_E11ProtoSimpleILi2ELi2ELi0ELi4ELi0ELi0EELi0ELi0ELi4ELi0EEEviiP15ncclDevWorkColl.uses_vcc, or(1, .L__assert_fail.uses_vcc)
	.set .L_ZN12_GLOBAL__N_17runRingI14__hip_fp8_e4m38FuncProdIS1_E11ProtoSimpleILi2ELi2ELi0ELi4ELi0ELi0EELi0ELi0ELi4ELi0EEEviiP15ncclDevWorkColl.uses_flat_scratch, or(0, .L__assert_fail.uses_flat_scratch)
	.set .L_ZN12_GLOBAL__N_17runRingI14__hip_fp8_e4m38FuncProdIS1_E11ProtoSimpleILi2ELi2ELi0ELi4ELi0ELi0EELi0ELi0ELi4ELi0EEEviiP15ncclDevWorkColl.has_dyn_sized_stack, or(0, .L__assert_fail.has_dyn_sized_stack)
	.set .L_ZN12_GLOBAL__N_17runRingI14__hip_fp8_e4m38FuncProdIS1_E11ProtoSimpleILi2ELi2ELi0ELi4ELi0ELi0EELi0ELi0ELi4ELi0EEEviiP15ncclDevWorkColl.has_recursion, or(1, .L__assert_fail.has_recursion)
	.set .L_ZN12_GLOBAL__N_17runRingI14__hip_fp8_e4m38FuncProdIS1_E11ProtoSimpleILi2ELi2ELi0ELi4ELi0ELi0EELi0ELi0ELi4ELi0EEEviiP15ncclDevWorkColl.has_indirect_call, or(0, .L__assert_fail.has_indirect_call)
	.section	.AMDGPU.csdata,"",@progbits
; Function info:
; codeLenInByte = 334420
; TotalNumSgprs: 104
; NumVgprs: 64
; ScratchSize: 544
; MemoryBound: 1
	.text
	.p2align	2                               ; -- Begin function _Z51ncclDevFunc_AllReduce_RING_SIMPLE_Prod_f8e4m3_0_0_4v
	.type	_Z51ncclDevFunc_AllReduce_RING_SIMPLE_Prod_f8e4m3_0_0_4v,@function
_Z51ncclDevFunc_AllReduce_RING_SIMPLE_Prod_f8e4m3_0_0_4v: ; @_Z51ncclDevFunc_AllReduce_RING_SIMPLE_Prod_f8e4m3_0_0_4v
; %bb.0:
	s_waitcnt vmcnt(0) expcnt(0) lgkmcnt(0)
	s_mov_b32 s4, s33
	s_mov_b32 s33, s32
	s_or_saveexec_b64 s[6:7], -1
	buffer_store_dword v43, off, s[0:3], s33 offset:20 ; 4-byte Folded Spill
	buffer_store_dword v44, off, s[0:3], s33 offset:24 ; 4-byte Folded Spill
	s_mov_b64 exec, s[6:7]
	v_writelane_b32 v44, s4, 38
	v_writelane_b32 v44, s100, 36
	;; [unrolled: 1-line block ×3, first 2 shown]
	s_addk_i32 s32, 0x800
	buffer_store_dword v40, off, s[0:3], s33 offset:12 ; 4-byte Folded Spill
	buffer_store_dword v41, off, s[0:3], s33 offset:8 ; 4-byte Folded Spill
	;; [unrolled: 1-line block ×3, first 2 shown]
	buffer_store_dword v62, off, s[0:3], s33 ; 4-byte Folded Spill
	v_writelane_b32 v44, s34, 0
	v_writelane_b32 v44, s35, 1
	;; [unrolled: 1-line block ×36, first 2 shown]
	s_trap 2
	ds_read_b32 v0, v0
                                        ; implicit-def: $vgpr43 : SGPR spill to VGPR lane
	v_mov_b32_e32 v40, v31
	v_writelane_b32 v43, s12, 0
	v_writelane_b32 v43, s8, 1
	;; [unrolled: 1-line block ×3, first 2 shown]
	s_waitcnt lgkmcnt(0)
	v_cmp_gt_i32_e32 vcc, 1, v0
	s_cbranch_vccnz .LBB7_8
; %bb.1:
	s_mov_b32 s6, 0
	v_and_b32_e32 v41, 0x3ff, v40
	v_mov_b32_e32 v42, 6
	s_branch .LBB7_3
.LBB7_2:                                ;   in Loop: Header=BB7_3 Depth=1
	s_or_b64 exec, exec, s[8:9]
	s_trap 2
	ds_read_b32 v0, v0
	s_add_i32 s6, s6, 1
	s_waitcnt lgkmcnt(0)
	v_cmp_lt_i32_e32 vcc, s6, v0
	s_cbranch_vccz .LBB7_8
.LBB7_3:                                ; =>This Inner Loop Header: Depth=1
	s_trap 2
	ds_read_b32 v0, v0
	s_cmp_eq_u32 s6, 0
	s_cbranch_scc1 .LBB7_6
; %bb.4:                                ;   in Loop: Header=BB7_3 Depth=1
	s_trap 2
	s_waitcnt lgkmcnt(0)
	ds_read_b32 v1, v0
	s_waitcnt lgkmcnt(0)
	v_xor_b32_e32 v1, v1, v0
	v_and_b32_e32 v1, 0xff0000, v1
	v_cmp_eq_u32_e32 vcc, 0, v1
	s_cbranch_vccnz .LBB7_6
; %bb.5:                                ;   in Loop: Header=BB7_3 Depth=1
	s_waitcnt vmcnt(0)
	s_barrier
	ds_read_b32 v0, v0
.LBB7_6:                                ;   in Loop: Header=BB7_3 Depth=1
	s_waitcnt lgkmcnt(0)
	v_lshlrev_b32_sdwa v1, v42, v0 dst_sel:DWORD dst_unused:UNUSED_PAD src0_sel:DWORD src1_sel:BYTE_2
	v_cmp_lt_u32_e32 vcc, v41, v1
	s_and_saveexec_b64 s[8:9], vcc
	s_cbranch_execz .LBB7_2
; %bb.7:                                ;   in Loop: Header=BB7_3 Depth=1
	v_writelane_b32 v43, s6, 3
	v_writelane_b32 v43, s8, 4
	s_mov_b64 s[4:5], src_shared_base
	s_getpc_b64 s[6:7]
	s_add_u32 s6, s6, _ZN12_GLOBAL__N_17runRingI14__hip_fp8_e4m38FuncProdIS1_E11ProtoSimpleILi2ELi2ELi0ELi4ELi0ELi0EELi0ELi0ELi4ELi0EEEviiP15ncclDevWorkColl@rel32@lo+4
	s_addc_u32 s7, s7, _ZN12_GLOBAL__N_17runRingI14__hip_fp8_e4m38FuncProdIS1_E11ProtoSimpleILi2ELi2ELi0ELi4ELi0ELi0EELi0ELi0ELi4ELi0EEEviiP15ncclDevWorkColl@rel32@hi+12
	v_writelane_b32 v43, s9, 5
	s_or_saveexec_b64 s[100:101], -1
	buffer_store_dword v43, off, s[0:3], s33 offset:16 ; 4-byte Folded Spill
	s_mov_b64 exec, s[100:101]
	v_readlane_b32 s8, v43, 1
	v_readlane_b32 s9, v43, 2
	;; [unrolled: 1-line block ×3, first 2 shown]
	v_mov_b32_e32 v31, v40
	v_mov_b32_e32 v0, v41
	;; [unrolled: 1-line block ×3, first 2 shown]
	s_swappc_b64 s[30:31], s[6:7]
	s_or_saveexec_b64 s[100:101], -1
	buffer_load_dword v43, off, s[0:3], s33 offset:16 ; 4-byte Folded Reload
	s_mov_b64 exec, s[100:101]
	s_waitcnt vmcnt(0)
	v_readlane_b32 s8, v43, 4
	v_readlane_b32 s9, v43, 5
	;; [unrolled: 1-line block ×3, first 2 shown]
	s_branch .LBB7_2
.LBB7_8:
	buffer_load_dword v62, off, s[0:3], s33 ; 4-byte Folded Reload
	buffer_load_dword v42, off, s[0:3], s33 offset:4 ; 4-byte Folded Reload
	buffer_load_dword v41, off, s[0:3], s33 offset:8 ; 4-byte Folded Reload
	;; [unrolled: 1-line block ×3, first 2 shown]
	v_readlane_b32 s30, v44, 34
	v_readlane_b32 s31, v44, 35
	;; [unrolled: 1-line block ×36, first 2 shown]
	s_mov_b32 s32, s33
	v_readlane_b32 s4, v44, 38
	v_readlane_b32 s100, v44, 36
	;; [unrolled: 1-line block ×3, first 2 shown]
	s_or_saveexec_b64 s[6:7], -1
	buffer_load_dword v43, off, s[0:3], s33 offset:20 ; 4-byte Folded Reload
	buffer_load_dword v44, off, s[0:3], s33 offset:24 ; 4-byte Folded Reload
	s_mov_b64 exec, s[6:7]
	s_mov_b32 s33, s4
	s_waitcnt vmcnt(0)
	s_setpc_b64 s[30:31]
.Lfunc_end7:
	.size	_Z51ncclDevFunc_AllReduce_RING_SIMPLE_Prod_f8e4m3_0_0_4v, .Lfunc_end7-_Z51ncclDevFunc_AllReduce_RING_SIMPLE_Prod_f8e4m3_0_0_4v
                                        ; -- End function
	.set .L_Z51ncclDevFunc_AllReduce_RING_SIMPLE_Prod_f8e4m3_0_0_4v.num_vgpr, max(63, .L_ZN12_GLOBAL__N_17runRingI14__hip_fp8_e4m38FuncProdIS1_E11ProtoSimpleILi2ELi2ELi0ELi4ELi0ELi0EELi0ELi0ELi4ELi0EEEviiP15ncclDevWorkColl.num_vgpr)
	.set .L_Z51ncclDevFunc_AllReduce_RING_SIMPLE_Prod_f8e4m3_0_0_4v.num_agpr, max(0, .L_ZN12_GLOBAL__N_17runRingI14__hip_fp8_e4m38FuncProdIS1_E11ProtoSimpleILi2ELi2ELi0ELi4ELi0ELi0EELi0ELi0ELi4ELi0EEEviiP15ncclDevWorkColl.num_agpr)
	.set .L_Z51ncclDevFunc_AllReduce_RING_SIMPLE_Prod_f8e4m3_0_0_4v.numbered_sgpr, max(102, .L_ZN12_GLOBAL__N_17runRingI14__hip_fp8_e4m38FuncProdIS1_E11ProtoSimpleILi2ELi2ELi0ELi4ELi0ELi0EELi0ELi0ELi4ELi0EEEviiP15ncclDevWorkColl.numbered_sgpr)
	.set .L_Z51ncclDevFunc_AllReduce_RING_SIMPLE_Prod_f8e4m3_0_0_4v.num_named_barrier, max(0, .L_ZN12_GLOBAL__N_17runRingI14__hip_fp8_e4m38FuncProdIS1_E11ProtoSimpleILi2ELi2ELi0ELi4ELi0ELi0EELi0ELi0ELi4ELi0EEEviiP15ncclDevWorkColl.num_named_barrier)
	.set .L_Z51ncclDevFunc_AllReduce_RING_SIMPLE_Prod_f8e4m3_0_0_4v.private_seg_size, 32+max(.L_ZN12_GLOBAL__N_17runRingI14__hip_fp8_e4m38FuncProdIS1_E11ProtoSimpleILi2ELi2ELi0ELi4ELi0ELi0EELi0ELi0ELi4ELi0EEEviiP15ncclDevWorkColl.private_seg_size)
	.set .L_Z51ncclDevFunc_AllReduce_RING_SIMPLE_Prod_f8e4m3_0_0_4v.uses_vcc, or(1, .L_ZN12_GLOBAL__N_17runRingI14__hip_fp8_e4m38FuncProdIS1_E11ProtoSimpleILi2ELi2ELi0ELi4ELi0ELi0EELi0ELi0ELi4ELi0EEEviiP15ncclDevWorkColl.uses_vcc)
	.set .L_Z51ncclDevFunc_AllReduce_RING_SIMPLE_Prod_f8e4m3_0_0_4v.uses_flat_scratch, or(0, .L_ZN12_GLOBAL__N_17runRingI14__hip_fp8_e4m38FuncProdIS1_E11ProtoSimpleILi2ELi2ELi0ELi4ELi0ELi0EELi0ELi0ELi4ELi0EEEviiP15ncclDevWorkColl.uses_flat_scratch)
	.set .L_Z51ncclDevFunc_AllReduce_RING_SIMPLE_Prod_f8e4m3_0_0_4v.has_dyn_sized_stack, or(0, .L_ZN12_GLOBAL__N_17runRingI14__hip_fp8_e4m38FuncProdIS1_E11ProtoSimpleILi2ELi2ELi0ELi4ELi0ELi0EELi0ELi0ELi4ELi0EEEviiP15ncclDevWorkColl.has_dyn_sized_stack)
	.set .L_Z51ncclDevFunc_AllReduce_RING_SIMPLE_Prod_f8e4m3_0_0_4v.has_recursion, or(1, .L_ZN12_GLOBAL__N_17runRingI14__hip_fp8_e4m38FuncProdIS1_E11ProtoSimpleILi2ELi2ELi0ELi4ELi0ELi0EELi0ELi0ELi4ELi0EEEviiP15ncclDevWorkColl.has_recursion)
	.set .L_Z51ncclDevFunc_AllReduce_RING_SIMPLE_Prod_f8e4m3_0_0_4v.has_indirect_call, or(0, .L_ZN12_GLOBAL__N_17runRingI14__hip_fp8_e4m38FuncProdIS1_E11ProtoSimpleILi2ELi2ELi0ELi4ELi0ELi0EELi0ELi0ELi4ELi0EEEviiP15ncclDevWorkColl.has_indirect_call)
	.section	.AMDGPU.csdata,"",@progbits
; Function info:
; codeLenInByte = 1124
; TotalNumSgprs: 106
; NumVgprs: 64
; ScratchSize: 576
; MemoryBound: 0
	.section	.AMDGPU.gpr_maximums,"",@progbits
	.set amdgpu.max_num_vgpr, 64
	.set amdgpu.max_num_agpr, 0
	.set amdgpu.max_num_sgpr, 102
	.section	.AMDGPU.csdata,"",@progbits
	.type	__const.__assert_fail.fmt,@object ; @__const.__assert_fail.fmt
	.section	.rodata.str1.16,"aMS",@progbits,1
	.p2align	4, 0x0
__const.__assert_fail.fmt:
	.asciz	"%s:%u: %s: Device-side assertion `%s' failed.\n"
	.size	__const.__assert_fail.fmt, 47

	.type	.str.3,@object                  ; @.str.3
	.section	.rodata.str1.1,"aMS",@progbits,1
.str.3:
	.asciz	"2*(nrecv+nsend) <= nthreads"
	.size	.str.3, 28

	.type	.str.4,@object                  ; @.str.4
.str.4:
	.asciz	"/root/src/amdgpu-assembly/repos/ROCm__rccl/hipify/src/device/prims_simple.h"
	.size	.str.4, 76

	.type	__PRETTY_FUNCTION__._ZN10PrimitivesI14__hip_fp8_e4m38FuncProdIS0_E12FanSymmetricILi1EELi0E11ProtoSimpleILi2ELi2ELi0ELi1ELi0ELi0EELi0ELb0ELi0ELi0ELi0EEC2EiiPKiS9_PKvPvmhhhP15ncclDevWorkCollP14ncclDevWorkP2pii,@object ; @__PRETTY_FUNCTION__._ZN10PrimitivesI14__hip_fp8_e4m38FuncProdIS0_E12FanSymmetricILi1EELi0E11ProtoSimpleILi2ELi2ELi0ELi1ELi0ELi0EELi0ELb0ELi0ELi0ELi0EEC2EiiPKiS9_PKvPvmhhhP15ncclDevWorkCollP14ncclDevWorkP2pii
__PRETTY_FUNCTION__._ZN10PrimitivesI14__hip_fp8_e4m38FuncProdIS0_E12FanSymmetricILi1EELi0E11ProtoSimpleILi2ELi2ELi0ELi1ELi0ELi0EELi0ELb0ELi0ELi0ELi0EEC2EiiPKiS9_PKvPvmhhhP15ncclDevWorkCollP14ncclDevWorkP2pii:
	.asciz	"Primitives<__hip_fp8_e4m3, FuncProd<__hip_fp8_e4m3>, FanSymmetric<1>, 0, ProtoSimple<2, 2, 0, 1>, 0>::Primitives(int, int, const int *, const int *, const void *, void *, uint64_t, uint8_t, uint8_t, uint8_t, struct ncclDevWorkColl *, struct ncclDevWorkP2p *, int, int) [T = __hip_fp8_e4m3, RedOp = FuncProd<__hip_fp8_e4m3>, Fan = FanSymmetric<1>, Direct = 0, Proto = ProtoSimple<2, 2, 0, 1>, P2p = 0, isNetOffload = false, Metadata = 0, Pipeline = 0, useAcc = 0]"
	.size	__PRETTY_FUNCTION__._ZN10PrimitivesI14__hip_fp8_e4m38FuncProdIS0_E12FanSymmetricILi1EELi0E11ProtoSimpleILi2ELi2ELi0ELi1ELi0ELi0EELi0ELb0ELi0ELi0ELi0EEC2EiiPKiS9_PKvPvmhhhP15ncclDevWorkCollP14ncclDevWorkP2pii, 463

	.type	__PRETTY_FUNCTION__._ZN10PrimitivesI14__hip_fp8_e4m38FuncProdIS0_E12FanSymmetricILi1EELi0E11ProtoSimpleILi2ELi2ELi0ELi2ELi0ELi0EELi0ELb0ELi0ELi0ELi0EEC2EiiPKiS9_PKvPvmhhhP15ncclDevWorkCollP14ncclDevWorkP2pii,@object ; @__PRETTY_FUNCTION__._ZN10PrimitivesI14__hip_fp8_e4m38FuncProdIS0_E12FanSymmetricILi1EELi0E11ProtoSimpleILi2ELi2ELi0ELi2ELi0ELi0EELi0ELb0ELi0ELi0ELi0EEC2EiiPKiS9_PKvPvmhhhP15ncclDevWorkCollP14ncclDevWorkP2pii
__PRETTY_FUNCTION__._ZN10PrimitivesI14__hip_fp8_e4m38FuncProdIS0_E12FanSymmetricILi1EELi0E11ProtoSimpleILi2ELi2ELi0ELi2ELi0ELi0EELi0ELb0ELi0ELi0ELi0EEC2EiiPKiS9_PKvPvmhhhP15ncclDevWorkCollP14ncclDevWorkP2pii:
	.asciz	"Primitives<__hip_fp8_e4m3, FuncProd<__hip_fp8_e4m3>, FanSymmetric<1>, 0, ProtoSimple<2, 2, 0, 2>, 0>::Primitives(int, int, const int *, const int *, const void *, void *, uint64_t, uint8_t, uint8_t, uint8_t, struct ncclDevWorkColl *, struct ncclDevWorkP2p *, int, int) [T = __hip_fp8_e4m3, RedOp = FuncProd<__hip_fp8_e4m3>, Fan = FanSymmetric<1>, Direct = 0, Proto = ProtoSimple<2, 2, 0, 2>, P2p = 0, isNetOffload = false, Metadata = 0, Pipeline = 0, useAcc = 0]"
	.size	__PRETTY_FUNCTION__._ZN10PrimitivesI14__hip_fp8_e4m38FuncProdIS0_E12FanSymmetricILi1EELi0E11ProtoSimpleILi2ELi2ELi0ELi2ELi0ELi0EELi0ELb0ELi0ELi0ELi0EEC2EiiPKiS9_PKvPvmhhhP15ncclDevWorkCollP14ncclDevWorkP2pii, 463

	.type	__PRETTY_FUNCTION__._ZN10PrimitivesI14__hip_fp8_e4m38FuncProdIS0_E12FanSymmetricILi1EELi0E11ProtoSimpleILi2ELi2ELi0ELi4ELi0ELi0EELi0ELb0ELi0ELi0ELi0EEC2EiiPKiS9_PKvPvmhhhP15ncclDevWorkCollP14ncclDevWorkP2pii,@object ; @__PRETTY_FUNCTION__._ZN10PrimitivesI14__hip_fp8_e4m38FuncProdIS0_E12FanSymmetricILi1EELi0E11ProtoSimpleILi2ELi2ELi0ELi4ELi0ELi0EELi0ELb0ELi0ELi0ELi0EEC2EiiPKiS9_PKvPvmhhhP15ncclDevWorkCollP14ncclDevWorkP2pii
__PRETTY_FUNCTION__._ZN10PrimitivesI14__hip_fp8_e4m38FuncProdIS0_E12FanSymmetricILi1EELi0E11ProtoSimpleILi2ELi2ELi0ELi4ELi0ELi0EELi0ELb0ELi0ELi0ELi0EEC2EiiPKiS9_PKvPvmhhhP15ncclDevWorkCollP14ncclDevWorkP2pii:
	.asciz	"Primitives<__hip_fp8_e4m3, FuncProd<__hip_fp8_e4m3>, FanSymmetric<1>, 0, ProtoSimple<2, 2, 0, 4>, 0>::Primitives(int, int, const int *, const int *, const void *, void *, uint64_t, uint8_t, uint8_t, uint8_t, struct ncclDevWorkColl *, struct ncclDevWorkP2p *, int, int) [T = __hip_fp8_e4m3, RedOp = FuncProd<__hip_fp8_e4m3>, Fan = FanSymmetric<1>, Direct = 0, Proto = ProtoSimple<2, 2, 0, 4>, P2p = 0, isNetOffload = false, Metadata = 0, Pipeline = 0, useAcc = 0]"
	.size	__PRETTY_FUNCTION__._ZN10PrimitivesI14__hip_fp8_e4m38FuncProdIS0_E12FanSymmetricILi1EELi0E11ProtoSimpleILi2ELi2ELi0ELi4ELi0ELi0EELi0ELb0ELi0ELi0ELi0EEC2EiiPKiS9_PKvPvmhhhP15ncclDevWorkCollP14ncclDevWorkP2pii, 463

	.type	__hip_cuid_a981d6bc5f0bb7d4,@object ; @__hip_cuid_a981d6bc5f0bb7d4
	.section	.bss,"aw",@nobits
	.globl	__hip_cuid_a981d6bc5f0bb7d4
__hip_cuid_a981d6bc5f0bb7d4:
	.byte	0                               ; 0x0
	.size	__hip_cuid_a981d6bc5f0bb7d4, 1

	.ident	"AMD clang version 22.0.0git (https://github.com/RadeonOpenCompute/llvm-project roc-7.2.4 26084 f58b06dce1f9c15707c5f808fd002e18c2accf7e)"
	.section	".note.GNU-stack","",@progbits
	.addrsig
	.addrsig_sym _Z51ncclDevFunc_AllReduce_RING_SIMPLE_Prod_f8e4m3_0_0_1v
	.addrsig_sym _Z51ncclDevFunc_AllReduce_RING_SIMPLE_Prod_f8e4m3_0_0_2v
	.addrsig_sym _Z51ncclDevFunc_AllReduce_RING_SIMPLE_Prod_f8e4m3_0_0_4v
	.addrsig_sym ncclShmem
	.addrsig_sym __hip_cuid_a981d6bc5f0bb7d4
	.amdgpu_metadata
---
amdhsa.kernels:  []
amdhsa.target:   amdgcn-amd-amdhsa--gfx906
amdhsa.version:
  - 1
  - 2
...

	.end_amdgpu_metadata
